;; amdgpu-corpus repo=ggml-org/llama.cpp kind=compiled arch=gfx950 opt=O3
	.amdgcn_target "amdgcn-amd-amdhsa--gfx950"
	.amdhsa_code_object_version 6
	.section	.text._ZL18flash_attn_ext_f16ILi64ELi64ELi16ELi4ELb0ELb0EEvPKcS1_S1_S1_S1_PKiPfP15HIP_vector_typeIfLj2EEffffjfiS5_IjLj3EEiiiiiiiiiiiliiliiiiil,"axG",@progbits,_ZL18flash_attn_ext_f16ILi64ELi64ELi16ELi4ELb0ELb0EEvPKcS1_S1_S1_S1_PKiPfP15HIP_vector_typeIfLj2EEffffjfiS5_IjLj3EEiiiiiiiiiiiliiliiiiil,comdat
	.globl	_ZL18flash_attn_ext_f16ILi64ELi64ELi16ELi4ELb0ELb0EEvPKcS1_S1_S1_S1_PKiPfP15HIP_vector_typeIfLj2EEffffjfiS5_IjLj3EEiiiiiiiiiiiliiliiiiil ; -- Begin function _ZL18flash_attn_ext_f16ILi64ELi64ELi16ELi4ELb0ELb0EEvPKcS1_S1_S1_S1_PKiPfP15HIP_vector_typeIfLj2EEffffjfiS5_IjLj3EEiiiiiiiiiiiliiliiiiil
	.p2align	8
	.type	_ZL18flash_attn_ext_f16ILi64ELi64ELi16ELi4ELb0ELb0EEvPKcS1_S1_S1_S1_PKiPfP15HIP_vector_typeIfLj2EEffffjfiS5_IjLj3EEiiiiiiiiiiiliiliiiiil,@function
_ZL18flash_attn_ext_f16ILi64ELi64ELi16ELi4ELb0ELb0EEvPKcS1_S1_S1_S1_PKiPfP15HIP_vector_typeIfLj2EEffffjfiS5_IjLj3EEiiiiiiiiiiiliiliiiiil: ; @_ZL18flash_attn_ext_f16ILi64ELi64ELi16ELi4ELb0ELb0EEvPKcS1_S1_S1_S1_PKiPfP15HIP_vector_typeIfLj2EEffffjfiS5_IjLj3EEiiiiiiiiiiiliiliiiiil
; %bb.0:
	s_mov_b32 s23, s2
	s_load_dwordx2 s[2:3], s[0:1], 0x80
	s_load_dwordx4 s[24:27], s[0:1], 0x64
                                        ; implicit-def: $vgpr127 : SGPR spill to VGPR lane
	s_mov_b32 s6, 0
	s_waitcnt lgkmcnt(0)
	s_abs_i32 s4, s3
	v_cvt_f32_u32_e32 v1, s4
	s_sub_i32 s8, 0, s4
	s_abs_i32 s7, s25
	s_xor_b32 s5, s25, s3
	v_rcp_iflag_f32_e32 v1, v1
	s_ashr_i32 s5, s5, 31
	v_mul_f32_e32 v1, 0x4f7ffffe, v1
	v_cvt_u32_f32_e32 v1, v1
	s_nop 0
	v_readfirstlane_b32 s9, v1
	s_mul_i32 s8, s8, s9
	s_mul_hi_u32 s8, s9, s8
	s_add_i32 s9, s9, s8
	s_mul_hi_u32 s8, s7, s9
	s_mul_i32 s9, s8, s4
	s_sub_i32 s7, s7, s9
	s_add_i32 s10, s8, 1
	s_sub_i32 s9, s7, s4
	s_cmp_ge_u32 s7, s4
	s_cselect_b32 s8, s10, s8
	s_cselect_b32 s7, s9, s7
	s_add_i32 s9, s8, 1
	s_cmp_ge_u32 s7, s4
	s_cselect_b32 s4, s9, s8
	s_add_i32 s2, s2, 63
	s_xor_b32 s4, s4, s5
	s_ashr_i32 s7, s2, 31
	s_sub_i32 s33, s4, s5
	s_lshr_b32 s4, s7, 26
	s_add_i32 s2, s2, s4
	s_ashr_i32 s34, s2, 6
	s_add_i32 s2, s24, 15
	s_lshr_b32 s5, s2, 4
	s_add_i32 s2, s33, 3
	s_ashr_i32 s4, s2, 31
	s_lshr_b32 s4, s4, 30
	s_add_i32 s2, s2, s4
	s_ashr_i32 s2, s2, 2
	v_writelane_b32 v127, s5, 0
	s_mul_i32 s4, s5, s34
	v_writelane_b32 v127, s4, 1
	s_mul_i32 s2, s4, s2
	v_writelane_b32 v127, s2, 2
	s_mul_i32 s2, s2, s3
	v_writelane_b32 v127, s2, 3
	s_mul_i32 s2, s2, s26
	s_ashr_i32 s3, s2, 31
	s_mul_i32 s4, s3, s23
	s_mul_hi_u32 s5, s2, s23
	s_add_i32 s7, s5, s4
	s_load_dword s26, s[0:1], 0xd0
	s_add_u32 s4, s0, 0xd0
	s_addc_u32 s5, s1, 0
	v_writelane_b32 v127, s4, 4
	s_cmp_lg_u64 s[6:7], 0
	s_mul_i32 s6, s2, s23
	v_writelane_b32 v127, s5, 5
	s_cbranch_scc0 .LBB0_2
; %bb.1:
	s_waitcnt lgkmcnt(0)
	s_add_u32 s4, s26, 0
	s_addc_u32 s5, 0, 0
	s_xor_b64 s[8:9], s[4:5], 0
	v_cvt_f32_u32_e32 v1, s8
	v_cvt_f32_u32_e32 v2, s9
	s_sub_u32 s12, 0, s8
	s_subb_u32 s13, 0, s9
	s_mov_b64 s[4:5], 0
	v_fmamk_f32 v1, v2, 0x4f800000, v1
	v_rcp_f32_e32 v1, v1
	s_nop 0
	v_mul_f32_e32 v1, 0x5f7ffffc, v1
	v_mul_f32_e32 v2, 0x2f800000, v1
	v_trunc_f32_e32 v2, v2
	v_fmamk_f32 v1, v2, 0xcf800000, v1
	v_cvt_u32_f32_e32 v2, v2
	v_cvt_u32_f32_e32 v1, v1
	v_readfirstlane_b32 s14, v2
	v_readfirstlane_b32 s10, v1
	s_mul_i32 s11, s12, s14
	s_mul_hi_u32 s16, s12, s10
	s_mul_i32 s15, s13, s10
	s_add_i32 s11, s16, s11
	s_add_i32 s11, s11, s15
	s_mul_i32 s17, s12, s10
	s_mul_i32 s16, s10, s11
	s_mul_hi_u32 s18, s10, s17
	s_mul_hi_u32 s15, s10, s11
	s_add_u32 s16, s18, s16
	s_addc_u32 s15, 0, s15
	s_mul_hi_u32 s19, s14, s17
	s_mul_i32 s17, s14, s17
	s_add_u32 s16, s16, s17
	s_mul_hi_u32 s18, s14, s11
	s_addc_u32 s15, s15, s19
	s_addc_u32 s16, s18, 0
	s_mul_i32 s11, s14, s11
	s_add_u32 s11, s15, s11
	s_addc_u32 s15, 0, s16
	s_add_u32 s16, s10, s11
	s_cselect_b64 s[10:11], -1, 0
	s_cmp_lg_u64 s[10:11], 0
	s_addc_u32 s14, s14, s15
	s_mul_i32 s10, s12, s14
	s_mul_hi_u32 s11, s12, s16
	s_add_i32 s10, s11, s10
	s_mul_i32 s13, s13, s16
	s_add_i32 s10, s10, s13
	s_mul_i32 s12, s12, s16
	s_mul_hi_u32 s13, s14, s12
	s_mul_i32 s15, s14, s12
	s_mul_i32 s18, s16, s10
	s_mul_hi_u32 s12, s16, s12
	s_mul_hi_u32 s17, s16, s10
	s_add_u32 s12, s12, s18
	s_addc_u32 s17, 0, s17
	s_add_u32 s12, s12, s15
	s_mul_hi_u32 s11, s14, s10
	s_addc_u32 s12, s17, s13
	s_addc_u32 s11, s11, 0
	s_mul_i32 s10, s14, s10
	s_add_u32 s10, s12, s10
	s_addc_u32 s12, 0, s11
	s_add_u32 s15, s16, s10
	s_cselect_b64 s[10:11], -1, 0
	s_cmp_lg_u64 s[10:11], 0
	s_addc_u32 s14, s14, s12
	s_ashr_i32 s10, s7, 31
	s_add_u32 s12, s6, s10
	s_mov_b32 s11, s10
	s_addc_u32 s13, s7, s10
	s_xor_b64 s[12:13], s[12:13], s[10:11]
	s_mul_i32 s16, s12, s14
	s_mul_hi_u32 s17, s12, s15
	s_mul_hi_u32 s7, s12, s14
	s_add_u32 s16, s17, s16
	s_addc_u32 s7, 0, s7
	s_mul_hi_u32 s18, s13, s15
	s_mul_i32 s15, s13, s15
	s_add_u32 s15, s16, s15
	s_mul_hi_u32 s17, s13, s14
	s_addc_u32 s7, s7, s18
	s_addc_u32 s15, s17, 0
	s_mul_i32 s14, s13, s14
	s_add_u32 s7, s7, s14
	s_addc_u32 s18, 0, s15
	s_mul_i32 s14, s8, s18
	s_mul_hi_u32 s15, s8, s7
	s_add_i32 s14, s15, s14
	s_mul_i32 s15, s9, s7
	s_add_i32 s19, s14, s15
	s_sub_i32 s16, s13, s19
	s_mul_i32 s14, s8, s7
	s_sub_u32 s12, s12, s14
	s_cselect_b64 s[14:15], -1, 0
	s_cmp_lg_u64 s[14:15], 0
	s_subb_u32 s20, s16, s9
	s_sub_u32 s21, s12, s8
	s_cselect_b64 s[16:17], -1, 0
	s_cmp_lg_u64 s[16:17], 0
	s_subb_u32 s16, s20, 0
	s_cmp_ge_u32 s16, s9
	s_cselect_b32 s17, -1, 0
	s_cmp_ge_u32 s21, s8
	s_cselect_b32 s20, -1, 0
	s_cmp_eq_u32 s16, s9
	s_cselect_b32 s16, s20, s17
	s_add_u32 s17, s7, 1
	s_addc_u32 s20, s18, 0
	s_add_u32 s21, s7, 2
	s_addc_u32 s22, s18, 0
	s_cmp_lg_u32 s16, 0
	s_cselect_b32 s16, s21, s17
	s_cselect_b32 s17, s22, s20
	s_cmp_lg_u64 s[14:15], 0
	s_subb_u32 s13, s13, s19
	s_cmp_ge_u32 s13, s9
	s_cselect_b32 s14, -1, 0
	s_cmp_ge_u32 s12, s8
	s_cselect_b32 s8, -1, 0
	s_cmp_eq_u32 s13, s9
	s_cselect_b32 s8, s8, s14
	s_cmp_lg_u32 s8, 0
	s_cselect_b32 s9, s17, s18
	s_cselect_b32 s8, s16, s7
	s_xor_b64 s[10:11], s[10:11], 0
	s_xor_b64 s[8:9], s[8:9], s[10:11]
	s_sub_u32 s50, s8, s10
	s_branch .LBB0_3
.LBB0_2:
	s_mov_b64 s[4:5], -1
                                        ; implicit-def: $sgpr50_sgpr51
.LBB0_3:
	s_load_dwordx2 s[8:9], s[0:1], 0x74
	s_waitcnt lgkmcnt(0)
	v_cvt_f32_u32_e32 v1, s26
	s_andn2_b64 vcc, exec, s[4:5]
	v_writelane_b32 v127, s8, 6
	s_nop 1
	v_writelane_b32 v127, s9, 7
	s_cbranch_vccnz .LBB0_5
; %bb.4:
	v_rcp_iflag_f32_e32 v2, v1
	s_sub_i32 s4, 0, s26
	v_mul_f32_e32 v2, 0x4f7ffffe, v2
	v_cvt_u32_f32_e32 v2, v2
	s_nop 0
	v_readfirstlane_b32 s5, v2
	s_mul_i32 s4, s4, s5
	s_mul_hi_u32 s4, s5, s4
	s_add_i32 s5, s5, s4
	s_mul_hi_u32 s4, s6, s5
	s_mul_i32 s7, s4, s26
	s_sub_i32 s6, s6, s7
	s_add_i32 s5, s4, 1
	s_sub_i32 s7, s6, s26
	s_cmp_ge_u32 s6, s26
	s_cselect_b32 s4, s5, s4
	s_cselect_b32 s6, s7, s6
	s_add_i32 s5, s4, 1
	s_cmp_ge_u32 s6, s26
	s_cselect_b32 s50, s5, s4
.LBB0_5:
	s_add_i32 s4, s23, 1
	s_mul_i32 s3, s3, s4
	s_mul_hi_u32 s5, s2, s4
	s_add_i32 s9, s5, s3
	s_mov_b32 s8, 0
	s_cmp_lg_u64 s[8:9], 0
	s_mul_i32 s2, s2, s4
	v_writelane_b32 v127, s23, 8
	s_cbranch_scc0 .LBB0_235
; %bb.6:
	s_add_u32 s4, s26, 0
	s_addc_u32 s5, 0, 0
	s_xor_b64 s[6:7], s[4:5], 0
	v_cvt_f32_u32_e32 v2, s6
	v_cvt_f32_u32_e32 v3, s7
	s_sub_u32 s3, 0, s6
	s_subb_u32 s8, 0, s7
	v_fmamk_f32 v2, v3, 0x4f800000, v2
	v_rcp_f32_e32 v2, v2
	s_nop 0
	v_mul_f32_e32 v2, 0x5f7ffffc, v2
	v_mul_f32_e32 v3, 0x2f800000, v2
	v_trunc_f32_e32 v3, v3
	v_fmamk_f32 v2, v3, 0xcf800000, v2
	v_cvt_u32_f32_e32 v3, v3
	v_cvt_u32_f32_e32 v2, v2
	v_readfirstlane_b32 s12, v3
	v_readfirstlane_b32 s10, v2
	s_mul_i32 s11, s3, s12
	s_mul_hi_u32 s14, s3, s10
	s_mul_i32 s13, s8, s10
	s_add_i32 s11, s14, s11
	s_add_i32 s11, s11, s13
	s_mul_i32 s15, s3, s10
	s_mul_i32 s14, s10, s11
	s_mul_hi_u32 s16, s10, s15
	s_mul_hi_u32 s13, s10, s11
	s_add_u32 s14, s16, s14
	s_addc_u32 s13, 0, s13
	s_mul_hi_u32 s17, s12, s15
	s_mul_i32 s15, s12, s15
	s_add_u32 s14, s14, s15
	s_mul_hi_u32 s16, s12, s11
	s_addc_u32 s13, s13, s17
	s_addc_u32 s14, s16, 0
	s_mul_i32 s11, s12, s11
	s_add_u32 s11, s13, s11
	s_addc_u32 s13, 0, s14
	s_add_u32 s14, s10, s11
	s_cselect_b64 s[10:11], -1, 0
	s_cmp_lg_u64 s[10:11], 0
	s_addc_u32 s12, s12, s13
	s_mul_i32 s10, s3, s12
	s_mul_hi_u32 s11, s3, s14
	s_add_i32 s10, s11, s10
	s_mul_i32 s8, s8, s14
	s_add_i32 s10, s10, s8
	s_mul_i32 s3, s3, s14
	s_mul_hi_u32 s11, s12, s3
	s_mul_i32 s13, s12, s3
	s_mul_i32 s16, s14, s10
	s_mul_hi_u32 s3, s14, s3
	s_mul_hi_u32 s15, s14, s10
	s_add_u32 s3, s3, s16
	s_addc_u32 s15, 0, s15
	s_add_u32 s3, s3, s13
	s_mul_hi_u32 s8, s12, s10
	s_addc_u32 s3, s15, s11
	s_addc_u32 s8, s8, 0
	s_mul_i32 s10, s12, s10
	s_add_u32 s3, s3, s10
	s_addc_u32 s8, 0, s8
	s_add_u32 s3, s14, s3
	s_cselect_b64 s[10:11], -1, 0
	s_cmp_lg_u64 s[10:11], 0
	s_addc_u32 s12, s12, s8
	s_ashr_i32 s10, s9, 31
	s_add_u32 s8, s2, s10
	s_mov_b32 s11, s10
	s_addc_u32 s9, s9, s10
	s_xor_b64 s[8:9], s[8:9], s[10:11]
	s_mul_i32 s14, s8, s12
	s_mul_hi_u32 s15, s8, s3
	s_mul_hi_u32 s13, s8, s12
	s_add_u32 s14, s15, s14
	s_addc_u32 s13, 0, s13
	s_mul_hi_u32 s16, s9, s3
	s_mul_i32 s3, s9, s3
	s_add_u32 s3, s14, s3
	s_mul_hi_u32 s15, s9, s12
	s_addc_u32 s3, s13, s16
	s_addc_u32 s13, s15, 0
	s_mul_i32 s12, s9, s12
	s_add_u32 s3, s3, s12
	s_addc_u32 s16, 0, s13
	s_mul_i32 s12, s6, s16
	s_mul_hi_u32 s13, s6, s3
	s_add_i32 s12, s13, s12
	s_mul_i32 s13, s7, s3
	s_add_i32 s17, s12, s13
	s_sub_i32 s14, s9, s17
	s_mul_i32 s12, s6, s3
	s_sub_u32 s8, s8, s12
	s_cselect_b64 s[12:13], -1, 0
	s_cmp_lg_u64 s[12:13], 0
	s_subb_u32 s18, s14, s7
	s_sub_u32 s19, s8, s6
	s_cselect_b64 s[14:15], -1, 0
	s_cmp_lg_u64 s[14:15], 0
	s_subb_u32 s14, s18, 0
	s_cmp_ge_u32 s14, s7
	s_cselect_b32 s15, -1, 0
	s_cmp_ge_u32 s19, s6
	s_cselect_b32 s18, -1, 0
	s_cmp_eq_u32 s14, s7
	s_cselect_b32 s14, s18, s15
	s_add_u32 s15, s3, 1
	s_addc_u32 s18, s16, 0
	s_add_u32 s19, s3, 2
	s_addc_u32 s20, s16, 0
	s_cmp_lg_u32 s14, 0
	s_cselect_b32 s14, s19, s15
	s_cselect_b32 s15, s20, s18
	s_cmp_lg_u64 s[12:13], 0
	s_subb_u32 s9, s9, s17
	s_cmp_ge_u32 s9, s7
	s_cselect_b32 s12, -1, 0
	s_cmp_ge_u32 s8, s6
	s_cselect_b32 s6, -1, 0
	s_cmp_eq_u32 s9, s7
	s_cselect_b32 s6, s6, s12
	s_cmp_lg_u32 s6, 0
	s_cselect_b32 s7, s15, s16
	s_cselect_b32 s6, s14, s3
	s_xor_b64 s[8:9], s[10:11], 0
	s_xor_b64 s[6:7], s[6:7], s[8:9]
	s_sub_u32 s6, s6, s8
	v_writelane_b32 v127, s6, 9
	s_nop 1
	v_writelane_b32 v127, s7, 10
	s_load_dwordx2 s[38:39], s[0:1], 0x5c
	s_cbranch_execnz .LBB0_8
.LBB0_7:
	v_rcp_iflag_f32_e32 v1, v1
	s_sub_i32 s3, 0, s26
	v_mul_f32_e32 v1, 0x4f7ffffe, v1
	v_cvt_u32_f32_e32 v1, v1
	s_nop 0
	v_readfirstlane_b32 s4, v1
	s_mul_i32 s3, s3, s4
	s_mul_hi_u32 s3, s4, s3
	s_add_i32 s4, s4, s3
	s_mul_hi_u32 s3, s2, s4
	s_mul_i32 s5, s3, s26
	s_sub_i32 s2, s2, s5
	s_add_i32 s4, s3, 1
	s_sub_i32 s5, s2, s26
	s_cmp_ge_u32 s2, s26
	s_cselect_b32 s3, s4, s3
	s_cselect_b32 s2, s5, s2
	s_add_i32 s4, s3, 1
	s_cmp_ge_u32 s2, s26
	s_cselect_b32 s2, s4, s3
	v_writelane_b32 v127, s2, 9
	s_nop 1
	v_writelane_b32 v127, s3, 10
.LBB0_8:
	s_abs_i32 s35, s34
	v_cvt_f32_u32_e32 v1, s35
	v_writelane_b32 v127, s26, 11
	s_load_dwordx16 s[8:23], s[0:1], 0x0
	s_load_dword s37, s[0:1], 0x40
	s_load_dwordx2 s[2:3], s[0:1], 0x8c
	s_load_dwordx4 s[28:31], s[0:1], 0x98
	s_load_dwordx2 s[42:43], s[0:1], 0xa8
	s_load_dwordx2 s[54:55], s[0:1], 0xb8
	;; [unrolled: 1-line block ×3, first 2 shown]
	v_readlane_b32 s0, v127, 6
	v_rcp_iflag_f32_e32 v1, v1
	v_readlane_b32 s1, v127, 7
	s_waitcnt lgkmcnt(0)
	s_mov_b32 s1, s3
	s_ashr_i32 s26, s2, 2
	v_mul_f32_e32 v1, 0x4f7ffffe, v1
	v_cvt_u32_f32_e32 v1, v1
	s_sub_i32 s2, 0, s35
	s_ashr_i32 s49, s0, 3
	v_writelane_b32 v127, s0, 12
	v_readfirstlane_b32 s3, v1
	s_mul_i32 s2, s2, s3
	v_writelane_b32 v127, s1, 13
	s_ashr_i32 s1, s34, 31
	s_mul_hi_u32 s2, s3, s2
	v_writelane_b32 v127, s1, 14
	s_abs_i32 s1, s50
	s_add_i32 s53, s3, s2
	s_mul_hi_u32 s2, s1, s53
	s_mul_i32 s2, s2, s35
	s_sub_i32 s1, s1, s2
	s_ashr_i32 s51, s27, 3
	s_ashr_i32 s40, s55, 1
	;; [unrolled: 1-line block ×4, first 2 shown]
	s_sub_i32 s2, s1, s35
	s_cmp_ge_u32 s1, s35
	s_cselect_b32 s1, s2, s1
	s_sub_i32 s2, s1, s35
	s_cmp_ge_u32 s1, s35
	s_cselect_b32 s1, s2, s1
	s_xor_b32 s1, s1, s0
	s_sub_i32 s80, s1, s0
	v_readlane_b32 s0, v127, 9
	v_readlane_b32 s1, v127, 10
	s_mov_b32 s2, s0
	s_sub_i32 s0, s0, s50
	s_add_i32 s1, s0, s80
	s_min_i32 s0, s34, s1
	s_cmp_gt_i32 s2, s50
	s_cselect_b64 s[4:5], -1, 0
	s_cmp_le_i32 s2, s50
	s_cselect_b64 s[2:3], -1, 0
	s_cmp_gt_i32 s34, s1
	v_cvt_f16_f32_e32 v66, s37
	s_cselect_b64 s[6:7], -1, 0
	s_or_b64 s[2:3], s[6:7], s[2:3]
	v_bfe_u32 v1, v0, 5, 5
	v_bfe_u32 v101, v0, 10, 10
	s_mov_b32 s57, 0
	s_and_b64 vcc, exec, s[2:3]
	v_lshl_add_u32 v27, v101, 1, v1
	v_and_b32_e32 v26, 31, v0
	v_writelane_b32 v127, s49, 15
	s_cbranch_vccz .LBB0_11
; %bb.9:
	s_andn2_b64 vcc, exec, s[4:5]
	s_cbranch_vccz .LBB0_198
.LBB0_10:
	s_endpgm
.LBB0_11:
	s_cmp_eq_u64 s[16:17], 0
	s_cselect_b64 s[2:3], -1, 0
	v_writelane_b32 v127, s2, 16
	s_cmp_lg_u64 s[18:19], 0
	v_bfe_u32 v5, v0, 3, 7
	v_writelane_b32 v127, s3, 17
	s_cselect_b64 s[2:3], -1, 0
	v_writelane_b32 v127, s2, 18
	v_and_b32_e32 v3, 15, v0
	v_lshlrev_b32_e32 v6, 2, v5
	v_writelane_b32 v127, s3, 19
	s_movk_i32 s2, 0x900
	v_mad_u32_u24 v1, v101, s2, 0
	v_mul_u32_u24_e32 v4, 0x90, v3
	v_and_b32_e32 v7, 0x78, v6
	v_add3_u32 v45, v1, v4, v7
	v_and_b32_e32 v1, 0x3ff, v0
	v_cmp_gt_u32_e64 s[2:3], 16, v1
	v_lshlrev_b32_e32 v10, 2, v1
	v_and_b32_e32 v30, 28, v10
	v_writelane_b32 v127, s2, 20
	v_lshlrev_b32_e32 v10, 4, v101
	s_movk_i32 s6, 0x90
	v_writelane_b32 v127, s3, 21
	s_ashr_i32 s41, s40, 31
	v_readlane_b32 s2, v127, 8
	s_lshl_b32 s56, s2, 6
	s_ashr_i32 s27, s26, 31
	v_and_or_b32 v11, v0, 12, v10
	s_ashr_i32 s37, s36, 31
	s_lshl_b64 s[2:3], s[56:57], 3
	v_lshlrev_b32_e32 v2, 2, v26
	v_lshl_add_u32 v8, v101, 3, v5
	v_lshrrev_b32_e32 v11, 2, v11
	v_lshlrev_b32_e32 v5, 1, v5
	v_add_u32_e32 v78, 0, v7
	s_add_u32 s4, s22, s2
	v_mad_u32_u24 v93, v27, s6, 0
	v_readlane_b32 s47, v127, 3
	v_mul_u32_u24_e32 v9, 0x90, v8
	v_mul_lo_u32 v32, s26, v8
	v_mul_lo_u32 v36, s36, v8
	v_and_b32_e32 v8, 60, v5
	v_or_b32_e32 v13, 2, v5
	v_or_b32_e32 v5, 3, v5
	v_mad_u32_u24 v79, v3, s6, v78
	v_mad_u32_u24 v7, v11, s6, 0
	v_lshl_add_u32 v82, v3, 1, 0
	s_addc_u32 s5, s23, s3
	v_or_b32_e32 v3, v10, v3
	v_add_u32_e32 v11, v93, v2
	s_abs_i32 s55, s47
	v_mul_u32_u24_e32 v76, 0x90, v5
	v_lshlrev_b32_e32 v14, 2, v30
	v_or_b32_e32 v6, 4, v6
	v_mad_u32_u24 v85, v5, s6, v82
	v_add_u32_e32 v5, 16, v27
	v_mul_u32_u24_e32 v92, 0x90, v3
	v_and_b32_e32 v3, 15, v27
	s_movk_i32 s2, 0x7f0
	scratch_store_dword off, v11, off offset:8 ; 4-byte Folded Spill
	v_cvt_f32_u32_e32 v11, s55
	v_add3_u32 v77, 0, v9, v14
	v_add_u32_e32 v81, v7, v6
	v_lshrrev_b32_e32 v86, 2, v5
	v_mul_u32_u24_e32 v6, 0x90, v5
	v_add_u32_e32 v9, 56, v27
	v_and_or_b32 v5, v5, s2, v3
	v_lshrrev_b32_e32 v91, 2, v9
	v_mul_u32_u24_e32 v9, 0x90, v5
	v_mad_u32_u24 v5, v5, s6, 0
	scratch_store_dword off, v5, off offset:64 ; 4-byte Folded Spill
	v_add_u32_e32 v5, v5, v2
	v_readlane_b32 s52, v127, 2
	scratch_store_dword off, v5, off offset:68 ; 4-byte Folded Spill
	v_rcp_iflag_f32_e32 v5, v11
	s_abs_i32 s3, s52
	v_lshrrev_b32_e32 v12, 1, v0
	v_cvt_f32_u32_e32 v11, s3
	v_and_b32_e32 v12, 0x78, v12
	v_add_u32_e32 v80, v7, v12
	v_add_u32_e32 v12, 0x480, v93
	v_mad_u32_u24 v83, v8, s6, v82
	v_add_u32_e32 v7, 24, v27
	v_add_u32_e32 v8, 40, v27
	;; [unrolled: 1-line block ×3, first 2 shown]
	v_mul_f32_e32 v5, 0x4f7ffffe, v5
	v_lshrrev_b32_e32 v87, 2, v7
	v_add_u32_e32 v7, 32, v27
	v_lshrrev_b32_e32 v89, 2, v8
	v_add_u32_e32 v8, 48, v27
	scratch_store_dword off, v12, off offset:56 ; 4-byte Folded Spill
	v_add_u32_e32 v12, 0xd80, v93
	v_cvt_u32_f32_e32 v5, v5
	v_rcp_iflag_f32_e32 v11, v11
	v_readlane_b32 s48, v127, 1
	v_lshrrev_b32_e32 v88, 2, v7
	v_and_or_b32 v7, v7, s2, v3
	v_and_or_b32 v3, v8, s2, v3
	v_add_u32_e32 v12, v12, v2
	s_abs_i32 s2, s48
	v_lshlrev_b32_e32 v4, 1, v1
	v_or_b32_e32 v1, v10, v1
	v_mul_u32_u24_e32 v10, 0x90, v7
	scratch_store_dword off, v12, off offset:72 ; 4-byte Folded Spill
	v_mad_u32_u24 v12, v7, s6, 0
	v_cvt_f32_u32_e32 v7, s2
	v_readfirstlane_b32 s7, v5
	v_mul_f32_e32 v5, 0x4f7ffffe, v11
	s_abs_i32 s62, s54
	s_ashr_i32 s47, s47, 31
	v_cvt_u32_f32_e32 v5, v5
	v_cvt_f32_u32_e32 v11, s62
	v_writelane_b32 v127, s47, 22
	s_sub_i32 s47, 0, s55
	v_rcp_iflag_f32_e32 v7, v7
	s_mul_i32 s47, s47, s7
	s_mul_hi_u32 s47, s7, s47
	s_add_i32 s7, s7, s47
	v_readfirstlane_b32 s30, v5
	v_rcp_iflag_f32_e32 v5, v11
	v_writelane_b32 v127, s7, 23
	s_ashr_i32 s7, s52, 31
	v_mul_f32_e32 v7, 0x4f7ffffe, v7
	v_writelane_b32 v127, s7, 24
	s_sub_i32 s7, 0, s3
	v_cvt_u32_f32_e32 v7, v7
	s_mul_i32 s7, s7, s30
	s_mul_hi_u32 s7, s30, s7
	v_mul_f32_e32 v5, 0x4f7ffffe, v5
	s_add_i32 s7, s30, s7
	v_cvt_u32_f32_e32 v5, v5
	v_writelane_b32 v127, s7, 25
	s_ashr_i32 s7, s48, 31
	v_readfirstlane_b32 s46, v7
	v_writelane_b32 v127, s7, 26
	s_sub_i32 s7, 0, s2
	v_lshrrev_b32_e32 v90, 2, v8
	v_mul_u32_u24_e32 v8, 0x90, v3
	v_mad_u32_u24 v3, v3, s6, 0
	s_mul_i32 s7, s7, s46
	v_mov_b32_e32 v29, 0
	scratch_store_dword off, v3, off offset:96 ; 4-byte Folded Spill
	v_add_u32_e32 v3, v3, v2
	s_mul_hi_u32 s7, s46, s7
	v_mad_u32_u24 v84, v13, s6, v82
	v_add_u32_e32 v11, 0x1680, v93
	v_readfirstlane_b32 s6, v5
	scratch_store_dword off, v3, off offset:100 ; 4-byte Folded Spill
	s_add_i32 s7, s46, s7
	v_mov_b32_e32 v3, v29
	v_add_u32_e32 v5, 0x1f80, v93
	v_add_u32_e32 v31, 0, v2
	scratch_store_dword off, v12, off offset:80 ; 4-byte Folded Spill
	v_add_u32_e32 v12, v12, v2
	v_add_u32_e32 v7, v11, v2
	v_writelane_b32 v127, s7, 27
	s_sub_i32 s7, 0, s62
	v_add_u32_e32 v5, v5, v2
	v_lshl_add_u64 v[2:3], s[14:15], 0, v[2:3]
	s_mul_i32 s7, s7, s6
	scratch_store_dwordx2 off, v[2:3], off offset:12 ; 8-byte Folded Spill
	v_and_b32_e32 v2, 7, v0
	s_mul_hi_u32 s7, s6, s7
	v_lshlrev_b32_e32 v42, 4, v2
	v_add_u32_e32 v2, v31, v9
	s_add_i32 s6, s6, s7
	scratch_store_dword off, v2, off offset:60 ; 4-byte Folded Spill
	v_add_u32_e32 v2, v31, v10
	v_lshlrev_b32_e32 v28, 3, v1
	v_writelane_b32 v127, s6, 28
	s_lshl_b64 s[6:7], s[40:41], 1
	scratch_store_dword off, v2, off offset:76 ; 4-byte Folded Spill
	v_add_u32_e32 v2, v31, v8
	v_ashrrev_i32_e32 v37, 31, v36
	v_lshl_add_u32 v38, s36, 5, v36
	v_writelane_b32 v127, s6, 29
	scratch_store_dword off, v2, off offset:92 ; 4-byte Folded Spill
	v_lshl_add_u64 v[2:3], s[4:5], 0, v[28:29]
	v_ashrrev_i32_e32 v39, 31, v38
	v_writelane_b32 v127, s7, 30
	scratch_store_dwordx2 off, v[2:3], off  ; 8-byte Folded Spill
	v_lshl_add_u64 v[2:3], v[36:37], 2, s[12:13]
	v_ashrrev_i32_e32 v33, 31, v32
	v_lshl_add_u32 v34, s26, 5, v32
	scratch_store_dwordx2 off, v[2:3], off offset:24 ; 8-byte Folded Spill
	v_lshl_add_u64 v[2:3], v[38:39], 2, s[12:13]
	v_writelane_b32 v127, s54, 31
	s_mov_b32 s1, 0x10001
	v_ashrrev_i32_e32 v35, 31, v34
	v_mul_u32_u24_e32 v1, 0x90, v1
	v_and_b32_e32 v44, 62, v4
	v_add_u32_e32 v116, 8, v27
	v_mbcnt_lo_u32_b32 v124, -1, 0
	v_and_b32_e32 v40, 3, v27
	scratch_store_dwordx2 off, v[2:3], off offset:32 ; 8-byte Folded Spill
	v_lshl_add_u64 v[2:3], v[32:33], 2, s[10:11]
	v_writelane_b32 v127, s55, 32
	v_mul_u32_u24_e32 v41, 0x90, v13
	v_mov_b32_e32 v43, v29
	s_lshl_b64 s[64:65], s[36:37], 8
	s_lshl_b64 s[66:67], s[26:27], 8
	s_mov_b32 s41, 0x3fb8aa3b
	s_mov_b32 s98, 0xc2ce8ed0
	;; [unrolled: 1-line block ×5, first 2 shown]
	s_mov_b64 s[68:69], 0x80
	v_add_u32_e32 v1, 0, v1
	v_add_u32_e32 v113, v31, v6
	v_mul_lo_u32 v114, v66, s1
	v_mul_u32_u24_e32 v115, 0x90, v27
	v_lshl_add_u32 v117, v44, 1, 0
	v_add_u32_e32 v118, 0x1200, v77
	v_add_u32_e32 v119, 32, v80
	;; [unrolled: 1-line block ×4, first 2 shown]
	v_lshrrev_b32_e32 v122, 2, v27
	v_lshrrev_b32_e32 v123, 2, v116
	v_mbcnt_hi_u32_b32 v125, -1, v124
	v_mov_b32_e32 v126, 0x7f800000
	v_mad_u64_u32 v[50:51], s[6:7], v40, s49, v[26:27]
	scratch_store_dwordx2 off, v[2:3], off offset:40 ; 8-byte Folded Spill
	v_lshl_add_u64 v[2:3], v[34:35], 2, s[10:11]
	v_writelane_b32 v127, s53, 33
	v_mov_b32_e32 v52, v66
	scratch_store_dword off, v12, off offset:84 ; 4-byte Folded Spill
	scratch_store_dword off, v7, off offset:88 ; 4-byte Folded Spill
	;; [unrolled: 1-line block ×4, first 2 shown]
	scratch_store_dwordx2 off, v[2:3], off offset:48 ; 8-byte Folded Spill
	s_branch .LBB0_13
.LBB0_12:                               ;   in Loop: Header=BB0_13 Depth=1
	s_or_b64 exec, exec, s[4:5]
	s_add_i32 s0, s50, s34
	s_abs_i32 s4, s0
	s_mul_hi_u32 s5, s4, s53
	s_mul_i32 s5, s5, s35
	s_sub_i32 s4, s4, s5
	s_ashr_i32 s1, s0, 31
	s_sub_i32 s5, s4, s35
	s_cmp_ge_u32 s4, s35
	s_cselect_b32 s4, s5, s4
	s_sub_i32 s5, s4, s35
	s_cmp_ge_u32 s4, s35
	s_cselect_b32 s4, s5, s4
	s_xor_b32 s4, s4, s1
	s_sub_i32 s1, s1, s4
	s_add_i32 s50, s0, s1
	v_readlane_b32 s0, v127, 9
	v_readlane_b32 s1, v127, 10
	s_sub_i32 s1, s0, s50
	s_mov_b32 s4, s0
	s_min_i32 s0, s34, s1
	s_cmp_gt_i32 s4, s50
	s_cselect_b64 s[4:5], -1, 0
	s_cmp_le_i32 s34, s1
	s_cselect_b64 s[6:7], -1, 0
	s_and_b64 s[6:7], s[6:7], s[4:5]
	s_mov_b32 s80, 0
	s_and_b64 vcc, exec, s[6:7]
	s_cbranch_vccz .LBB0_197
.LBB0_13:                               ; =>This Loop Header: Depth=1
                                        ;     Child Loop BB0_52 Depth 2
                                        ;     Child Loop BB0_143 Depth 2
	s_ashr_i32 s1, s50, 31
	v_readlane_b32 s4, v127, 22
	s_xor_b32 s1, s1, s4
	s_abs_i32 s4, s50
	v_readlane_b32 s5, v127, 23
	s_mul_hi_u32 s5, s4, s5
	s_mul_i32 s6, s5, s55
	s_sub_i32 s4, s4, s6
	s_add_i32 s6, s5, 1
	s_sub_i32 s7, s4, s55
	s_cmp_ge_u32 s4, s55
	s_cselect_b32 s5, s6, s5
	s_cselect_b32 s4, s7, s4
	s_add_i32 s6, s5, 1
	s_cmp_ge_u32 s4, s55
	s_cselect_b32 s4, s6, s5
	s_xor_b32 s4, s4, s1
	s_sub_i32 s4, s4, s1
	v_readlane_b32 s1, v127, 3
	s_mul_i32 s1, s4, s1
	s_sub_i32 s1, s50, s1
	s_ashr_i32 s5, s1, 31
	v_readlane_b32 s6, v127, 24
	s_xor_b32 s5, s5, s6
	s_abs_i32 s6, s1
	v_readlane_b32 s7, v127, 25
	s_mul_hi_u32 s7, s6, s7
	s_mul_i32 s30, s7, s3
	s_sub_i32 s6, s6, s30
	s_add_i32 s30, s7, 1
	s_sub_i32 s46, s6, s3
	s_cmp_ge_u32 s6, s3
	s_cselect_b32 s7, s30, s7
	s_cselect_b32 s6, s46, s6
	s_add_i32 s30, s7, 1
	s_cmp_ge_u32 s6, s3
	s_cselect_b32 s6, s30, s7
	s_xor_b32 s6, s6, s5
	s_sub_i32 s5, s6, s5
	v_readlane_b32 s6, v127, 2
	s_mul_i32 s6, s5, s6
	s_sub_i32 s6, s1, s6
	;; [unrolled: 21-line block ×3, first 2 shown]
	s_ashr_i32 s7, s6, 31
	v_readlane_b32 s30, v127, 14
	s_abs_i32 s6, s6
	s_xor_b32 s7, s7, s30
	s_mul_hi_u32 s30, s6, s53
	s_mul_i32 s46, s30, s35
	s_sub_i32 s6, s6, s46
	s_add_i32 s46, s30, 1
	s_sub_i32 s47, s6, s35
	s_cmp_ge_u32 s6, s35
	s_cselect_b32 s30, s46, s30
	s_cselect_b32 s6, s47, s6
	s_add_i32 s46, s30, 1
	s_cmp_ge_u32 s6, s35
	s_cselect_b32 s6, s46, s30
	v_readlane_b32 s46, v127, 18
	s_xor_b32 s6, s6, s7
	v_readlane_b32 s47, v127, 19
	s_andn2_b64 vcc, exec, s[46:47]
	s_sub_i32 s54, s6, s7
	s_cbranch_vccnz .LBB0_15
; %bb.14:                               ;   in Loop: Header=BB0_13 Depth=1
	v_readlane_b32 s6, v127, 0
	s_mul_i32 s6, s4, s6
	s_add_i32 s6, s54, s6
	s_ashr_i32 s7, s6, 31
	s_lshl_b64 s[6:7], s[6:7], 2
	s_add_u32 s6, s18, s6
	s_addc_u32 s7, s19, s7
	global_load_dword v1, v29, s[6:7]
	s_waitcnt vmcnt(0)
	v_readfirstlane_b32 s6, v1
	s_ashr_i32 s7, s6, 31
	s_lshr_b32 s7, s7, 26
	s_add_i32 s6, s6, s7
	s_ashr_i32 s6, s6, 6
	s_min_i32 s0, s0, s6
.LBB0_15:                               ;   in Loop: Header=BB0_13 Depth=1
	v_readlane_b32 s46, v127, 6
	v_readlane_b32 s47, v127, 7
	s_mul_i32 s6, s5, s33
	s_lshl_b32 s81, s1, 2
	s_mul_i32 s1, s4, s47
	s_add_i32 s6, s81, s6
	s_ashr_i32 s7, s1, 31
	s_add_u32 s1, s8, s1
	s_mul_i32 s30, s6, s46
	s_addc_u32 s7, s9, s7
	s_ashr_i32 s46, s30, 31
	s_add_u32 s78, s1, s30
	s_addc_u32 s79, s7, s46
	s_ashr_i32 s7, s4, 31
	s_mul_hi_u32 s1, s28, s4
	s_mul_i32 s30, s28, s7
	s_add_i32 s1, s1, s30
	s_mul_i32 s30, s29, s4
	v_readlane_b32 s48, v127, 12
	s_add_i32 s1, s1, s30
	s_mul_i32 s99, s28, s4
	v_readlane_b32 s49, v127, 13
	s_add_u32 s30, s10, s99
	s_mul_i32 s52, s5, s49
	s_addc_u32 s46, s11, s1
	s_ashr_i32 s53, s52, 31
	s_add_u32 s30, s30, s52
	s_addc_u32 s47, s46, s53
	s_abs_i32 s46, s4
	v_readlane_b32 s48, v127, 28
	s_mul_hi_u32 s48, s46, s48
	s_mul_i32 s48, s48, s62
	s_sub_i32 s46, s46, s48
	s_sub_i32 s48, s46, s62
	s_cmp_ge_u32 s46, s62
	s_cselect_b32 s46, s48, s46
	s_sub_i32 s48, s46, s62
	s_cmp_ge_u32 s46, s62
	s_cselect_b32 s46, s48, s46
	s_xor_b32 s46, s46, s7
	s_sub_i32 s46, s46, s7
	s_ashr_i32 s48, s46, 31
	s_mul_i32 s48, s44, s48
	s_mul_hi_u32 s49, s44, s46
	s_add_i32 s48, s49, s48
	s_mul_i32 s49, s45, s46
	s_add_i32 s77, s48, s49
	s_mul_i32 s76, s44, s46
	s_mul_i32 s46, s24, s25
	s_add_u32 s74, s14, s76
	s_mul_i32 s46, s46, s4
	s_addc_u32 s75, s15, s77
	s_add_i32 s46, s6, s46
	s_lshl_b32 s56, s46, 5
	s_lshl_b64 s[48:49], s[56:57], 3
	s_add_u32 s70, s20, s48
	s_mul_hi_u32 s46, s42, s4
	s_mul_i32 s7, s42, s7
	s_addc_u32 s71, s21, s49
	s_add_i32 s7, s46, s7
	s_mul_i32 s46, s43, s4
	s_add_i32 s56, s7, s46
	s_mul_i32 s46, s42, s4
	s_add_u32 s4, s12, s46
	s_mul_i32 s48, s5, s31
	s_addc_u32 s7, s13, s56
	s_ashr_i32 s49, s48, 31
	s_add_u32 s61, s4, s48
	s_addc_u32 s63, s7, s49
	s_ashr_i32 s7, s6, 31
	s_lshl_b64 s[4:5], s[6:7], 2
	s_add_u32 s6, s16, s4
	s_addc_u32 s7, s17, s5
	v_readlane_b32 s4, v127, 16
	v_readlane_b32 s5, v127, 17
	s_and_b64 s[4:5], s[4:5], exec
	s_cselect_b32 s73, 0, s7
	s_cselect_b32 s72, 0, s6
	s_cmp_lg_u32 s80, 0
	v_or_b32_e32 v51, s81, v40
	s_cbranch_scc0 .LBB0_54
; %bb.16:                               ;   in Loop: Header=BB0_13 Depth=1
	s_lshl_b32 s81, s54, 4
	v_add_u32_e32 v107, s81, v122
	v_cmp_le_i32_e64 s[4:5], s24, v107
	v_cmp_le_i32_e64 s[6:7], s33, v51
	v_cmp_gt_i32_e32 vcc, s33, v51
	s_or_b64 s[4:5], s[4:5], s[6:7]
	s_and_saveexec_b64 s[6:7], s[4:5]
	s_xor_b64 s[4:5], exec, s[6:7]
; %bb.17:                               ;   in Loop: Header=BB0_13 Depth=1
	v_add_u32_e32 v1, v31, v115
	ds_write_b32 v1, v29
; %bb.18:                               ;   in Loop: Header=BB0_13 Depth=1
	s_andn2_saveexec_b64 s[4:5], s[4:5]
	s_cbranch_execz .LBB0_20
; %bb.19:                               ;   in Loop: Header=BB0_13 Depth=1
	v_mad_u64_u32 v[2:3], s[6:7], v107, s51, v[50:51]
	v_ashrrev_i32_e32 v3, 31, v2
	v_lshl_add_u64 v[2:3], v[2:3], 3, s[78:79]
	global_load_dwordx2 v[2:3], v[2:3], off
	s_waitcnt vmcnt(0)
	v_cvt_pk_f16_f32 v1, v2, v3
	v_pk_mul_f16 v1, v1, v114
	v_add_u32_e32 v2, v31, v115
	ds_write_b32 v2, v1
.LBB0_20:                               ;   in Loop: Header=BB0_13 Depth=1
	s_or_b64 exec, exec, s[4:5]
	v_add_u32_e32 v106, s81, v123
	v_cmp_le_i32_e64 s[4:5], s24, v106
	s_xor_b64 s[6:7], vcc, -1
	s_or_b64 s[4:5], s[4:5], s[6:7]
	s_and_saveexec_b64 s[82:83], s[4:5]
	s_xor_b64 s[4:5], exec, s[82:83]
; %bb.21:                               ;   in Loop: Header=BB0_13 Depth=1
	v_add_u32_e32 v1, v31, v115
	ds_write_b32 v1, v29 offset:1152
; %bb.22:                               ;   in Loop: Header=BB0_13 Depth=1
	s_andn2_saveexec_b64 s[4:5], s[4:5]
	s_cbranch_execz .LBB0_24
; %bb.23:                               ;   in Loop: Header=BB0_13 Depth=1
	v_mad_u64_u32 v[2:3], s[82:83], v106, s51, v[50:51]
	v_ashrrev_i32_e32 v3, 31, v2
	v_lshl_add_u64 v[2:3], v[2:3], 3, s[78:79]
	global_load_dwordx2 v[2:3], v[2:3], off
	s_waitcnt vmcnt(0)
	v_cvt_pk_f16_f32 v1, v2, v3
	v_pk_mul_f16 v1, v1, v114
	v_add_u32_e32 v2, v31, v115
	ds_write_b32 v2, v1 offset:1152
.LBB0_24:                               ;   in Loop: Header=BB0_13 Depth=1
	s_or_b64 exec, exec, s[4:5]
	v_add_u32_e32 v104, s81, v86
	v_cmp_le_i32_e32 vcc, s24, v104
	s_or_b64 s[4:5], vcc, s[6:7]
	s_and_saveexec_b64 s[82:83], s[4:5]
	s_xor_b64 s[4:5], exec, s[82:83]
; %bb.25:                               ;   in Loop: Header=BB0_13 Depth=1
	ds_write_b32 v113, v29
; %bb.26:                               ;   in Loop: Header=BB0_13 Depth=1
	s_andn2_saveexec_b64 s[4:5], s[4:5]
	s_cbranch_execz .LBB0_28
; %bb.27:                               ;   in Loop: Header=BB0_13 Depth=1
	v_mad_u64_u32 v[2:3], s[82:83], v104, s51, v[50:51]
	v_ashrrev_i32_e32 v3, 31, v2
	v_lshl_add_u64 v[2:3], v[2:3], 3, s[78:79]
	global_load_dwordx2 v[2:3], v[2:3], off
	s_waitcnt vmcnt(0)
	v_cvt_pk_f16_f32 v1, v2, v3
	v_pk_mul_f16 v1, v1, v114
	ds_write_b32 v113, v1
.LBB0_28:                               ;   in Loop: Header=BB0_13 Depth=1
	s_or_b64 exec, exec, s[4:5]
	v_add_u32_e32 v103, s81, v87
	v_cmp_le_i32_e32 vcc, s24, v103
	s_or_b64 s[4:5], vcc, s[6:7]
	s_and_saveexec_b64 s[82:83], s[4:5]
	s_xor_b64 s[4:5], exec, s[82:83]
; %bb.29:                               ;   in Loop: Header=BB0_13 Depth=1
	ds_write_b32 v113, v29 offset:1152
; %bb.30:                               ;   in Loop: Header=BB0_13 Depth=1
	s_andn2_saveexec_b64 s[4:5], s[4:5]
	s_cbranch_execz .LBB0_32
; %bb.31:                               ;   in Loop: Header=BB0_13 Depth=1
	v_mad_u64_u32 v[2:3], s[82:83], v103, s51, v[50:51]
	v_ashrrev_i32_e32 v3, 31, v2
	v_lshl_add_u64 v[2:3], v[2:3], 3, s[78:79]
	global_load_dwordx2 v[2:3], v[2:3], off
	s_waitcnt vmcnt(0)
	v_cvt_pk_f16_f32 v1, v2, v3
	v_pk_mul_f16 v1, v1, v114
	ds_write_b32 v113, v1 offset:1152
.LBB0_32:                               ;   in Loop: Header=BB0_13 Depth=1
	s_or_b64 exec, exec, s[4:5]
	v_add_u32_e32 v75, s81, v88
	v_cmp_le_i32_e32 vcc, s24, v75
	s_or_b64 s[4:5], vcc, s[6:7]
	s_and_saveexec_b64 s[82:83], s[4:5]
	s_xor_b64 s[4:5], exec, s[82:83]
; %bb.33:                               ;   in Loop: Header=BB0_13 Depth=1
	ds_write_b32 v113, v29 offset:2304
; %bb.34:                               ;   in Loop: Header=BB0_13 Depth=1
	s_andn2_saveexec_b64 s[4:5], s[4:5]
	s_cbranch_execz .LBB0_36
; %bb.35:                               ;   in Loop: Header=BB0_13 Depth=1
	v_mad_u64_u32 v[2:3], s[82:83], v75, s51, v[50:51]
	v_ashrrev_i32_e32 v3, 31, v2
	v_lshl_add_u64 v[2:3], v[2:3], 3, s[78:79]
	global_load_dwordx2 v[2:3], v[2:3], off
	s_waitcnt vmcnt(0)
	v_cvt_pk_f16_f32 v1, v2, v3
	v_pk_mul_f16 v1, v1, v114
	ds_write_b32 v113, v1 offset:2304
.LBB0_36:                               ;   in Loop: Header=BB0_13 Depth=1
	;; [unrolled: 21-line block ×5, first 2 shown]
	s_or_b64 exec, exec, s[4:5]
	s_waitcnt lgkmcnt(0)
	s_barrier
	ds_read2_b64 v[6:9], v45 offset1:4
	ds_read2_b64 v[2:5], v45 offset0:8 offset1:12
	s_add_i32 s6, s0, -1
	v_add_u32_e32 v11, s81, v27
	v_add_u32_e32 v1, s81, v116
	s_mov_b64 s[4:5], -1
	s_cmp_lt_i32 s80, s6
	v_mul_hi_u32 v12, s38, v11
	v_mul_hi_u32 v10, s38, v1
	s_waitcnt lgkmcnt(0)
	s_barrier
                                        ; implicit-def: $vgpr62_vgpr63
                                        ; implicit-def: $vgpr64_vgpr65
                                        ; implicit-def: $vgpr99
                                        ; implicit-def: $vgpr100
                                        ; implicit-def: $vgpr102
	s_cbranch_scc1 .LBB0_50
; %bb.49:                               ;   in Loop: Header=BB0_13 Depth=1
	v_add_u32_e32 v13, v11, v12
	v_lshrrev_b32_e32 v13, s39, v13
	v_mul_lo_u32 v13, v13, s24
	v_sub_u32_e32 v13, v11, v13
	v_mad_i64_i32 v[62:63], s[4:5], v13, s40, 0
	v_add_u32_e32 v13, v1, v10
	v_lshrrev_b32_e32 v13, s39, v13
	v_mul_lo_u32 v13, v13, s24
	v_sub_u32_e32 v13, v1, v13
	v_mad_i64_i32 v[64:65], s[4:5], v13, s40, 0
	v_and_b32_e32 v13, 64, v125
	v_add_u32_e32 v99, 64, v13
	v_xor_b32_e32 v100, 32, v125
	v_xor_b32_e32 v102, 16, v125
	s_mov_b64 s[4:5], 0
.LBB0_50:                               ;   in Loop: Header=BB0_13 Depth=1
	s_andn2_b64 vcc, exec, s[4:5]
	s_cbranch_vccnz .LBB0_56
; %bb.51:                               ;   in Loop: Header=BB0_13 Depth=1
	v_add_u32_e32 v10, v1, v10
	v_lshrrev_b32_e32 v10, s39, v10
	v_mul_lo_u32 v10, v10, s24
	v_sub_u32_e32 v1, v1, v10
	v_mbcnt_hi_u32_b32 v110, -1, v124
	v_add_u32_e32 v12, v11, v12
	v_mad_i64_i32 v[64:65], s[4:5], v1, s40, 0
	v_and_b32_e32 v1, 64, v110
	v_lshrrev_b32_e32 v12, s39, v12
	v_add_u32_e32 v99, 64, v1
	v_xor_b32_e32 v100, 32, v110
	v_mul_lo_u32 v12, v12, s24
	v_cmp_lt_i32_e32 vcc, v100, v99
	v_xor_b32_e32 v102, 16, v110
	v_sub_u32_e32 v11, v11, v12
	v_cndmask_b32_e32 v1, v110, v100, vcc
	v_cmp_lt_i32_e32 vcc, v102, v99
	v_lshlrev_b32_e32 v28, 1, v44
	v_mad_i64_i32 v[62:63], s[4:5], v11, s40, 0
	v_lshlrev_b32_e32 v101, 2, v1
	v_cndmask_b32_e32 v1, v110, v102, vcc
	v_lshl_add_u64 v[66:67], s[74:75], 0, v[28:29]
	v_lshlrev_b32_e32 v105, 2, v1
	s_lshl_b32 s4, s80, 6
	v_mov_b32_e32 v69, 0
	v_mov_b32_e32 v108, 0xfeffffff
	;; [unrolled: 1-line block ×10, first 2 shown]
.LBB0_52:                               ;   Parent Loop BB0_13 Depth=1
                                        ; =>  This Inner Loop Header: Depth=2
	s_ashr_i32 s5, s4, 31
	v_lshl_add_u64 v[10:11], s[4:5], 1, v[66:67]
	v_lshl_add_u64 v[12:13], v[62:63], 1, v[10:11]
	;; [unrolled: 1-line block ×3, first 2 shown]
	global_load_dword v12, v[12:13], off
	s_mul_hi_i32 s83, s4, s26
	global_load_dword v10, v[10:11], off
	s_mul_i32 s82, s4, s26
	s_lshl_b64 s[82:83], s[82:83], 2
	s_add_u32 s82, s30, s82
	v_add_u32_e32 v13, v117, v115
	s_addc_u32 s83, s47, s83
	v_lshlrev_b32_e32 v28, 2, v30
	v_add_u32_e32 v18, 0x800, v79
	v_add_u32_e32 v46, 0x1000, v79
	;; [unrolled: 1-line block ×3, first 2 shown]
	v_mov_b32_e32 v55, v108
	v_mov_b32_e32 v1, v111
	s_waitcnt vmcnt(1)
	ds_write_b32 v13, v12 offset:9216
	s_waitcnt vmcnt(0)
	ds_write_b32 v13, v10 offset:10368
	v_lshl_add_u64 v[10:11], v[32:33], 2, s[82:83]
	v_lshl_add_u64 v[10:11], v[10:11], 0, v[28:29]
	;; [unrolled: 1-line block ×4, first 2 shown]
	global_load_dwordx4 v[10:13], v[10:11], off
	s_mul_hi_i32 s83, s4, s36
	s_mul_i32 s82, s4, s36
	s_lshl_b64 s[82:83], s[82:83], 2
	s_add_u32 s82, s61, s82
	s_addc_u32 s83, s63, s83
	s_add_i32 s80, s80, 1
	s_add_i32 s4, s4, 64
	s_cmp_lt_i32 s80, s6
	s_waitcnt vmcnt(0)
	ds_write_b128 v77, v[10:13]
	global_load_dwordx4 v[10:13], v[14:15], off
	s_waitcnt vmcnt(0)
	ds_write_b128 v118, v[10:13]
	s_waitcnt lgkmcnt(0)
	s_barrier
	ds_read2_b64 v[10:13], v79 offset1:4
	s_waitcnt lgkmcnt(0)
	v_mfma_f32_16x16x16_f16 v[14:17], v[10:11], v[6:7], 0
	v_mfma_f32_16x16x16_f16 v[10:13], v[12:13], v[8:9], v[14:17]
	s_nop 6
	ds_read2_b64 v[14:17], v79 offset0:8 offset1:12
	s_waitcnt lgkmcnt(0)
	v_mfma_f32_16x16x16_f16 v[10:13], v[14:15], v[2:3], v[10:13]
	v_mfma_f32_16x16x16_f16 v[22:25], v[16:17], v[4:5], v[10:13]
	s_nop 6
	ds_read2_b64 v[10:13], v18 offset0:32 offset1:36
	;; [unrolled: 5-line block ×7, first 2 shown]
	s_waitcnt lgkmcnt(0)
	v_mfma_f32_16x16x16_f16 v[10:13], v[46:47], v[2:3], v[10:13]
	s_barrier
	ds_read_b32 v46, v80 offset:9216
	v_mfma_f32_16x16x16_f16 v[10:13], v[48:49], v[4:5], v[10:13]
	s_waitcnt lgkmcnt(0)
	v_cvt_f32_f16_e32 v47, v46
	v_cvt_f32_f16_sdwa v46, v46 dst_sel:DWORD dst_unused:UNUSED_PAD src0_sel:WORD_1
	v_add_f32_e32 v47, v22, v47
	ds_read_b32 v22, v81 offset:9216
	v_add_f32_e32 v46, v23, v46
	s_waitcnt lgkmcnt(0)
	v_cvt_f32_f16_e32 v23, v22
	v_cvt_f32_f16_sdwa v22, v22 dst_sel:DWORD dst_unused:UNUSED_PAD src0_sel:WORD_1
	v_add_f32_e32 v24, v24, v23
	v_add_f32_e32 v25, v25, v22
	v_add_u32_e32 v22, 0x2400, v119
	ds_read2_b32 v[22:23], v22 offset1:1
	s_waitcnt lgkmcnt(0)
	v_cvt_f32_f16_e32 v48, v22
	v_cvt_f32_f16_sdwa v22, v22 dst_sel:DWORD dst_unused:UNUSED_PAD src0_sel:WORD_1
	v_add_f32_e32 v48, v18, v48
	v_cvt_f32_f16_e32 v18, v23
	v_add_f32_e32 v22, v19, v22
	v_cvt_f32_f16_sdwa v19, v23 dst_sel:DWORD dst_unused:UNUSED_PAD src0_sel:WORD_1
	v_add_f32_e32 v49, v20, v18
	v_add_u32_e32 v18, 0x2400, v120
	v_add_f32_e32 v21, v21, v19
	ds_read2_b32 v[18:19], v18 offset1:1
	s_waitcnt lgkmcnt(0)
	v_cvt_f32_f16_e32 v20, v18
	v_cvt_f32_f16_sdwa v18, v18 dst_sel:DWORD dst_unused:UNUSED_PAD src0_sel:WORD_1
	v_add_f32_e32 v53, v14, v20
	v_cvt_f32_f16_e32 v14, v19
	v_add_f32_e32 v18, v15, v18
	v_cvt_f32_f16_sdwa v15, v19 dst_sel:DWORD dst_unused:UNUSED_PAD src0_sel:WORD_1
	v_add_f32_e32 v19, v16, v14
	v_add_u32_e32 v14, 0x2400, v121
	v_add_f32_e32 v57, v17, v15
	ds_read2_b32 v[14:15], v14 offset1:1
	s_waitcnt lgkmcnt(0)
	v_cvt_f32_f16_e32 v16, v14
	v_cvt_f32_f16_sdwa v14, v14 dst_sel:DWORD dst_unused:UNUSED_PAD src0_sel:WORD_1
	v_add_f32_e32 v59, v10, v16
	v_add_f32_e32 v11, v11, v14
	v_cvt_f32_f16_e32 v10, v15
	v_cvt_f32_f16_sdwa v14, v15 dst_sel:DWORD dst_unused:UNUSED_PAD src0_sel:WORD_1
	v_add_f32_e32 v15, 0x40051340, v25
	v_add_f32_e32 v12, v12, v10
	;; [unrolled: 1-line block ×5, first 2 shown]
	v_max3_f32 v13, v55, v13, v14
	v_add_f32_e32 v14, 0x40051340, v24
	v_max3_f32 v13, v13, v14, v15
	v_add_f32_e32 v14, 0x40051340, v48
	v_add_f32_e32 v15, 0x40051340, v22
	v_max3_f32 v13, v13, v14, v15
	v_add_f32_e32 v14, 0x40051340, v49
	;; [unrolled: 3-line block ×6, first 2 shown]
	v_add_f32_e32 v15, 0x40051340, v10
	v_max3_f32 v13, v13, v14, v15
	ds_bpermute_b32 v14, v101, v13
	s_waitcnt lgkmcnt(0)
	v_max_f32_e32 v14, v14, v14
	v_max_f32_e32 v13, v13, v14
	ds_bpermute_b32 v14, v105, v13
	s_waitcnt lgkmcnt(0)
	v_max_f32_e32 v14, v14, v14
	v_max_f32_e32 v108, v13, v14
	v_sub_f32_e32 v13, v47, v108
	v_mul_f32_e32 v14, 0x3fb8aa3b, v13
	v_fma_f32 v15, v13, s41, -v14
	v_rndne_f32_e32 v16, v14
	v_fmac_f32_e32 v15, 0x32a5705f, v13
	v_sub_f32_e32 v14, v14, v16
	v_add_f32_e32 v14, v14, v15
	v_exp_f32_e32 v14, v14
	v_cvt_i32_f32_e32 v15, v16
	v_cmp_ngt_f32_e32 vcc, s98, v13
	v_sub_f32_e32 v11, v11, v108
	v_sub_f32_e32 v12, v12, v108
	v_ldexp_f32 v14, v14, v15
	v_cndmask_b32_e32 v14, 0, v14, vcc
	v_cmp_nlt_f32_e32 vcc, s58, v13
	v_sub_f32_e32 v13, v46, v108
	v_sub_f32_e32 v10, v10, v108
	v_cndmask_b32_e32 v16, v126, v14, vcc
	v_mul_f32_e32 v14, 0x3fb8aa3b, v13
	v_fma_f32 v15, v13, s41, -v14
	v_rndne_f32_e32 v17, v14
	v_fmac_f32_e32 v15, 0x32a5705f, v13
	v_sub_f32_e32 v14, v14, v17
	v_add_f32_e32 v14, v14, v15
	v_exp_f32_e32 v14, v14
	v_cvt_i32_f32_e32 v15, v17
	v_cmp_ngt_f32_e32 vcc, s98, v13
	v_lshl_add_u64 v[46:47], v[38:39], 2, s[82:83]
	v_lshl_add_u64 v[60:61], v[46:47], 0, v[28:29]
	v_ldexp_f32 v14, v14, v15
	v_cndmask_b32_e32 v14, 0, v14, vcc
	v_cmp_nlt_f32_e32 vcc, s58, v13
	s_nop 1
	v_cndmask_b32_e32 v20, v126, v14, vcc
	v_sub_f32_e32 v14, v24, v108
	v_mul_f32_e32 v15, 0x3fb8aa3b, v14
	v_fma_f32 v17, v14, s41, -v15
	v_rndne_f32_e32 v23, v15
	v_fmac_f32_e32 v17, 0x32a5705f, v14
	v_sub_f32_e32 v15, v15, v23
	v_add_f32_e32 v15, v15, v17
	v_exp_f32_e32 v15, v15
	v_cvt_i32_f32_e32 v17, v23
	v_cmp_ngt_f32_e32 vcc, s98, v14
	v_add_f32_e32 v13, v16, v20
	v_ldexp_f32 v15, v15, v17
	v_cndmask_b32_e32 v15, 0, v15, vcc
	v_cmp_nlt_f32_e32 vcc, s58, v14
	v_sub_f32_e32 v14, v25, v108
	s_nop 0
	v_cndmask_b32_e32 v23, v126, v15, vcc
	v_mul_f32_e32 v15, 0x3fb8aa3b, v14
	v_fma_f32 v17, v14, s41, -v15
	v_rndne_f32_e32 v24, v15
	v_fmac_f32_e32 v17, 0x32a5705f, v14
	v_sub_f32_e32 v15, v15, v24
	v_add_f32_e32 v15, v15, v17
	v_exp_f32_e32 v15, v15
	v_cvt_i32_f32_e32 v17, v24
	v_cmp_ngt_f32_e32 vcc, s98, v14
	v_add_f32_e32 v13, v23, v13
	v_ldexp_f32 v15, v15, v17
	v_cndmask_b32_e32 v15, 0, v15, vcc
	v_cmp_nlt_f32_e32 vcc, s58, v14
	v_sub_f32_e32 v14, v48, v108
	s_nop 0
	v_cndmask_b32_e32 v109, v126, v15, vcc
	v_mul_f32_e32 v15, 0x3fb8aa3b, v14
	v_fma_f32 v17, v14, s41, -v15
	v_rndne_f32_e32 v24, v15
	v_fmac_f32_e32 v17, 0x32a5705f, v14
	v_sub_f32_e32 v15, v15, v24
	v_add_f32_e32 v15, v15, v17
	v_exp_f32_e32 v15, v15
	v_cvt_i32_f32_e32 v17, v24
	v_cmp_ngt_f32_e32 vcc, s98, v14
	v_add_f32_e32 v13, v109, v13
	v_ldexp_f32 v15, v15, v17
	v_cndmask_b32_e32 v15, 0, v15, vcc
	v_cmp_nlt_f32_e32 vcc, s58, v14
	v_sub_f32_e32 v14, v22, v108
	s_nop 0
	v_cndmask_b32_e32 v17, v126, v15, vcc
	v_mul_f32_e32 v15, 0x3fb8aa3b, v14
	v_fma_f32 v22, v14, s41, -v15
	v_rndne_f32_e32 v24, v15
	v_fmac_f32_e32 v22, 0x32a5705f, v14
	v_sub_f32_e32 v15, v15, v24
	v_add_f32_e32 v15, v15, v22
	v_exp_f32_e32 v15, v15
	v_cvt_i32_f32_e32 v22, v24
	v_cmp_ngt_f32_e32 vcc, s98, v14
	v_add_f32_e32 v13, v17, v13
	v_ldexp_f32 v15, v15, v22
	v_cndmask_b32_e32 v15, 0, v15, vcc
	v_cmp_nlt_f32_e32 vcc, s58, v14
	v_sub_f32_e32 v14, v49, v108
	s_nop 0
	v_cndmask_b32_e32 v22, v126, v15, vcc
	v_mul_f32_e32 v15, 0x3fb8aa3b, v14
	v_fma_f32 v24, v14, s41, -v15
	v_rndne_f32_e32 v25, v15
	v_fmac_f32_e32 v24, 0x32a5705f, v14
	v_sub_f32_e32 v15, v15, v25
	v_add_f32_e32 v15, v15, v24
	v_exp_f32_e32 v15, v15
	v_cvt_i32_f32_e32 v24, v25
	v_cmp_ngt_f32_e32 vcc, s98, v14
	v_add_f32_e32 v13, v22, v13
	v_ldexp_f32 v15, v15, v24
	v_cndmask_b32_e32 v15, 0, v15, vcc
	v_cmp_nlt_f32_e32 vcc, s58, v14
	v_sub_f32_e32 v14, v21, v108
	s_nop 0
	v_cndmask_b32_e32 v25, v126, v15, vcc
	v_mul_f32_e32 v15, 0x3fb8aa3b, v14
	v_fma_f32 v21, v14, s41, -v15
	v_rndne_f32_e32 v24, v15
	v_fmac_f32_e32 v21, 0x32a5705f, v14
	v_sub_f32_e32 v15, v15, v24
	v_add_f32_e32 v15, v15, v21
	v_exp_f32_e32 v15, v15
	v_cvt_i32_f32_e32 v21, v24
	v_cmp_ngt_f32_e32 vcc, s98, v14
	v_add_f32_e32 v13, v25, v13
	v_ldexp_f32 v15, v15, v21
	v_cndmask_b32_e32 v15, 0, v15, vcc
	v_cmp_nlt_f32_e32 vcc, s58, v14
	v_sub_f32_e32 v14, v53, v108
	s_nop 0
	v_cndmask_b32_e32 v56, v126, v15, vcc
	v_mul_f32_e32 v15, 0x3fb8aa3b, v14
	v_fma_f32 v21, v14, s41, -v15
	v_rndne_f32_e32 v24, v15
	v_fmac_f32_e32 v21, 0x32a5705f, v14
	v_sub_f32_e32 v15, v15, v24
	v_add_f32_e32 v15, v15, v21
	v_exp_f32_e32 v15, v15
	v_cvt_i32_f32_e32 v21, v24
	v_cmp_ngt_f32_e32 vcc, s98, v14
	v_add_f32_e32 v13, v56, v13
	v_ldexp_f32 v15, v15, v21
	v_cndmask_b32_e32 v15, 0, v15, vcc
	v_cmp_nlt_f32_e32 vcc, s58, v14
	v_sub_f32_e32 v14, v18, v108
	s_nop 0
	v_cndmask_b32_e32 v21, v126, v15, vcc
	v_mul_f32_e32 v15, 0x3fb8aa3b, v14
	v_fma_f32 v18, v14, s41, -v15
	v_rndne_f32_e32 v24, v15
	v_fmac_f32_e32 v18, 0x32a5705f, v14
	v_sub_f32_e32 v15, v15, v24
	v_add_f32_e32 v15, v15, v18
	v_exp_f32_e32 v15, v15
	v_cvt_i32_f32_e32 v18, v24
	v_cmp_ngt_f32_e32 vcc, s98, v14
	v_add_f32_e32 v13, v21, v13
	v_ldexp_f32 v15, v15, v18
	v_cndmask_b32_e32 v15, 0, v15, vcc
	v_cmp_nlt_f32_e32 vcc, s58, v14
	v_sub_f32_e32 v14, v19, v108
	s_nop 0
	v_cndmask_b32_e32 v24, v126, v15, vcc
	v_mul_f32_e32 v15, 0x3fb8aa3b, v14
	v_fma_f32 v18, v14, s41, -v15
	v_rndne_f32_e32 v19, v15
	v_fmac_f32_e32 v18, 0x32a5705f, v14
	v_sub_f32_e32 v15, v15, v19
	v_add_f32_e32 v15, v15, v18
	v_exp_f32_e32 v15, v15
	v_cvt_i32_f32_e32 v18, v19
	v_cmp_ngt_f32_e32 vcc, s98, v14
	v_add_f32_e32 v13, v24, v13
	v_cvt_pk_f16_f32 v24, v21, v24
	v_ldexp_f32 v15, v15, v18
	v_cndmask_b32_e32 v15, 0, v15, vcc
	v_cmp_nlt_f32_e32 vcc, s58, v14
	v_sub_f32_e32 v14, v57, v108
	s_nop 0
	v_cndmask_b32_e32 v54, v126, v15, vcc
	v_mul_f32_e32 v15, 0x3fb8aa3b, v14
	v_fma_f32 v18, v14, s41, -v15
	v_rndne_f32_e32 v19, v15
	v_fmac_f32_e32 v18, 0x32a5705f, v14
	v_sub_f32_e32 v15, v15, v19
	v_add_f32_e32 v15, v15, v18
	v_exp_f32_e32 v15, v15
	v_cvt_i32_f32_e32 v18, v19
	v_cmp_ngt_f32_e32 vcc, s98, v14
	v_add_f32_e32 v13, v54, v13
	v_ldexp_f32 v15, v15, v18
	v_cndmask_b32_e32 v15, 0, v15, vcc
	v_cmp_nlt_f32_e32 vcc, s58, v14
	v_sub_f32_e32 v14, v59, v108
	s_nop 0
	v_cndmask_b32_e32 v58, v126, v15, vcc
	v_mul_f32_e32 v15, 0x3fb8aa3b, v14
	v_fma_f32 v18, v14, s41, -v15
	v_rndne_f32_e32 v19, v15
	v_fmac_f32_e32 v18, 0x32a5705f, v14
	v_sub_f32_e32 v15, v15, v19
	v_add_f32_e32 v15, v15, v18
	v_exp_f32_e32 v15, v15
	v_cvt_i32_f32_e32 v18, v19
	v_cmp_ngt_f32_e32 vcc, s98, v14
	v_add_f32_e32 v13, v58, v13
	v_ldexp_f32 v15, v15, v18
	v_cndmask_b32_e32 v15, 0, v15, vcc
	v_cmp_nlt_f32_e32 vcc, s58, v14
	v_mul_f32_e32 v14, 0x3fb8aa3b, v11
	v_rndne_f32_e32 v18, v14
	v_cndmask_b32_e32 v98, v126, v15, vcc
	v_fma_f32 v15, v11, s41, -v14
	v_fmac_f32_e32 v15, 0x32a5705f, v11
	v_sub_f32_e32 v14, v14, v18
	v_add_f32_e32 v14, v14, v15
	v_exp_f32_e32 v14, v14
	v_cvt_i32_f32_e32 v15, v18
	v_cmp_ngt_f32_e32 vcc, s98, v11
	v_add_f32_e32 v13, v98, v13
	v_ldexp_f32 v14, v14, v15
	v_cndmask_b32_e32 v14, 0, v14, vcc
	v_cmp_nlt_f32_e32 vcc, s58, v11
	s_nop 1
	v_cndmask_b32_e32 v112, v126, v14, vcc
	v_add_f32_e32 v11, v112, v13
	v_mul_f32_e32 v13, 0x3fb8aa3b, v12
	v_fma_f32 v14, v12, s41, -v13
	v_rndne_f32_e32 v15, v13
	v_fmac_f32_e32 v14, 0x32a5705f, v12
	v_sub_f32_e32 v13, v13, v15
	v_add_f32_e32 v13, v13, v14
	v_exp_f32_e32 v13, v13
	v_cvt_i32_f32_e32 v14, v15
	v_cmp_ngt_f32_e32 vcc, s98, v12
	v_ldexp_f32 v13, v13, v14
	s_nop 0
	v_cndmask_b32_e32 v13, 0, v13, vcc
	v_cmp_nlt_f32_e32 vcc, s58, v12
	v_mul_f32_e32 v12, 0x3fb8aa3b, v10
	v_rndne_f32_e32 v14, v12
	v_cndmask_b32_e32 v57, v126, v13, vcc
	v_fma_f32 v13, v10, s41, -v12
	v_fmac_f32_e32 v13, 0x32a5705f, v10
	v_sub_f32_e32 v12, v12, v14
	v_add_f32_e32 v12, v12, v13
	v_cvt_i32_f32_e32 v13, v14
	v_lshl_add_u64 v[14:15], v[36:37], 2, s[82:83]
	v_lshl_add_u64 v[14:15], v[14:15], 0, v[28:29]
	global_load_dwordx4 v[46:49], v[14:15], off
	v_exp_f32_e32 v12, v12
	v_cmp_ngt_f32_e32 vcc, s98, v10
	v_add_f32_e32 v11, v57, v11
	v_ldexp_f32 v12, v12, v13
	v_cndmask_b32_e32 v12, 0, v12, vcc
	v_cmp_nlt_f32_e32 vcc, s58, v10
	v_sub_f32_e32 v10, v55, v108
	s_waitcnt vmcnt(0)
	ds_write_b128 v77, v[46:49]
	global_load_dwordx4 v[46:49], v[60:61], off
	v_cndmask_b32_e32 v59, v126, v12, vcc
	v_add_f32_e32 v111, v59, v11
	v_mul_f32_e32 v11, 0x3fb8aa3b, v10
	v_fma_f32 v12, v10, s41, -v11
	v_rndne_f32_e32 v13, v11
	v_fmac_f32_e32 v12, 0x32a5705f, v10
	v_sub_f32_e32 v11, v11, v13
	v_add_f32_e32 v11, v11, v12
	v_exp_f32_e32 v11, v11
	v_cvt_i32_f32_e32 v12, v13
	v_cmp_ngt_f32_e32 vcc, s98, v10
	v_ldexp_f32 v11, v11, v12
	s_nop 0
	v_cndmask_b32_e32 v11, 0, v11, vcc
	v_cmp_nlt_f32_e32 vcc, s58, v10
	s_waitcnt vmcnt(0)
	ds_write_b128 v118, v[46:49]
	s_waitcnt lgkmcnt(0)
	s_barrier
	ds_read_u16 v14, v83 offset:144
	ds_read_u16 v15, v84
	ds_read_u16 v28, v84 offset:32
	ds_read_u16 v46, v85
	ds_read_u16 v60, v85 offset:32
	v_cndmask_b32_e32 v11, v126, v11, vcc
	v_cmp_le_f32_e32 vcc, s59, v10
	s_waitcnt lgkmcnt(1)
	v_perm_b32 v15, v46, v15, s60
	v_cndmask_b32_e32 v10, 0, v11, vcc
	v_fmac_f32_e32 v111, v1, v10
	v_cvt_f16_f32_e32 v1, v10
	ds_read_u16 v46, v83
	ds_read_u16 v61, v83 offset:32
	s_waitcnt lgkmcnt(2)
	v_perm_b32 v21, v60, v28, s60
	v_mul_u32_u24_e32 v1, 0x10001, v1
	v_pk_mul_f16 v11, v69, v1
	v_pk_mul_f16 v13, v97, v1
	s_waitcnt lgkmcnt(1)
	v_perm_b32 v14, v14, v46, s60
	v_cvt_f32_f16_e32 v10, v11
	v_cvt_f32_f16_sdwa v11, v11 dst_sel:DWORD dst_unused:UNUSED_PAD src0_sel:WORD_1
	v_cvt_f32_f16_e32 v12, v13
	v_cvt_f32_f16_sdwa v13, v13 dst_sel:DWORD dst_unused:UNUSED_PAD src0_sel:WORD_1
	v_pk_mul_f16 v19, v94, v1
	v_pk_mul_f16 v18, v71, v1
	;; [unrolled: 1-line block ×3, first 2 shown]
	v_cvt_pk_f16_f32 v71, v23, v109
	v_cvt_pk_f16_f32 v70, v16, v20
	v_pk_mul_f16 v55, v96, v1
	v_pk_mul_f16 v95, v95, v1
	v_mfma_f32_16x16x16_f16 v[10:13], v[14:15], v[70:71], v[10:13]
	ds_read_u16 v14, v83 offset:2304
	ds_read_u16 v16, v83 offset:2448
	;; [unrolled: 1-line block ×4, first 2 shown]
	v_pk_mul_f16 v1, v68, v1
	v_cvt_pk_f16_f32 v69, v25, v56
	s_nop 1
	v_cvt_f16_f32_e32 v10, v10
	v_cvt_f16_f32_e32 v11, v11
	;; [unrolled: 1-line block ×4, first 2 shown]
	s_waitcnt lgkmcnt(0)
	v_perm_b32 v15, v20, v15, s60
	v_perm_b32 v14, v16, v14, s60
	v_cvt_f32_f16_e32 v10, v10
	v_cvt_f32_f16_e32 v11, v11
	;; [unrolled: 1-line block ×4, first 2 shown]
	v_cvt_pk_f16_f32 v68, v17, v22
	v_cvt_pk_f16_f32 v25, v54, v58
	;; [unrolled: 1-line block ×3, first 2 shown]
	v_mfma_f32_16x16x16_f16 v[10:13], v[14:15], v[68:69], v[10:13]
	ds_read_u16 v14, v83 offset:4608
	ds_read_u16 v16, v83 offset:4752
	;; [unrolled: 1-line block ×4, first 2 shown]
	v_cvt_pk_f16_f32 v22, v98, v112
	v_cvt_f32_f16_sdwa v47, v19 dst_sel:DWORD dst_unused:UNUSED_PAD src0_sel:WORD_1
	s_nop 1
	v_cvt_f16_f32_e32 v10, v10
	v_cvt_f16_f32_e32 v11, v11
	v_cvt_f16_f32_e32 v12, v12
	v_cvt_f16_f32_e32 v13, v13
	s_waitcnt lgkmcnt(0)
	v_perm_b32 v15, v17, v15, s60
	v_perm_b32 v14, v16, v14, s60
	v_cvt_f32_f16_e32 v10, v10
	v_cvt_f32_f16_e32 v11, v11
	;; [unrolled: 1-line block ×5, first 2 shown]
	v_cvt_f32_f16_sdwa v49, v18 dst_sel:DWORD dst_unused:UNUSED_PAD src0_sel:WORD_1
	v_mfma_f32_16x16x16_f16 v[10:13], v[14:15], v[24:25], v[10:13]
	ds_read_u16 v14, v83 offset:6912
	ds_read_u16 v16, v83 offset:7056
	;; [unrolled: 1-line block ×5, first 2 shown]
	s_nop 2
	v_cvt_f16_f32_e32 v10, v10
	v_cvt_f16_f32_e32 v11, v11
	;; [unrolled: 1-line block ×4, first 2 shown]
	s_waitcnt lgkmcnt(1)
	v_perm_b32 v15, v17, v15, s60
	v_perm_b32 v14, v16, v14, s60
	v_cvt_f32_f16_e32 v10, v10
	v_cvt_f32_f16_e32 v11, v11
	;; [unrolled: 1-line block ×4, first 2 shown]
	s_waitcnt lgkmcnt(0)
	v_perm_b32 v20, v20, v61, s60
	v_cvt_f32_f16_e32 v16, v95
	v_mfma_f32_16x16x16_f16 v[10:13], v[14:15], v[22:23], v[10:13]
	v_cvt_f32_f16_e32 v14, v55
	v_cvt_f32_f16_sdwa v15, v55 dst_sel:DWORD dst_unused:UNUSED_PAD src0_sel:WORD_1
	v_cvt_f32_f16_sdwa v17, v95 dst_sel:DWORD dst_unused:UNUSED_PAD src0_sel:WORD_1
	s_nop 1
	v_mfma_f32_16x16x16_f16 v[14:17], v[20:21], v[70:71], v[14:17]
	ds_read_u16 v20, v83 offset:2336
	ds_read_u16 v28, v83 offset:2480
	;; [unrolled: 1-line block ×4, first 2 shown]
	v_cvt_pk_f16_f32 v97, v12, v13
	s_nop 2
	v_cvt_f16_f32_e32 v14, v14
	v_cvt_f16_f32_e32 v15, v15
	;; [unrolled: 1-line block ×4, first 2 shown]
	s_waitcnt lgkmcnt(0)
	v_perm_b32 v21, v46, v21, s60
	v_perm_b32 v20, v28, v20, s60
	v_cvt_f32_f16_e32 v14, v14
	v_cvt_f32_f16_e32 v15, v15
	;; [unrolled: 1-line block ×4, first 2 shown]
	s_nop 1
	v_mfma_f32_16x16x16_f16 v[14:17], v[20:21], v[68:69], v[14:17]
	ds_read_u16 v20, v83 offset:4640
	ds_read_u16 v28, v83 offset:4784
	ds_read_u16 v21, v84 offset:4640
	ds_read_u16 v46, v85 offset:4640
	s_nop 3
	v_cvt_f16_f32_e32 v14, v14
	v_cvt_f16_f32_e32 v15, v15
	;; [unrolled: 1-line block ×4, first 2 shown]
	s_waitcnt lgkmcnt(0)
	v_perm_b32 v21, v46, v21, s60
	v_perm_b32 v20, v28, v20, s60
	v_cvt_f32_f16_e32 v14, v14
	v_cvt_f32_f16_e32 v15, v15
	;; [unrolled: 1-line block ×4, first 2 shown]
	s_nop 1
	v_mfma_f32_16x16x16_f16 v[14:17], v[20:21], v[24:25], v[14:17]
	ds_read_u16 v20, v83 offset:6944
	ds_read_u16 v28, v83 offset:7088
	;; [unrolled: 1-line block ×4, first 2 shown]
	s_nop 3
	v_cvt_f16_f32_e32 v14, v14
	v_cvt_f16_f32_e32 v15, v15
	;; [unrolled: 1-line block ×4, first 2 shown]
	s_waitcnt lgkmcnt(0)
	v_perm_b32 v21, v46, v21, s60
	v_perm_b32 v20, v28, v20, s60
	v_cvt_f32_f16_e32 v14, v14
	v_cvt_f32_f16_e32 v15, v15
	;; [unrolled: 1-line block ×5, first 2 shown]
	s_nop 0
	v_mfma_f32_16x16x16_f16 v[14:17], v[20:21], v[22:23], v[14:17]
	ds_read_u16 v20, v83 offset:64
	ds_read_u16 v21, v83 offset:208
	;; [unrolled: 1-line block ×4, first 2 shown]
	s_waitcnt lgkmcnt(2)
	v_perm_b32 v18, v21, v20, s60
	s_nop 1
	v_cvt_pk_f16_f32 v96, v14, v15
	s_waitcnt lgkmcnt(0)
	v_perm_b32 v19, v53, v28, s60
	v_cvt_pk_f16_f32 v95, v16, v17
	s_nop 0
	v_mfma_f32_16x16x16_f16 v[18:21], v[18:19], v[70:71], v[46:49]
	ds_read_u16 v28, v83 offset:2368
	s_nop 1
	ds_read_u16 v46, v83 offset:2512
	ds_read_u16 v47, v84 offset:2368
	;; [unrolled: 1-line block ×3, first 2 shown]
	v_cvt_f32_f16_sdwa v49, v1 dst_sel:DWORD dst_unused:UNUSED_PAD src0_sel:WORD_1
	s_nop 0
	v_cvt_f16_f32_e32 v18, v18
	v_cvt_f16_f32_e32 v19, v19
	;; [unrolled: 1-line block ×4, first 2 shown]
	s_waitcnt lgkmcnt(0)
	v_perm_b32 v47, v48, v47, s60
	v_perm_b32 v46, v46, v28, s60
	v_cvt_f32_f16_e32 v18, v18
	v_cvt_f32_f16_e32 v19, v19
	;; [unrolled: 1-line block ×4, first 2 shown]
	s_nop 1
	v_mfma_f32_16x16x16_f16 v[18:21], v[46:47], v[68:69], v[18:21]
	ds_read_u16 v28, v83 offset:4672
	ds_read_u16 v46, v83 offset:4816
	;; [unrolled: 1-line block ×4, first 2 shown]
	s_nop 3
	v_cvt_f16_f32_e32 v18, v18
	v_cvt_f16_f32_e32 v19, v19
	;; [unrolled: 1-line block ×4, first 2 shown]
	s_waitcnt lgkmcnt(0)
	v_perm_b32 v47, v48, v47, s60
	v_perm_b32 v46, v46, v28, s60
	v_cvt_f32_f16_e32 v18, v18
	v_cvt_f32_f16_e32 v19, v19
	;; [unrolled: 1-line block ×4, first 2 shown]
	s_nop 1
	v_mfma_f32_16x16x16_f16 v[18:21], v[46:47], v[24:25], v[18:21]
	ds_read_u16 v28, v83 offset:6976
	ds_read_u16 v46, v83 offset:7120
	;; [unrolled: 1-line block ×4, first 2 shown]
	s_nop 3
	v_cvt_f16_f32_e32 v18, v18
	v_cvt_f16_f32_e32 v19, v19
	;; [unrolled: 1-line block ×4, first 2 shown]
	s_waitcnt lgkmcnt(2)
	v_perm_b32 v46, v46, v28, s60
	ds_read_u16 v28, v83 offset:96
	ds_read_u16 v53, v83 offset:240
	;; [unrolled: 1-line block ×4, first 2 shown]
	s_waitcnt lgkmcnt(4)
	v_perm_b32 v47, v48, v47, s60
	v_cvt_f32_f16_e32 v18, v18
	v_cvt_f32_f16_e32 v19, v19
	;; [unrolled: 1-line block ×4, first 2 shown]
	s_waitcnt lgkmcnt(0)
	v_perm_b32 v55, v55, v54, s60
	v_perm_b32 v54, v53, v28, s60
	v_mfma_f32_16x16x16_f16 v[18:21], v[46:47], v[22:23], v[18:21]
	v_cvt_f32_f16_e32 v46, v94
	v_cvt_f32_f16_sdwa v47, v94 dst_sel:DWORD dst_unused:UNUSED_PAD src0_sel:WORD_1
	v_cvt_f32_f16_e32 v48, v1
	s_nop 1
	v_mfma_f32_16x16x16_f16 v[46:49], v[54:55], v[70:71], v[46:49]
	ds_read_u16 v53, v83 offset:2400
	ds_read_u16 v54, v83 offset:2544
	;; [unrolled: 1-line block ×4, first 2 shown]
	v_cvt_pk_f16_f32 v94, v18, v19
	v_cvt_pk_f16_f32 v71, v20, v21
	s_nop 1
	v_cvt_f16_f32_e32 v1, v46
	v_cvt_f16_f32_e32 v28, v47
	;; [unrolled: 1-line block ×4, first 2 shown]
	s_waitcnt lgkmcnt(0)
	v_perm_b32 v55, v56, v55, s60
	v_perm_b32 v54, v54, v53, s60
	v_cvt_f32_f16_e32 v46, v1
	v_cvt_f32_f16_e32 v47, v28
	;; [unrolled: 1-line block ×4, first 2 shown]
	s_nop 1
	v_mfma_f32_16x16x16_f16 v[46:49], v[54:55], v[68:69], v[46:49]
	ds_read_u16 v53, v83 offset:4704
	ds_read_u16 v54, v83 offset:4848
	;; [unrolled: 1-line block ×4, first 2 shown]
	v_cvt_pk_f16_f32 v69, v10, v11
	s_nop 2
	v_cvt_f16_f32_e32 v1, v46
	v_cvt_f16_f32_e32 v28, v47
	;; [unrolled: 1-line block ×4, first 2 shown]
	s_waitcnt lgkmcnt(0)
	v_perm_b32 v55, v56, v55, s60
	v_perm_b32 v54, v54, v53, s60
	v_cvt_f32_f16_e32 v46, v1
	v_cvt_f32_f16_e32 v47, v28
	;; [unrolled: 1-line block ×4, first 2 shown]
	s_nop 1
	v_mfma_f32_16x16x16_f16 v[46:49], v[54:55], v[24:25], v[46:49]
	ds_read_u16 v53, v83 offset:7008
	ds_read_u16 v54, v83 offset:7152
	ds_read_u16 v55, v84 offset:7008
	ds_read_u16 v56, v85 offset:7008
	s_waitcnt lgkmcnt(0)
	s_barrier
	s_nop 1
	v_cvt_f16_f32_e32 v24, v47
	v_cvt_f16_f32_e32 v25, v48
	;; [unrolled: 1-line block ×4, first 2 shown]
	v_cvt_f32_f16_e32 v47, v24
	v_cvt_f32_f16_e32 v48, v25
	v_perm_b32 v25, v56, v55, s60
	v_perm_b32 v24, v54, v53, s60
	v_cvt_f32_f16_e32 v46, v1
	v_cvt_f32_f16_e32 v49, v28
	s_nop 1
	v_mfma_f32_16x16x16_f16 v[22:25], v[24:25], v[22:23], v[46:49]
	s_nop 7
	v_cvt_pk_f16_f32 v70, v22, v23
	v_cvt_pk_f16_f32 v68, v24, v25
	s_cbranch_scc1 .LBB0_52
; %bb.53:                               ;   in Loop: Header=BB0_13 Depth=1
	v_bfe_u32 v101, v0, 10, 10
	v_mov_b32_e32 v66, v52
	s_branch .LBB0_57
.LBB0_54:                               ;   in Loop: Header=BB0_13 Depth=1
	s_mov_b64 s[6:7], 0
                                        ; implicit-def: $vgpr4_vgpr5
                                        ; implicit-def: $vgpr2
	s_cbranch_execnz .LBB0_107
.LBB0_55:                               ;   in Loop: Header=BB0_13 Depth=1
	v_readlane_b32 s53, v127, 33
	s_and_saveexec_b64 s[4:5], s[6:7]
	s_cbranch_execz .LBB0_12
	s_branch .LBB0_196
.LBB0_56:                               ;   in Loop: Header=BB0_13 Depth=1
	v_mov_b32_e32 v108, 0xfeffffff
	v_mov_b32_e32 v111, 0
	;; [unrolled: 1-line block ×11, first 2 shown]
.LBB0_57:                               ;   in Loop: Header=BB0_13 Depth=1
	s_lshl_b32 s4, s80, 6
	s_ashr_i32 s5, s4, 31
	s_lshl_b64 s[6:7], s[4:5], 1
	s_add_u32 s6, s74, s6
	s_addc_u32 s7, s75, s7
	v_lshlrev_b32_e32 v28, 1, v44
	v_lshl_add_u64 v[10:11], s[6:7], 0, v[28:29]
	v_lshl_add_u64 v[12:13], v[62:63], 1, v[10:11]
	global_load_dword v1, v[12:13], off
	v_add_u32_e32 v12, v117, v115
	v_lshl_add_u64 v[10:11], v[64:65], 1, v[10:11]
	s_mul_hi_i32 s7, s26, s4
	s_mul_i32 s6, s26, s4
	s_lshl_b64 s[6:7], s[6:7], 2
	s_add_u32 s6, s30, s6
	s_addc_u32 s7, s47, s7
	v_lshlrev_b32_e32 v28, 2, v30
	v_cmp_lt_i32_e32 vcc, v100, v99
	s_mul_hi_i32 s5, s36, s4
	s_mul_i32 s4, s36, s4
	s_lshl_b64 s[4:5], s[4:5], 2
	s_add_u32 s4, s61, s4
	s_addc_u32 s5, s63, s5
	v_add_u32_e32 v54, v82, v41
	s_cmp_eq_u64 s[72:73], 0
	s_waitcnt vmcnt(0)
	ds_write_b32 v12, v1 offset:9216
	global_load_dword v1, v[10:11], off
	v_lshl_add_u64 v[10:11], v[32:33], 2, s[6:7]
	v_lshl_add_u64 v[10:11], v[10:11], 0, v[28:29]
	s_waitcnt vmcnt(0)
	ds_write_b32 v12, v1 offset:10368
	v_lshl_add_u64 v[12:13], v[34:35], 2, s[6:7]
	v_lshl_add_u64 v[14:15], v[12:13], 0, v[28:29]
	global_load_dwordx4 v[10:13], v[10:11], off
	v_add_u32_e32 v1, 0x800, v79
	s_waitcnt vmcnt(0)
	ds_write_b128 v77, v[10:13]
	global_load_dwordx4 v[10:13], v[14:15], off
	s_waitcnt vmcnt(0)
	ds_write_b128 v118, v[10:13]
	s_waitcnt lgkmcnt(0)
	s_barrier
	ds_read2_b64 v[10:13], v79 offset1:4
	s_waitcnt lgkmcnt(0)
	v_mfma_f32_16x16x16_f16 v[14:17], v[10:11], v[6:7], 0
	v_mfma_f32_16x16x16_f16 v[10:13], v[12:13], v[8:9], v[14:17]
	s_nop 6
	ds_read2_b64 v[14:17], v79 offset0:8 offset1:12
	s_waitcnt lgkmcnt(0)
	v_mfma_f32_16x16x16_f16 v[10:13], v[14:15], v[2:3], v[10:13]
	v_mfma_f32_16x16x16_f16 v[18:21], v[16:17], v[4:5], v[10:13]
	s_nop 6
	ds_read2_b64 v[10:13], v1 offset0:32 offset1:36
	;; [unrolled: 5-line block ×3, first 2 shown]
	s_waitcnt lgkmcnt(0)
	v_mfma_f32_16x16x16_f16 v[10:13], v[14:15], v[2:3], v[10:13]
	v_add_u32_e32 v1, 0x1000, v79
	v_mfma_f32_16x16x16_f16 v[14:17], v[16:17], v[4:5], v[10:13]
	s_nop 5
	ds_read2_b64 v[10:13], v1 offset0:64 offset1:68
	s_waitcnt lgkmcnt(0)
	v_mfma_f32_16x16x16_f16 v[22:25], v[10:11], v[6:7], 0
	v_mfma_f32_16x16x16_f16 v[10:13], v[12:13], v[8:9], v[22:25]
	s_nop 6
	ds_read2_b64 v[22:25], v1 offset0:72 offset1:76
	s_waitcnt lgkmcnt(0)
	v_mfma_f32_16x16x16_f16 v[10:13], v[22:23], v[2:3], v[10:13]
	v_add_u32_e32 v1, 0x1800, v79
	v_mfma_f32_16x16x16_f16 v[10:13], v[24:25], v[4:5], v[10:13]
	ds_read2_b64 v[22:25], v1 offset0:96 offset1:100
	s_waitcnt lgkmcnt(0)
	v_mfma_f32_16x16x16_f16 v[46:49], v[22:23], v[6:7], 0
	v_mfma_f32_16x16x16_f16 v[6:9], v[24:25], v[8:9], v[46:49]
	ds_read2_b64 v[22:25], v1 offset0:104 offset1:108
	s_waitcnt lgkmcnt(0)
	s_barrier
	ds_read_b32 v1, v80 offset:9216
	v_mfma_f32_16x16x16_f16 v[6:9], v[22:23], v[2:3], v[6:9]
	v_mfma_f32_16x16x16_f16 v[2:5], v[24:25], v[4:5], v[6:9]
	s_waitcnt lgkmcnt(0)
	s_nop 5
	v_cvt_f32_f16_e32 v6, v1
	v_cvt_f32_f16_sdwa v1, v1 dst_sel:DWORD dst_unused:UNUSED_PAD src0_sel:WORD_1
	v_add_f32_e32 v6, v18, v6
	v_add_f32_e32 v7, v19, v1
	ds_read_b32 v1, v81 offset:9216
	s_waitcnt lgkmcnt(0)
	v_cvt_f32_f16_e32 v8, v1
	v_cvt_f32_f16_sdwa v1, v1 dst_sel:DWORD dst_unused:UNUSED_PAD src0_sel:WORD_1
	v_add_f32_e32 v24, v20, v8
	v_add_f32_e32 v22, v21, v1
	v_add_u32_e32 v1, 0x2400, v119
	ds_read2_b32 v[8:9], v1 offset1:1
	s_waitcnt lgkmcnt(0)
	v_cvt_f32_f16_e32 v1, v8
	v_cvt_f32_f16_sdwa v8, v8 dst_sel:DWORD dst_unused:UNUSED_PAD src0_sel:WORD_1
	v_add_f32_e32 v23, v14, v1
	v_cvt_f32_f16_e32 v1, v9
	v_add_f32_e32 v21, v15, v8
	v_cvt_f32_f16_sdwa v8, v9 dst_sel:DWORD dst_unused:UNUSED_PAD src0_sel:WORD_1
	v_add_f32_e32 v15, v16, v1
	v_add_u32_e32 v1, 0x2400, v120
	v_add_f32_e32 v17, v17, v8
	ds_read2_b32 v[8:9], v1 offset1:1
	s_waitcnt lgkmcnt(0)
	v_cvt_f32_f16_e32 v1, v8
	v_cvt_f32_f16_sdwa v8, v8 dst_sel:DWORD dst_unused:UNUSED_PAD src0_sel:WORD_1
	v_add_f32_e32 v19, v10, v1
	v_cvt_f32_f16_e32 v1, v9
	v_add_f32_e32 v18, v11, v8
	v_cvt_f32_f16_sdwa v8, v9 dst_sel:DWORD dst_unused:UNUSED_PAD src0_sel:WORD_1
	v_add_f32_e32 v9, v12, v1
	v_add_u32_e32 v1, 0x2400, v121
	ds_read2_b32 v[10:11], v1 offset1:1
	v_add_f32_e32 v8, v13, v8
	s_waitcnt lgkmcnt(0)
	v_cvt_f32_f16_e32 v1, v10
	v_cvt_f32_f16_sdwa v10, v10 dst_sel:DWORD dst_unused:UNUSED_PAD src0_sel:WORD_1
	v_add_f32_e32 v20, v2, v1
	v_add_f32_e32 v2, v3, v10
	v_cvt_f32_f16_e32 v1, v11
	v_cvt_f32_f16_sdwa v3, v11 dst_sel:DWORD dst_unused:UNUSED_PAD src0_sel:WORD_1
	v_add_f32_e32 v10, 0x40051340, v22
	v_add_f32_e32 v4, v4, v1
	;; [unrolled: 1-line block ×5, first 2 shown]
	v_max3_f32 v1, v108, v1, v5
	v_add_f32_e32 v5, 0x40051340, v24
	v_max3_f32 v1, v1, v5, v10
	v_add_f32_e32 v5, 0x40051340, v23
	v_add_f32_e32 v10, 0x40051340, v21
	v_max3_f32 v1, v1, v5, v10
	v_add_f32_e32 v5, 0x40051340, v15
	;; [unrolled: 3-line block ×6, first 2 shown]
	v_add_f32_e32 v10, 0x40051340, v3
	v_max3_f32 v1, v1, v5, v10
	v_cndmask_b32_e32 v5, v110, v100, vcc
	v_lshlrev_b32_e32 v13, 2, v5
	ds_bpermute_b32 v5, v13, v1
	v_cmp_lt_i32_e32 vcc, v102, v99
	s_waitcnt lgkmcnt(0)
	v_max_f32_e32 v5, v5, v5
	v_max_f32_e32 v5, v1, v5
	v_cndmask_b32_e32 v1, v110, v102, vcc
	v_lshlrev_b32_e32 v1, 2, v1
	ds_bpermute_b32 v10, v1, v5
	s_waitcnt lgkmcnt(0)
	v_max_f32_e32 v10, v10, v10
	v_max_f32_e32 v12, v5, v10
	v_sub_f32_e32 v5, v6, v12
	v_mul_f32_e32 v6, 0x3fb8aa3b, v5
	v_fma_f32 v10, v5, s41, -v6
	v_rndne_f32_e32 v11, v6
	v_fmac_f32_e32 v10, 0x32a5705f, v5
	v_sub_f32_e32 v6, v6, v11
	v_add_f32_e32 v6, v6, v10
	v_exp_f32_e32 v6, v6
	v_cvt_i32_f32_e32 v10, v11
	v_cmp_ngt_f32_e32 vcc, s98, v5
	v_sub_f32_e32 v15, v15, v12
	v_sub_f32_e32 v17, v17, v12
	v_ldexp_f32 v6, v6, v10
	v_cndmask_b32_e32 v6, 0, v6, vcc
	v_cmp_nlt_f32_e32 vcc, s58, v5
	v_sub_f32_e32 v5, v7, v12
	v_mul_f32_e32 v7, 0x3fb8aa3b, v5
	v_fma_f32 v10, v5, s41, -v7
	v_rndne_f32_e32 v11, v7
	v_fmac_f32_e32 v10, 0x32a5705f, v5
	v_sub_f32_e32 v7, v7, v11
	v_add_f32_e32 v7, v7, v10
	v_exp_f32_e32 v7, v7
	v_cvt_i32_f32_e32 v10, v11
	v_cndmask_b32_e32 v6, v126, v6, vcc
	v_cmp_ngt_f32_e32 vcc, s98, v5
	v_sub_f32_e32 v19, v19, v12
	v_ldexp_f32 v7, v7, v10
	v_sub_f32_e32 v10, v24, v12
	v_mul_f32_e32 v11, 0x3fb8aa3b, v10
	v_fma_f32 v14, v10, s41, -v11
	v_rndne_f32_e32 v16, v11
	v_fmac_f32_e32 v14, 0x32a5705f, v10
	v_sub_f32_e32 v11, v11, v16
	v_add_f32_e32 v11, v11, v14
	v_exp_f32_e32 v11, v11
	v_cvt_i32_f32_e32 v14, v16
	v_cndmask_b32_e32 v7, 0, v7, vcc
	v_cmp_nlt_f32_e32 vcc, s58, v5
	v_sub_f32_e32 v18, v18, v12
	v_ldexp_f32 v11, v11, v14
	v_cndmask_b32_e32 v7, v126, v7, vcc
	v_cmp_ngt_f32_e32 vcc, s98, v10
	v_sub_f32_e32 v9, v9, v12
	v_sub_f32_e32 v8, v8, v12
	v_cndmask_b32_e32 v11, 0, v11, vcc
	v_cmp_nlt_f32_e32 vcc, s58, v10
	v_add_f32_e32 v5, v6, v7
	v_sub_f32_e32 v2, v2, v12
	v_cndmask_b32_e32 v10, v126, v11, vcc
	v_sub_f32_e32 v11, v22, v12
	v_mul_f32_e32 v14, 0x3fb8aa3b, v11
	v_fma_f32 v16, v11, s41, -v14
	v_rndne_f32_e32 v22, v14
	v_fmac_f32_e32 v16, 0x32a5705f, v11
	v_sub_f32_e32 v14, v14, v22
	v_add_f32_e32 v14, v14, v16
	v_exp_f32_e32 v14, v14
	v_cvt_i32_f32_e32 v16, v22
	v_cmp_ngt_f32_e32 vcc, s98, v11
	v_add_f32_e32 v5, v10, v5
	v_sub_f32_e32 v4, v4, v12
	v_ldexp_f32 v14, v14, v16
	v_cndmask_b32_e32 v14, 0, v14, vcc
	v_cmp_nlt_f32_e32 vcc, s58, v11
	v_sub_f32_e32 v11, v23, v12
	v_mul_f32_e32 v16, 0x3fb8aa3b, v11
	v_fma_f32 v22, v11, s41, -v16
	v_rndne_f32_e32 v23, v16
	v_fmac_f32_e32 v22, 0x32a5705f, v11
	v_sub_f32_e32 v16, v16, v23
	v_add_f32_e32 v16, v16, v22
	v_exp_f32_e32 v16, v16
	v_cvt_i32_f32_e32 v22, v23
	v_cndmask_b32_e32 v14, v126, v14, vcc
	v_cmp_ngt_f32_e32 vcc, s98, v11
	v_add_f32_e32 v5, v14, v5
	v_ldexp_f32 v16, v16, v22
	v_cndmask_b32_e32 v16, 0, v16, vcc
	v_cmp_nlt_f32_e32 vcc, s58, v11
	v_sub_f32_e32 v3, v3, v12
	s_nop 0
	v_cndmask_b32_e32 v11, v126, v16, vcc
	v_sub_f32_e32 v16, v21, v12
	v_mul_f32_e32 v21, 0x3fb8aa3b, v16
	v_fma_f32 v22, v16, s41, -v21
	v_rndne_f32_e32 v23, v21
	v_fmac_f32_e32 v22, 0x32a5705f, v16
	v_sub_f32_e32 v21, v21, v23
	v_add_f32_e32 v21, v21, v22
	v_exp_f32_e32 v21, v21
	v_cvt_i32_f32_e32 v22, v23
	v_cmp_ngt_f32_e32 vcc, s98, v16
	v_add_f32_e32 v5, v11, v5
	v_ldexp_f32 v21, v21, v22
	v_cndmask_b32_e32 v21, 0, v21, vcc
	v_cmp_nlt_f32_e32 vcc, s58, v16
	s_nop 1
	v_cndmask_b32_e32 v16, v126, v21, vcc
	v_mul_f32_e32 v21, 0x3fb8aa3b, v15
	v_fma_f32 v22, v15, s41, -v21
	v_rndne_f32_e32 v23, v21
	v_fmac_f32_e32 v22, 0x32a5705f, v15
	v_sub_f32_e32 v21, v21, v23
	v_add_f32_e32 v21, v21, v22
	v_exp_f32_e32 v21, v21
	v_cvt_i32_f32_e32 v22, v23
	v_cmp_ngt_f32_e32 vcc, s98, v15
	v_add_f32_e32 v5, v16, v5
	v_ldexp_f32 v21, v21, v22
	v_cndmask_b32_e32 v21, 0, v21, vcc
	v_cmp_nlt_f32_e32 vcc, s58, v15
	s_nop 1
	v_cndmask_b32_e32 v15, v126, v21, vcc
	;; [unrolled: 15-line block ×3, first 2 shown]
	v_mul_f32_e32 v21, 0x3fb8aa3b, v19
	v_fma_f32 v22, v19, s41, -v21
	v_rndne_f32_e32 v23, v21
	v_fmac_f32_e32 v22, 0x32a5705f, v19
	v_sub_f32_e32 v21, v21, v23
	v_add_f32_e32 v21, v21, v22
	v_exp_f32_e32 v21, v21
	v_cvt_i32_f32_e32 v22, v23
	v_cmp_ngt_f32_e32 vcc, s98, v19
	v_add_f32_e32 v5, v17, v5
	v_cvt_pk_f16_f32 v15, v15, v17
	v_ldexp_f32 v21, v21, v22
	v_cndmask_b32_e32 v21, 0, v21, vcc
	v_cmp_nlt_f32_e32 vcc, s58, v19
	v_mul_f32_e32 v19, 0x3fb8aa3b, v18
	v_fma_f32 v22, v18, s41, -v19
	v_rndne_f32_e32 v23, v19
	v_fmac_f32_e32 v22, 0x32a5705f, v18
	v_sub_f32_e32 v19, v19, v23
	v_add_f32_e32 v19, v19, v22
	v_exp_f32_e32 v19, v19
	v_cvt_i32_f32_e32 v22, v23
	v_cndmask_b32_e32 v21, v126, v21, vcc
	v_cmp_ngt_f32_e32 vcc, s98, v18
	v_add_f32_e32 v5, v21, v5
	v_ldexp_f32 v19, v19, v22
	v_cndmask_b32_e32 v19, 0, v19, vcc
	v_cmp_nlt_f32_e32 vcc, s58, v18
	v_mul_f32_e32 v18, 0x3fb8aa3b, v9
	v_rndne_f32_e32 v23, v18
	v_cndmask_b32_e32 v22, v126, v19, vcc
	v_fma_f32 v19, v9, s41, -v18
	v_fmac_f32_e32 v19, 0x32a5705f, v9
	v_sub_f32_e32 v18, v18, v23
	v_add_f32_e32 v18, v18, v19
	v_exp_f32_e32 v18, v18
	v_cvt_i32_f32_e32 v19, v23
	v_cmp_ngt_f32_e32 vcc, s98, v9
	v_add_f32_e32 v5, v22, v5
	v_ldexp_f32 v18, v18, v19
	v_cndmask_b32_e32 v18, 0, v18, vcc
	v_cmp_nlt_f32_e32 vcc, s58, v9
	v_mul_f32_e32 v9, 0x3fb8aa3b, v8
	v_rndne_f32_e32 v19, v9
	v_cndmask_b32_e32 v23, v126, v18, vcc
	v_fma_f32 v18, v8, s41, -v9
	v_fmac_f32_e32 v18, 0x32a5705f, v8
	v_sub_f32_e32 v9, v9, v19
	v_add_f32_e32 v9, v9, v18
	v_exp_f32_e32 v9, v9
	v_cvt_i32_f32_e32 v18, v19
	v_cmp_ngt_f32_e32 vcc, s98, v8
	v_add_f32_e32 v5, v23, v5
	v_ldexp_f32 v9, v9, v18
	v_cndmask_b32_e32 v9, 0, v9, vcc
	v_cmp_nlt_f32_e32 vcc, s58, v8
	v_sub_f32_e32 v8, v20, v12
	s_nop 0
	v_cndmask_b32_e32 v56, v126, v9, vcc
	v_mul_f32_e32 v9, 0x3fb8aa3b, v8
	v_fma_f32 v18, v8, s41, -v9
	v_rndne_f32_e32 v19, v9
	v_fmac_f32_e32 v18, 0x32a5705f, v8
	v_sub_f32_e32 v9, v9, v19
	v_add_f32_e32 v9, v9, v18
	v_exp_f32_e32 v9, v9
	v_cvt_i32_f32_e32 v18, v19
	v_cmp_ngt_f32_e32 vcc, s98, v8
	v_add_f32_e32 v5, v56, v5
	v_cvt_pk_f16_f32 v17, v23, v56
	v_ldexp_f32 v9, v9, v18
	v_cndmask_b32_e32 v9, 0, v9, vcc
	v_cmp_nlt_f32_e32 vcc, s58, v8
	v_mul_f32_e32 v8, 0x3fb8aa3b, v2
	v_rndne_f32_e32 v18, v8
	v_cndmask_b32_e32 v55, v126, v9, vcc
	v_fma_f32 v9, v2, s41, -v8
	v_fmac_f32_e32 v9, 0x32a5705f, v2
	v_sub_f32_e32 v8, v8, v18
	v_add_f32_e32 v8, v8, v9
	v_exp_f32_e32 v8, v8
	v_cvt_i32_f32_e32 v9, v18
	v_cmp_ngt_f32_e32 vcc, s98, v2
	v_add_f32_e32 v5, v55, v5
	v_ldexp_f32 v8, v8, v9
	v_cndmask_b32_e32 v8, 0, v8, vcc
	v_cmp_nlt_f32_e32 vcc, s58, v2
	s_nop 1
	v_cndmask_b32_e32 v57, v126, v8, vcc
	v_add_f32_e32 v2, v57, v5
	v_mul_f32_e32 v5, 0x3fb8aa3b, v4
	v_fma_f32 v8, v4, s41, -v5
	v_rndne_f32_e32 v9, v5
	v_fmac_f32_e32 v8, 0x32a5705f, v4
	v_sub_f32_e32 v5, v5, v9
	v_add_f32_e32 v5, v5, v8
	v_exp_f32_e32 v5, v5
	v_cvt_i32_f32_e32 v8, v9
	v_cmp_ngt_f32_e32 vcc, s98, v4
	v_ldexp_f32 v5, v5, v8
	s_nop 0
	v_cndmask_b32_e32 v5, 0, v5, vcc
	v_cmp_nlt_f32_e32 vcc, s58, v4
	v_mul_f32_e32 v4, 0x3fb8aa3b, v3
	v_rndne_f32_e32 v8, v4
	v_cndmask_b32_e32 v58, v126, v5, vcc
	v_fma_f32 v5, v3, s41, -v4
	v_fmac_f32_e32 v5, 0x32a5705f, v3
	v_sub_f32_e32 v4, v4, v8
	v_add_f32_e32 v4, v4, v5
	v_exp_f32_e32 v4, v4
	v_cvt_i32_f32_e32 v5, v8
	v_cmp_ngt_f32_e32 vcc, s98, v3
	v_add_f32_e32 v2, v58, v2
	v_ldexp_f32 v4, v4, v5
	v_cndmask_b32_e32 v4, 0, v4, vcc
	v_cmp_nlt_f32_e32 vcc, s58, v3
	s_nop 1
	v_cndmask_b32_e32 v59, v126, v4, vcc
	v_add_f32_e32 v20, v59, v2
	v_sub_f32_e32 v2, v108, v12
	v_mul_f32_e32 v3, 0x3fb8aa3b, v2
	v_fma_f32 v4, v2, s41, -v3
	v_rndne_f32_e32 v5, v3
	v_fmac_f32_e32 v4, 0x32a5705f, v2
	v_sub_f32_e32 v3, v3, v5
	v_add_f32_e32 v3, v3, v4
	v_exp_f32_e32 v3, v3
	v_cvt_i32_f32_e32 v4, v5
	v_cmp_ngt_f32_e32 vcc, s98, v2
	v_ldexp_f32 v3, v3, v4
	s_nop 0
	v_cndmask_b32_e32 v3, 0, v3, vcc
	v_cmp_nlt_f32_e32 vcc, s58, v2
	v_lshl_add_u64 v[4:5], v[38:39], 2, s[4:5]
	v_lshl_add_u64 v[46:47], v[4:5], 0, v[28:29]
	v_cndmask_b32_e32 v3, v126, v3, vcc
	v_cmp_le_f32_e32 vcc, s59, v2
	s_nop 1
	v_cndmask_b32_e32 v2, 0, v3, vcc
	v_fmac_f32_e32 v20, v111, v2
	v_cvt_f16_f32_e32 v2, v2
	v_mul_u32_u24_e32 v2, 0x10001, v2
	v_pk_mul_f16 v19, v69, v2
	v_pk_mul_f16 v18, v97, v2
	;; [unrolled: 1-line block ×8, first 2 shown]
	v_lshl_add_u64 v[2:3], v[36:37], 2, s[4:5]
	v_lshl_add_u64 v[2:3], v[2:3], 0, v[28:29]
	global_load_dwordx4 v[2:5], v[2:3], off
	v_add_u32_e32 v28, v82, v76
	s_waitcnt vmcnt(0)
	ds_write_b128 v77, v[2:5]
	global_load_dwordx4 v[2:5], v[46:47], off
	s_waitcnt vmcnt(0)
	ds_write_b128 v118, v[2:5]
	s_waitcnt lgkmcnt(0)
	s_barrier
	ds_read_u16 v46, v83 offset:144
	v_cvt_f32_f16_e32 v2, v19
	v_cvt_f32_f16_sdwa v3, v19 dst_sel:DWORD dst_unused:UNUSED_PAD src0_sel:WORD_1
	v_cvt_f32_f16_e32 v4, v18
	v_cvt_f32_f16_sdwa v5, v18 dst_sel:DWORD dst_unused:UNUSED_PAD src0_sel:WORD_1
	ds_read_u16 v18, v54
	ds_read_u16 v48, v54 offset:32
	ds_read_u16 v19, v28
	ds_read_u16 v49, v28 offset:32
	s_waitcnt lgkmcnt(1)
	v_perm_b32 v47, v19, v18, s60
	ds_read_u16 v18, v83
	ds_read_u16 v53, v83 offset:32
	v_cvt_pk_f16_f32 v19, v10, v14
	s_waitcnt lgkmcnt(2)
	v_perm_b32 v23, v49, v48, s60
	v_cvt_f32_f16_e32 v48, v8
	s_waitcnt lgkmcnt(1)
	v_perm_b32 v46, v46, v18, s60
	v_cvt_pk_f16_f32 v18, v6, v7
	ds_read_u16 v6, v83 offset:2304
	ds_read_u16 v10, v83 offset:2448
	ds_read_u16 v7, v54 offset:2304
	ds_read_u16 v14, v28 offset:2304
	v_mfma_f32_16x16x16_f16 v[2:5], v[46:47], v[18:19], v[2:5]
	s_waitcnt lgkmcnt(2)
	v_perm_b32 v6, v10, v6, s60
	s_waitcnt lgkmcnt(0)
	v_perm_b32 v7, v14, v7, s60
	v_cvt_pk_f16_f32 v14, v11, v16
	s_nop 2
	v_cvt_f16_f32_e32 v2, v2
	v_cvt_f16_f32_e32 v3, v3
	;; [unrolled: 1-line block ×4, first 2 shown]
	v_cvt_f32_f16_e32 v2, v2
	v_cvt_f32_f16_e32 v3, v3
	;; [unrolled: 1-line block ×4, first 2 shown]
	v_cvt_pk_f16_f32 v16, v21, v22
	v_cvt_f32_f16_sdwa v49, v8 dst_sel:DWORD dst_unused:UNUSED_PAD src0_sel:WORD_1
	v_mfma_f32_16x16x16_f16 v[2:5], v[6:7], v[14:15], v[2:5]
	ds_read_u16 v6, v83 offset:4608
	ds_read_u16 v10, v83 offset:4752
	;; [unrolled: 1-line block ×4, first 2 shown]
	s_nop 3
	v_cvt_f16_f32_e32 v2, v2
	v_cvt_f16_f32_e32 v3, v3
	;; [unrolled: 1-line block ×4, first 2 shown]
	s_waitcnt lgkmcnt(0)
	v_perm_b32 v7, v11, v7, s60
	v_perm_b32 v6, v10, v6, s60
	v_cvt_f32_f16_e32 v2, v2
	v_cvt_f32_f16_e32 v3, v3
	;; [unrolled: 1-line block ×4, first 2 shown]
	s_nop 1
	v_mfma_f32_16x16x16_f16 v[2:5], v[6:7], v[16:17], v[2:5]
	ds_read_u16 v6, v83 offset:6912
	ds_read_u16 v10, v83 offset:7056
	;; [unrolled: 1-line block ×5, first 2 shown]
	s_nop 2
	v_cvt_f16_f32_e32 v2, v2
	v_cvt_f16_f32_e32 v3, v3
	;; [unrolled: 1-line block ×4, first 2 shown]
	s_waitcnt lgkmcnt(1)
	v_perm_b32 v7, v11, v7, s60
	v_perm_b32 v6, v10, v6, s60
	v_cvt_f32_f16_e32 v2, v2
	v_cvt_f32_f16_e32 v3, v3
	;; [unrolled: 1-line block ×4, first 2 shown]
	v_cvt_pk_f16_f32 v11, v58, v59
	v_cvt_pk_f16_f32 v10, v55, v57
	s_waitcnt lgkmcnt(0)
	v_perm_b32 v22, v22, v53, s60
	v_mfma_f32_16x16x16_f16 v[2:5], v[6:7], v[10:11], v[2:5]
	v_cvt_f32_f16_e32 v6, v60
	v_cvt_f32_f16_sdwa v7, v60 dst_sel:DWORD dst_unused:UNUSED_PAD src0_sel:WORD_1
	s_nop 5
	v_cvt_f16_f32_e32 v4, v4
	v_cvt_f16_f32_e32 v5, v5
	v_perm_b32 v21, v5, v4, s60
	v_cvt_f32_f16_e32 v4, v61
	v_cvt_f32_f16_sdwa v5, v61 dst_sel:DWORD dst_unused:UNUSED_PAD src0_sel:WORD_1
	s_nop 1
	v_mfma_f32_16x16x16_f16 v[4:7], v[22:23], v[18:19], v[4:7]
	ds_read_u16 v22, v83 offset:2336
	ds_read_u16 v46, v83 offset:2480
	ds_read_u16 v23, v54 offset:2336
	ds_read_u16 v47, v28 offset:2336
	s_nop 3
	v_cvt_f16_f32_e32 v4, v4
	v_cvt_f16_f32_e32 v5, v5
	v_cvt_f16_f32_e32 v6, v6
	v_cvt_f16_f32_e32 v7, v7
	s_waitcnt lgkmcnt(0)
	v_perm_b32 v23, v47, v23, s60
	v_perm_b32 v22, v46, v22, s60
	v_cvt_f32_f16_e32 v4, v4
	v_cvt_f32_f16_e32 v5, v5
	v_cvt_f32_f16_e32 v6, v6
	v_cvt_f32_f16_e32 v7, v7
	s_nop 1
	v_mfma_f32_16x16x16_f16 v[4:7], v[22:23], v[14:15], v[4:7]
	ds_read_u16 v22, v83 offset:4640
	ds_read_u16 v46, v83 offset:4784
	ds_read_u16 v23, v54 offset:4640
	ds_read_u16 v47, v28 offset:4640
	s_nop 3
	v_cvt_f16_f32_e32 v4, v4
	v_cvt_f16_f32_e32 v5, v5
	v_cvt_f16_f32_e32 v6, v6
	v_cvt_f16_f32_e32 v7, v7
	s_waitcnt lgkmcnt(0)
	v_perm_b32 v23, v47, v23, s60
	v_perm_b32 v22, v46, v22, s60
	v_cvt_f32_f16_e32 v4, v4
	v_cvt_f32_f16_e32 v5, v5
	v_cvt_f32_f16_e32 v6, v6
	v_cvt_f32_f16_e32 v7, v7
	;; [unrolled: 18-line block ×3, first 2 shown]
	v_cvt_f32_f16_e32 v46, v9
	v_cvt_f32_f16_sdwa v47, v9 dst_sel:DWORD dst_unused:UNUSED_PAD src0_sel:WORD_1
	v_mfma_f32_16x16x16_f16 v[4:7], v[22:23], v[10:11], v[4:7]
	s_nop 7
	v_cvt_f16_f32_e32 v6, v6
	v_cvt_f16_f32_e32 v7, v7
	v_perm_b32 v22, v7, v6, s60
	ds_read_u16 v6, v83 offset:64
	ds_read_u16 v23, v83 offset:208
	;; [unrolled: 1-line block ×4, first 2 shown]
	s_waitcnt lgkmcnt(2)
	v_perm_b32 v6, v23, v6, s60
	s_waitcnt lgkmcnt(0)
	v_perm_b32 v7, v53, v7, s60
	s_nop 1
	v_mfma_f32_16x16x16_f16 v[6:9], v[6:7], v[18:19], v[46:49]
	ds_read_u16 v23, v83 offset:2368
	s_nop 1
	ds_read_u16 v46, v83 offset:2512
	ds_read_u16 v47, v54 offset:2368
	;; [unrolled: 1-line block ×3, first 2 shown]
	v_cvt_f32_f16_sdwa v49, v24 dst_sel:DWORD dst_unused:UNUSED_PAD src0_sel:WORD_1
	s_nop 0
	v_cvt_f16_f32_e32 v6, v6
	v_cvt_f16_f32_e32 v7, v7
	;; [unrolled: 1-line block ×4, first 2 shown]
	s_waitcnt lgkmcnt(0)
	v_perm_b32 v47, v48, v47, s60
	v_perm_b32 v46, v46, v23, s60
	v_cvt_f32_f16_e32 v6, v6
	v_cvt_f32_f16_e32 v7, v7
	;; [unrolled: 1-line block ×4, first 2 shown]
	s_nop 1
	v_mfma_f32_16x16x16_f16 v[6:9], v[46:47], v[14:15], v[6:9]
	ds_read_u16 v23, v83 offset:4672
	ds_read_u16 v46, v83 offset:4816
	;; [unrolled: 1-line block ×4, first 2 shown]
	s_nop 3
	v_cvt_f16_f32_e32 v6, v6
	v_cvt_f16_f32_e32 v7, v7
	;; [unrolled: 1-line block ×4, first 2 shown]
	s_waitcnt lgkmcnt(0)
	v_perm_b32 v47, v48, v47, s60
	v_perm_b32 v46, v46, v23, s60
	v_cvt_f32_f16_e32 v6, v6
	v_cvt_f32_f16_e32 v7, v7
	;; [unrolled: 1-line block ×4, first 2 shown]
	s_nop 1
	v_mfma_f32_16x16x16_f16 v[6:9], v[46:47], v[16:17], v[6:9]
	ds_read_u16 v23, v83 offset:6976
	ds_read_u16 v46, v83 offset:7120
	ds_read_u16 v47, v54 offset:6976
	ds_read_u16 v48, v28 offset:6976
	s_nop 3
	v_cvt_f16_f32_e32 v6, v6
	v_cvt_f16_f32_e32 v7, v7
	;; [unrolled: 1-line block ×4, first 2 shown]
	s_waitcnt lgkmcnt(0)
	v_perm_b32 v47, v48, v47, s60
	v_perm_b32 v46, v46, v23, s60
	v_cvt_f32_f16_e32 v6, v6
	v_cvt_f32_f16_e32 v7, v7
	;; [unrolled: 1-line block ×5, first 2 shown]
	s_nop 0
	v_mfma_f32_16x16x16_f16 v[6:9], v[46:47], v[10:11], v[6:9]
	v_cvt_f32_f16_e32 v46, v25
	v_cvt_f32_f16_sdwa v47, v25 dst_sel:DWORD dst_unused:UNUSED_PAD src0_sel:WORD_1
	s_nop 5
	v_cvt_f16_f32_e32 v8, v8
	v_cvt_f16_f32_e32 v9, v9
	v_perm_b32 v23, v9, v8, s60
	ds_read_u16 v8, v83 offset:96
	ds_read_u16 v53, v83 offset:240
	;; [unrolled: 1-line block ×4, first 2 shown]
	s_waitcnt lgkmcnt(2)
	v_perm_b32 v8, v53, v8, s60
	s_waitcnt lgkmcnt(0)
	v_perm_b32 v9, v55, v9, s60
	s_nop 1
	v_mfma_f32_16x16x16_f16 v[46:49], v[8:9], v[18:19], v[46:49]
	ds_read_u16 v8, v83 offset:2400
	ds_read_u16 v25, v83 offset:2544
	;; [unrolled: 1-line block ×4, first 2 shown]
	s_nop 3
	v_cvt_f16_f32_e32 v9, v46
	v_cvt_f16_f32_e32 v18, v47
	;; [unrolled: 1-line block ×4, first 2 shown]
	v_cvt_f32_f16_e32 v46, v9
	s_waitcnt lgkmcnt(0)
	v_perm_b32 v9, v55, v53, s60
	v_perm_b32 v8, v25, v8, s60
	v_cvt_f32_f16_e32 v47, v18
	v_cvt_f32_f16_e32 v48, v19
	;; [unrolled: 1-line block ×3, first 2 shown]
	ds_read_u16 v18, v83 offset:4704
	ds_read_u16 v19, v83 offset:4848
	;; [unrolled: 1-line block ×4, first 2 shown]
	v_mfma_f32_16x16x16_f16 v[46:49], v[8:9], v[14:15], v[46:49]
	s_nop 7
	v_cvt_f16_f32_e32 v8, v46
	v_cvt_f16_f32_e32 v9, v47
	;; [unrolled: 1-line block ×4, first 2 shown]
	v_cvt_f32_f16_e32 v46, v8
	v_cvt_f32_f16_e32 v47, v9
	s_waitcnt lgkmcnt(0)
	v_perm_b32 v9, v25, v24, s60
	v_perm_b32 v8, v19, v18, s60
	v_cvt_f32_f16_e32 v48, v14
	v_cvt_f32_f16_e32 v49, v15
	s_nop 1
	v_mfma_f32_16x16x16_f16 v[14:17], v[8:9], v[16:17], v[46:49]
	ds_read_u16 v8, v83 offset:7008
	ds_read_u16 v9, v83 offset:7152
	;; [unrolled: 1-line block ×4, first 2 shown]
	s_waitcnt lgkmcnt(0)
	s_barrier
	s_nop 1
	v_cvt_f16_f32_e32 v14, v14
	v_cvt_f16_f32_e32 v15, v15
	v_cvt_f16_f32_e32 v16, v16
	v_cvt_f16_f32_e32 v17, v17
	v_perm_b32 v19, v19, v18, s60
	v_perm_b32 v18, v9, v8, s60
	v_cvt_f32_f16_e32 v14, v14
	v_cvt_f32_f16_e32 v15, v15
	;; [unrolled: 1-line block ×4, first 2 shown]
	s_nop 1
	v_mfma_f32_16x16x16_f16 v[8:11], v[18:19], v[10:11], v[14:17]
	s_nop 7
	v_cvt_f16_f32_e32 v10, v10
	v_cvt_f16_f32_e32 v11, v11
	v_perm_b32 v10, v11, v10, s60
	ds_bpermute_b32 v11, v13, v20
	s_waitcnt lgkmcnt(0)
	v_add_f32_e32 v11, v20, v11
	ds_bpermute_b32 v1, v1, v11
	s_waitcnt lgkmcnt(0)
	v_add_f32_e32 v13, v11, v1
	s_cbranch_scc1 .LBB0_59
; %bb.58:                               ;   in Loop: Header=BB0_13 Depth=1
	v_cvt_pk_f16_f32 v1, v2, v3
	v_and_b32_e32 v2, 3, v0
	v_lshlrev_b32_e32 v2, 2, v2
	v_cvt_pk_f16_f32 v3, v4, v5
	global_load_dword v4, v2, s[72:73]
	v_cvt_pk_f16_f32 v5, v6, v7
	v_max_f32_e32 v7, v12, v12
	v_cvt_pk_f16_f32 v6, v8, v9
	s_waitcnt vmcnt(0)
	v_max_f32_e32 v2, v4, v4
	v_max_f32_e32 v2, v7, v2
	v_sub_f32_e32 v7, v12, v2
	v_mul_f32_e32 v8, 0x3fb8aa3b, v7
	v_fma_f32 v9, v7, s41, -v8
	v_rndne_f32_e32 v11, v8
	v_fmac_f32_e32 v9, 0x32a5705f, v7
	v_sub_f32_e32 v8, v8, v11
	v_add_f32_e32 v8, v8, v9
	v_exp_f32_e32 v8, v8
	v_cvt_i32_f32_e32 v9, v11
	v_cmp_ngt_f32_e32 vcc, s98, v7
	v_ldexp_f32 v8, v8, v9
	s_nop 0
	v_cndmask_b32_e32 v8, 0, v8, vcc
	v_cmp_nlt_f32_e32 vcc, s58, v7
	s_nop 1
	v_cndmask_b32_e32 v8, v126, v8, vcc
	v_cmp_le_f32_e32 vcc, s59, v7
	s_nop 1
	v_cndmask_b32_e32 v7, 0, v8, vcc
	v_sub_f32_e32 v8, v4, v2
	v_cvt_f16_f32_e32 v4, v7
	v_cmp_ngt_f32_e32 vcc, s98, v8
	v_mul_u32_u24_e32 v9, 0x10001, v4
	v_pk_mul_f16 v4, v3, v9
	v_mul_f32_e32 v3, 0x3fb8aa3b, v8
	v_pk_mul_f16 v1, v1, v9
	v_pk_mul_f16 v21, v21, v9
	;; [unrolled: 1-line block ×7, first 2 shown]
	v_fma_f32 v9, v8, s41, -v3
	v_rndne_f32_e32 v11, v3
	v_fmac_f32_e32 v9, 0x32a5705f, v8
	v_sub_f32_e32 v3, v3, v11
	v_add_f32_e32 v3, v3, v9
	v_exp_f32_e32 v3, v3
	v_cvt_i32_f32_e32 v9, v11
	v_ldexp_f32 v3, v3, v9
	v_cndmask_b32_e32 v3, 0, v3, vcc
	v_cmp_nlt_f32_e32 vcc, s58, v8
	s_nop 1
	v_cndmask_b32_e32 v3, v126, v3, vcc
	v_fmac_f32_e32 v3, v13, v7
	v_mov_b64_e32 v[12:13], v[2:3]
	s_branch .LBB0_60
.LBB0_59:                               ;   in Loop: Header=BB0_13 Depth=1
	v_cvt_f16_f32_e32 v1, v2
	v_cvt_f16_f32_e32 v2, v3
	;; [unrolled: 1-line block ×8, first 2 shown]
	v_perm_b32 v1, v2, v1, s60
	v_perm_b32 v4, v4, v3, s60
	;; [unrolled: 1-line block ×4, first 2 shown]
.LBB0_60:                               ;   in Loop: Header=BB0_13 Depth=1
	s_barrier
	s_mov_b64 s[4:5], exec
	v_readlane_b32 s6, v127, 20
	v_readlane_b32 s7, v127, 21
	s_and_b64 s[6:7], s[4:5], s[6:7]
	s_mov_b64 exec, s[6:7]
	s_cbranch_execz .LBB0_62
; %bb.61:                               ;   in Loop: Header=BB0_13 Depth=1
	scratch_load_dwordx2 v[2:3], off, off   ; 8-byte Folded Reload
	s_waitcnt vmcnt(0)
	global_store_dwordx2 v[2:3], v[12:13], off
.LBB0_62:                               ;   in Loop: Header=BB0_13 Depth=1
	s_or_b64 exec, exec, s[4:5]
	v_add_u32_e32 v2, v78, v92
	v_cmp_gt_i32_e64 s[4:5], s24, v107
	v_cmp_gt_i32_e64 s[6:7], s33, v51
	ds_write2_b32 v2, v1, v21 offset1:1
	ds_write2_b32 v2, v4, v22 offset0:8 offset1:9
	ds_write2_b32 v2, v5, v23 offset0:16 offset1:17
	;; [unrolled: 1-line block ×3, first 2 shown]
	v_cmp_le_i32_e32 vcc, s33, v51
	s_and_b64 s[6:7], s[4:5], s[6:7]
	v_mov_b32_e32 v1, 50
	s_waitcnt lgkmcnt(0)
	s_barrier
	s_and_saveexec_b64 s[4:5], s[6:7]
	s_cbranch_execz .LBB0_64
; %bb.63:                               ;   in Loop: Header=BB0_13 Depth=1
	v_add_u32_e32 v1, v31, v115
	ds_read_b32 v1, v1
	v_mad_u64_u32 v[2:3], s[6:7], v107, s25, v[40:41]
	v_lshl_or_b32 v2, v2, 5, v26
	v_ashrrev_i32_e32 v3, 31, v2
	s_waitcnt lgkmcnt(0)
	v_cvt_f32_f16_e32 v4, v1
	v_cvt_f32_f16_sdwa v5, v1 dst_sel:DWORD dst_unused:UNUSED_PAD src0_sel:WORD_1
	v_lshl_add_u64 v[2:3], v[2:3], 3, s[70:71]
	v_mov_b32_e32 v1, 0
	v_pk_add_f32 v[4:5], v[4:5], 0 op_sel_hi:[1,0]
	global_store_dwordx2 v[2:3], v[4:5], off
.LBB0_64:                               ;   in Loop: Header=BB0_13 Depth=1
	s_or_b64 exec, exec, s[4:5]
	v_cmp_gt_i32_e64 s[4:5], 50, v1
	s_mov_b64 s[84:85], -1
	s_and_saveexec_b64 s[6:7], s[4:5]
; %bb.65:                               ;   in Loop: Header=BB0_13 Depth=1
	v_cmp_eq_u32_e64 s[4:5], 0, v1
	s_orn2_b64 s[84:85], s[4:5], exec
; %bb.66:                               ;   in Loop: Header=BB0_13 Depth=1
	s_or_b64 exec, exec, s[6:7]
	s_mov_b64 s[80:81], 0
	s_mov_b64 s[6:7], 0
                                        ; implicit-def: $vgpr4_vgpr5
                                        ; implicit-def: $vgpr2
	s_and_saveexec_b64 s[82:83], s[84:85]
	s_cbranch_execz .LBB0_106
; %bb.67:                               ;   in Loop: Header=BB0_13 Depth=1
	v_cmp_gt_i32_e64 s[4:5], s24, v106
	s_xor_b64 s[84:85], vcc, -1
	s_and_b64 s[6:7], s[4:5], s[84:85]
	v_mov_b32_e32 v1, 50
	s_and_saveexec_b64 s[4:5], s[6:7]
	s_cbranch_execz .LBB0_69
; %bb.68:                               ;   in Loop: Header=BB0_13 Depth=1
	v_add_u32_e32 v1, v31, v115
	ds_read_b32 v1, v1 offset:1152
	v_mad_u64_u32 v[2:3], s[6:7], v106, s25, v[40:41]
	v_lshl_or_b32 v2, v2, 5, v26
	v_ashrrev_i32_e32 v3, 31, v2
	s_waitcnt lgkmcnt(0)
	v_cvt_f32_f16_e32 v4, v1
	v_cvt_f32_f16_sdwa v5, v1 dst_sel:DWORD dst_unused:UNUSED_PAD src0_sel:WORD_1
	v_lshl_add_u64 v[2:3], v[2:3], 3, s[70:71]
	v_mov_b32_e32 v1, 0
	v_pk_add_f32 v[4:5], v[4:5], 0 op_sel_hi:[1,0]
	global_store_dwordx2 v[2:3], v[4:5], off
.LBB0_69:                               ;   in Loop: Header=BB0_13 Depth=1
	s_or_b64 exec, exec, s[4:5]
	v_cmp_gt_i32_e32 vcc, 50, v1
	s_mov_b64 s[86:87], -1
	s_and_saveexec_b64 s[4:5], vcc
; %bb.70:                               ;   in Loop: Header=BB0_13 Depth=1
	v_cmp_eq_u32_e32 vcc, 0, v1
	s_orn2_b64 s[86:87], vcc, exec
; %bb.71:                               ;   in Loop: Header=BB0_13 Depth=1
	s_or_b64 exec, exec, s[4:5]
	s_mov_b64 s[6:7], 0
                                        ; implicit-def: $vgpr4_vgpr5
                                        ; implicit-def: $vgpr2
	s_and_saveexec_b64 s[4:5], s[86:87]
	s_cbranch_execz .LBB0_105
; %bb.72:                               ;   in Loop: Header=BB0_13 Depth=1
	v_cmp_gt_i32_e32 vcc, s24, v104
	s_and_b64 s[86:87], vcc, s[84:85]
	v_mov_b32_e32 v1, 50
	s_and_saveexec_b64 s[6:7], s[86:87]
	s_cbranch_execz .LBB0_74
; %bb.73:                               ;   in Loop: Header=BB0_13 Depth=1
	scratch_load_dword v1, off, off offset:60 ; 4-byte Folded Reload
	v_mad_u64_u32 v[2:3], s[86:87], v104, s25, v[40:41]
	v_lshl_or_b32 v2, v2, 5, v26
	v_ashrrev_i32_e32 v3, 31, v2
	v_lshl_add_u64 v[2:3], v[2:3], 3, s[70:71]
	s_waitcnt vmcnt(0)
	ds_read_b32 v1, v1
	s_waitcnt lgkmcnt(0)
	v_cvt_f32_f16_e32 v4, v1
	v_cvt_f32_f16_sdwa v5, v1 dst_sel:DWORD dst_unused:UNUSED_PAD src0_sel:WORD_1
	v_mov_b32_e32 v1, 0
	v_pk_add_f32 v[4:5], v[4:5], 0 op_sel_hi:[1,0]
	global_store_dwordx2 v[2:3], v[4:5], off
.LBB0_74:                               ;   in Loop: Header=BB0_13 Depth=1
	s_or_b64 exec, exec, s[6:7]
	v_cmp_gt_i32_e32 vcc, 50, v1
	s_mov_b64 s[88:89], -1
	s_and_saveexec_b64 s[6:7], vcc
; %bb.75:                               ;   in Loop: Header=BB0_13 Depth=1
	v_cmp_eq_u32_e32 vcc, 0, v1
	s_orn2_b64 s[88:89], vcc, exec
; %bb.76:                               ;   in Loop: Header=BB0_13 Depth=1
	s_or_b64 exec, exec, s[6:7]
	s_mov_b64 s[86:87], 0
                                        ; implicit-def: $vgpr4_vgpr5
                                        ; implicit-def: $vgpr2
	s_and_saveexec_b64 s[6:7], s[88:89]
	s_cbranch_execz .LBB0_104
; %bb.77:                               ;   in Loop: Header=BB0_13 Depth=1
	v_cmp_gt_i32_e32 vcc, s24, v103
	s_and_b64 s[88:89], vcc, s[84:85]
	v_mov_b32_e32 v1, 50
	s_and_saveexec_b64 s[86:87], s[88:89]
	s_cbranch_execz .LBB0_79
; %bb.78:                               ;   in Loop: Header=BB0_13 Depth=1
	v_add_u32_e32 v1, v31, v115
	ds_read_b32 v1, v1 offset:3456
	v_mad_u64_u32 v[2:3], s[88:89], v103, s25, v[40:41]
	v_lshl_or_b32 v2, v2, 5, v26
	v_ashrrev_i32_e32 v3, 31, v2
	s_waitcnt lgkmcnt(0)
	v_cvt_f32_f16_e32 v4, v1
	v_cvt_f32_f16_sdwa v5, v1 dst_sel:DWORD dst_unused:UNUSED_PAD src0_sel:WORD_1
	v_lshl_add_u64 v[2:3], v[2:3], 3, s[70:71]
	v_mov_b32_e32 v1, 0
	v_pk_add_f32 v[4:5], v[4:5], 0 op_sel_hi:[1,0]
	global_store_dwordx2 v[2:3], v[4:5], off
.LBB0_79:                               ;   in Loop: Header=BB0_13 Depth=1
	s_or_b64 exec, exec, s[86:87]
	v_cmp_gt_i32_e32 vcc, 50, v1
	s_mov_b64 s[90:91], -1
	s_and_saveexec_b64 s[86:87], vcc
; %bb.80:                               ;   in Loop: Header=BB0_13 Depth=1
	v_cmp_eq_u32_e32 vcc, 0, v1
	s_orn2_b64 s[90:91], vcc, exec
; %bb.81:                               ;   in Loop: Header=BB0_13 Depth=1
	s_or_b64 exec, exec, s[86:87]
	s_mov_b64 s[88:89], 0
                                        ; implicit-def: $vgpr4_vgpr5
                                        ; implicit-def: $vgpr2
	s_and_saveexec_b64 s[86:87], s[90:91]
	s_cbranch_execz .LBB0_103
; %bb.82:                               ;   in Loop: Header=BB0_13 Depth=1
	v_cmp_gt_i32_e32 vcc, s24, v75
	s_and_b64 s[90:91], vcc, s[84:85]
	v_mov_b32_e32 v1, 50
	s_and_saveexec_b64 s[88:89], s[90:91]
	s_cbranch_execz .LBB0_84
; %bb.83:                               ;   in Loop: Header=BB0_13 Depth=1
	scratch_load_dword v1, off, off offset:76 ; 4-byte Folded Reload
	v_mad_u64_u32 v[2:3], s[90:91], v75, s25, v[40:41]
	v_lshl_or_b32 v2, v2, 5, v26
	v_ashrrev_i32_e32 v3, 31, v2
	v_lshl_add_u64 v[2:3], v[2:3], 3, s[70:71]
	s_waitcnt vmcnt(0)
	ds_read_b32 v1, v1
	s_waitcnt lgkmcnt(0)
	v_cvt_f32_f16_e32 v4, v1
	v_cvt_f32_f16_sdwa v5, v1 dst_sel:DWORD dst_unused:UNUSED_PAD src0_sel:WORD_1
	v_mov_b32_e32 v1, 0
	v_pk_add_f32 v[4:5], v[4:5], 0 op_sel_hi:[1,0]
	global_store_dwordx2 v[2:3], v[4:5], off
.LBB0_84:                               ;   in Loop: Header=BB0_13 Depth=1
	s_or_b64 exec, exec, s[88:89]
	v_cmp_gt_i32_e32 vcc, 50, v1
	s_mov_b64 s[92:93], -1
	s_and_saveexec_b64 s[88:89], vcc
; %bb.85:                               ;   in Loop: Header=BB0_13 Depth=1
	v_cmp_eq_u32_e32 vcc, 0, v1
	s_orn2_b64 s[92:93], vcc, exec
; %bb.86:                               ;   in Loop: Header=BB0_13 Depth=1
	s_or_b64 exec, exec, s[88:89]
	s_mov_b64 s[90:91], 0
                                        ; implicit-def: $vgpr4_vgpr5
                                        ; implicit-def: $vgpr2
	s_and_saveexec_b64 s[88:89], s[92:93]
	s_cbranch_execz .LBB0_102
; %bb.87:                               ;   in Loop: Header=BB0_13 Depth=1
	v_cmp_gt_i32_e32 vcc, s24, v74
	s_and_b64 s[92:93], vcc, s[84:85]
	v_mov_b32_e32 v1, 50
	s_and_saveexec_b64 s[90:91], s[92:93]
	s_cbranch_execz .LBB0_89
; %bb.88:                               ;   in Loop: Header=BB0_13 Depth=1
	v_add_u32_e32 v1, v31, v115
	ds_read_b32 v1, v1 offset:5760
	v_mad_u64_u32 v[2:3], s[92:93], v74, s25, v[40:41]
	v_lshl_or_b32 v2, v2, 5, v26
	v_ashrrev_i32_e32 v3, 31, v2
	s_waitcnt lgkmcnt(0)
	v_cvt_f32_f16_e32 v4, v1
	v_cvt_f32_f16_sdwa v5, v1 dst_sel:DWORD dst_unused:UNUSED_PAD src0_sel:WORD_1
	v_lshl_add_u64 v[2:3], v[2:3], 3, s[70:71]
	v_mov_b32_e32 v1, 0
	v_pk_add_f32 v[4:5], v[4:5], 0 op_sel_hi:[1,0]
	global_store_dwordx2 v[2:3], v[4:5], off
.LBB0_89:                               ;   in Loop: Header=BB0_13 Depth=1
	s_or_b64 exec, exec, s[90:91]
	v_cmp_gt_i32_e32 vcc, 50, v1
	s_mov_b64 s[94:95], -1
	s_and_saveexec_b64 s[90:91], vcc
; %bb.90:                               ;   in Loop: Header=BB0_13 Depth=1
	v_cmp_eq_u32_e32 vcc, 0, v1
	s_orn2_b64 s[94:95], vcc, exec
; %bb.91:                               ;   in Loop: Header=BB0_13 Depth=1
	s_or_b64 exec, exec, s[90:91]
	s_mov_b64 s[92:93], 0
                                        ; implicit-def: $vgpr4_vgpr5
                                        ; implicit-def: $vgpr2
	s_and_saveexec_b64 s[90:91], s[94:95]
	s_cbranch_execz .LBB0_101
; %bb.92:                               ;   in Loop: Header=BB0_13 Depth=1
	v_cmp_gt_i32_e32 vcc, s24, v73
	s_and_b64 s[94:95], vcc, s[84:85]
	v_mov_b32_e32 v1, 50
	s_and_saveexec_b64 s[92:93], s[94:95]
	s_cbranch_execz .LBB0_94
; %bb.93:                               ;   in Loop: Header=BB0_13 Depth=1
	scratch_load_dword v1, off, off offset:92 ; 4-byte Folded Reload
	v_mad_u64_u32 v[2:3], s[94:95], v73, s25, v[40:41]
	v_lshl_or_b32 v2, v2, 5, v26
	v_ashrrev_i32_e32 v3, 31, v2
	v_lshl_add_u64 v[2:3], v[2:3], 3, s[70:71]
	s_waitcnt vmcnt(0)
	ds_read_b32 v1, v1
	s_waitcnt lgkmcnt(0)
	v_cvt_f32_f16_e32 v4, v1
	v_cvt_f32_f16_sdwa v5, v1 dst_sel:DWORD dst_unused:UNUSED_PAD src0_sel:WORD_1
	v_mov_b32_e32 v1, 0
	v_pk_add_f32 v[4:5], v[4:5], 0 op_sel_hi:[1,0]
	global_store_dwordx2 v[2:3], v[4:5], off
.LBB0_94:                               ;   in Loop: Header=BB0_13 Depth=1
	s_or_b64 exec, exec, s[92:93]
	v_cmp_gt_i32_e32 vcc, 50, v1
	s_mov_b64 s[96:97], -1
	s_and_saveexec_b64 s[92:93], vcc
; %bb.95:                               ;   in Loop: Header=BB0_13 Depth=1
	v_cmp_eq_u32_e32 vcc, 0, v1
	s_orn2_b64 s[96:97], vcc, exec
; %bb.96:                               ;   in Loop: Header=BB0_13 Depth=1
	s_or_b64 exec, exec, s[92:93]
	s_mov_b64 s[94:95], 0
                                        ; implicit-def: $vgpr4_vgpr5
                                        ; implicit-def: $vgpr2
	s_and_saveexec_b64 s[92:93], s[96:97]
	s_cbranch_execz .LBB0_100
; %bb.97:                               ;   in Loop: Header=BB0_13 Depth=1
	v_cmp_gt_i32_e32 vcc, s24, v72
	s_and_b64 s[94:95], vcc, s[84:85]
	s_mov_b64 s[84:85], 0
                                        ; implicit-def: $vgpr4_vgpr5
                                        ; implicit-def: $vgpr2
	s_and_saveexec_b64 s[96:97], s[94:95]
	s_xor_b64 s[94:95], exec, s[96:97]
	s_cbranch_execz .LBB0_99
; %bb.98:                               ;   in Loop: Header=BB0_13 Depth=1
	v_add_u32_e32 v1, v31, v115
	ds_read_b32 v1, v1 offset:8064
	v_mad_u64_u32 v[2:3], s[84:85], v72, s25, v[40:41]
	s_mov_b64 s[84:85], exec
	s_waitcnt lgkmcnt(0)
	v_cvt_f32_f16_e32 v4, v1
	v_cvt_f32_f16_sdwa v5, v1 dst_sel:DWORD dst_unused:UNUSED_PAD src0_sel:WORD_1
	v_pk_add_f32 v[4:5], v[4:5], 0 op_sel_hi:[1,0]
.LBB0_99:                               ;   in Loop: Header=BB0_13 Depth=1
	s_or_b64 exec, exec, s[94:95]
	s_and_b64 s[94:95], s[84:85], exec
.LBB0_100:                              ;   in Loop: Header=BB0_13 Depth=1
	s_or_b64 exec, exec, s[92:93]
	s_and_b64 s[92:93], s[94:95], exec
.LBB0_101:                              ;   in Loop: Header=BB0_13 Depth=1
	s_or_b64 exec, exec, s[90:91]
	s_and_b64 s[90:91], s[92:93], exec
.LBB0_102:                              ;   in Loop: Header=BB0_13 Depth=1
	s_or_b64 exec, exec, s[88:89]
	s_and_b64 s[88:89], s[90:91], exec
.LBB0_103:                              ;   in Loop: Header=BB0_13 Depth=1
	s_or_b64 exec, exec, s[86:87]
	s_and_b64 s[86:87], s[88:89], exec
.LBB0_104:                              ;   in Loop: Header=BB0_13 Depth=1
	s_or_b64 exec, exec, s[6:7]
	s_and_b64 s[6:7], s[86:87], exec
.LBB0_105:                              ;   in Loop: Header=BB0_13 Depth=1
	s_or_b64 exec, exec, s[4:5]
	s_and_b64 s[6:7], s[6:7], exec
.LBB0_106:                              ;   in Loop: Header=BB0_13 Depth=1
	s_or_b64 exec, exec, s[82:83]
	s_and_b64 vcc, exec, s[80:81]
	s_cbranch_vccz .LBB0_55
.LBB0_107:                              ;   in Loop: Header=BB0_13 Depth=1
	s_lshl_b32 s54, s54, 4
	v_add_u32_e32 v104, s54, v122
	v_cmp_gt_i32_e64 s[4:5], s24, v104
	v_cmp_gt_i32_e32 vcc, s33, v51
	s_and_b64 s[92:93], s[4:5], vcc
	s_xor_b64 s[4:5], s[92:93], -1
	s_and_saveexec_b64 s[80:81], s[4:5]
	s_xor_b64 s[4:5], exec, s[80:81]
; %bb.108:                              ;   in Loop: Header=BB0_13 Depth=1
	v_add_u32_e32 v1, v31, v115
	ds_write_b32 v1, v29
; %bb.109:                              ;   in Loop: Header=BB0_13 Depth=1
	s_andn2_saveexec_b64 s[4:5], s[4:5]
	s_cbranch_execz .LBB0_111
; %bb.110:                              ;   in Loop: Header=BB0_13 Depth=1
	v_mad_u64_u32 v[2:3], s[80:81], v104, s51, v[50:51]
	v_ashrrev_i32_e32 v3, 31, v2
	v_lshl_add_u64 v[2:3], v[2:3], 3, s[78:79]
	global_load_dwordx2 v[2:3], v[2:3], off
	s_waitcnt vmcnt(0)
	v_cvt_pk_f16_f32 v1, v2, v3
	v_pk_mul_f16 v1, v1, v114
	v_add_u32_e32 v2, v31, v115
	ds_write_b32 v2, v1
.LBB0_111:                              ;   in Loop: Header=BB0_13 Depth=1
	s_or_b64 exec, exec, s[4:5]
	v_add_u32_e32 v111, s54, v123
	v_cmp_gt_i32_e64 s[4:5], s24, v111
	s_and_b64 s[90:91], s[4:5], vcc
	s_xor_b64 s[4:5], s[90:91], -1
	s_and_saveexec_b64 s[80:81], s[4:5]
	s_xor_b64 s[4:5], exec, s[80:81]
; %bb.112:                              ;   in Loop: Header=BB0_13 Depth=1
	v_add_u32_e32 v1, v31, v115
	ds_write_b32 v1, v29 offset:1152
; %bb.113:                              ;   in Loop: Header=BB0_13 Depth=1
	s_andn2_saveexec_b64 s[4:5], s[4:5]
	s_cbranch_execz .LBB0_115
; %bb.114:                              ;   in Loop: Header=BB0_13 Depth=1
	v_mad_u64_u32 v[2:3], s[80:81], v111, s51, v[50:51]
	v_ashrrev_i32_e32 v3, 31, v2
	v_lshl_add_u64 v[2:3], v[2:3], 3, s[78:79]
	global_load_dwordx2 v[2:3], v[2:3], off
	s_waitcnt vmcnt(0)
	v_cvt_pk_f16_f32 v1, v2, v3
	v_pk_mul_f16 v1, v1, v114
	v_add_u32_e32 v2, v31, v115
	ds_write_b32 v2, v1 offset:1152
.LBB0_115:                              ;   in Loop: Header=BB0_13 Depth=1
	s_or_b64 exec, exec, s[4:5]
	v_add_u32_e32 v106, s54, v86
	v_cmp_gt_i32_e64 s[4:5], s24, v106
	s_and_b64 s[88:89], s[4:5], vcc
	s_xor_b64 s[4:5], s[88:89], -1
	s_and_saveexec_b64 s[80:81], s[4:5]
	s_xor_b64 s[4:5], exec, s[80:81]
; %bb.116:                              ;   in Loop: Header=BB0_13 Depth=1
	v_add_u32_e32 v1, v31, v115
	ds_write_b32 v1, v29 offset:2304
; %bb.117:                              ;   in Loop: Header=BB0_13 Depth=1
	s_andn2_saveexec_b64 s[4:5], s[4:5]
	s_cbranch_execz .LBB0_119
; %bb.118:                              ;   in Loop: Header=BB0_13 Depth=1
	v_mad_u64_u32 v[2:3], s[80:81], v106, s51, v[50:51]
	v_ashrrev_i32_e32 v3, 31, v2
	v_lshl_add_u64 v[2:3], v[2:3], 3, s[78:79]
	global_load_dwordx2 v[2:3], v[2:3], off
	s_waitcnt vmcnt(0)
	v_cvt_pk_f16_f32 v1, v2, v3
	v_pk_mul_f16 v1, v1, v114
	v_add_u32_e32 v2, v31, v115
	ds_write_b32 v2, v1 offset:2304
.LBB0_119:                              ;   in Loop: Header=BB0_13 Depth=1
	;; [unrolled: 24-line block ×7, first 2 shown]
	s_or_b64 exec, exec, s[94:95]
	s_waitcnt lgkmcnt(0)
	s_barrier
	ds_read2_b64 v[6:9], v45 offset1:4
	ds_read2_b64 v[2:5], v45 offset0:8 offset1:12
	s_cmp_gt_i32 s0, 1
	s_mov_b64 s[78:79], -1
	s_waitcnt lgkmcnt(0)
	s_barrier
                                        ; implicit-def: $vgpr10_vgpr11
                                        ; implicit-def: $vgpr12_vgpr13
                                        ; implicit-def: $vgpr99
                                        ; implicit-def: $vgpr102
                                        ; implicit-def: $vgpr110
                                        ; implicit-def: $vgpr100
	s_cbranch_scc1 .LBB0_141
; %bb.140:                              ;   in Loop: Header=BB0_13 Depth=1
	v_add_u32_e32 v1, s54, v27
	v_mul_hi_u32 v10, s38, v1
	v_add_u32_e32 v10, v1, v10
	v_lshrrev_b32_e32 v10, s39, v10
	v_mul_lo_u32 v10, v10, s24
	v_sub_u32_e32 v1, v1, v10
	v_mad_i64_i32 v[10:11], s[78:79], v1, s40, 0
	v_add_u32_e32 v1, s54, v116
	v_mul_hi_u32 v12, s38, v1
	v_add_u32_e32 v12, v1, v12
	v_lshrrev_b32_e32 v12, s39, v12
	v_mul_lo_u32 v12, v12, s24
	v_sub_u32_e32 v1, v1, v12
	v_mbcnt_hi_u32_b32 v99, -1, v124
	v_mad_i64_i32 v[12:13], s[78:79], v1, s40, 0
	v_and_b32_e32 v1, 64, v99
	v_add_u32_e32 v102, 64, v1
	v_xor_b32_e32 v110, 32, v99
	v_xor_b32_e32 v100, 16, v99
	s_mov_b64 s[78:79], 0
.LBB0_141:                              ;   in Loop: Header=BB0_13 Depth=1
	s_andn2_b64 vcc, exec, s[78:79]
	s_cbranch_vccnz .LBB0_145
; %bb.142:                              ;   in Loop: Header=BB0_13 Depth=1
	scratch_load_dwordx2 v[14:15], off, off offset:12 ; 8-byte Folded Reload
	v_add_u32_e32 v1, s54, v27
	v_mul_hi_u32 v10, s38, v1
	v_add_u32_e32 v10, v1, v10
	v_lshrrev_b32_e32 v10, s39, v10
	v_mul_lo_u32 v10, v10, s24
	v_sub_u32_e32 v28, v1, v10
	v_add_u32_e32 v1, s54, v116
	v_mul_hi_u32 v10, s38, v1
	v_add_u32_e32 v10, v1, v10
	v_lshrrev_b32_e32 v10, s39, v10
	v_mul_lo_u32 v10, v10, s24
	v_sub_u32_e32 v62, v1, v10
	v_mov_b64_e32 v[10:11], s[76:77]
	v_readlane_b32 s76, v127, 29
	v_readlane_b32 s77, v127, 30
	s_mov_b32 s54, s76
	v_mad_i64_i32 v[12:13], s[76:77], s54, v28, v[10:11]
	v_mad_i64_i32 v[10:11], s[76:77], s54, v62, v[10:11]
	s_add_i32 s0, s0, -1
	s_add_u32 s48, s46, s48
	s_addc_u32 s49, s56, s49
	v_mbcnt_hi_u32_b32 v99, -1, v124
	v_and_b32_e32 v1, 64, v99
	v_add_u32_e32 v102, 64, v1
	v_xor_b32_e32 v110, 32, v99
	v_cmp_lt_i32_e32 vcc, v110, v102
	v_xor_b32_e32 v100, 16, v99
	v_mov_b32_e32 v95, 0
	v_cndmask_b32_e32 v1, v99, v110, vcc
	v_cmp_lt_i32_e32 vcc, v100, v102
	v_lshlrev_b32_e32 v105, 2, v1
	v_mov_b32_e32 v22, 0xfeffffff
	v_cndmask_b32_e32 v1, v99, v100, vcc
	v_lshlrev_b32_e32 v101, 2, v1
	v_mov_b32_e32 v23, 0
	v_mov_b32_e32 v112, 0
	;; [unrolled: 1-line block ×8, first 2 shown]
	s_waitcnt vmcnt(0)
	v_lshl_add_u64 v[66:67], v[14:15], 0, v[10:11]
	scratch_load_dwordx2 v[10:11], off, off offset:24 ; 8-byte Folded Reload
	v_lshl_add_u64 v[64:65], v[14:15], 0, v[12:13]
	s_waitcnt vmcnt(0)
	v_lshl_add_u64 v[68:69], v[10:11], 0, s[48:49]
	scratch_load_dwordx2 v[10:11], off, off offset:32 ; 8-byte Folded Reload
	s_waitcnt vmcnt(0)
	v_lshl_add_u64 v[70:71], v[10:11], 0, s[48:49]
	scratch_load_dwordx2 v[10:11], off, off offset:40 ; 8-byte Folded Reload
	s_add_u32 s48, s99, s52
	s_addc_u32 s49, s1, s53
	s_mov_b32 s1, s0
	s_waitcnt vmcnt(0)
	v_lshl_add_u64 v[72:73], v[10:11], 0, s[48:49]
	scratch_load_dwordx2 v[10:11], off, off offset:48 ; 8-byte Folded Reload
	s_waitcnt vmcnt(0)
	v_lshl_add_u64 v[74:75], v[10:11], 0, s[48:49]
.LBB0_143:                              ;   Parent Loop BB0_13 Depth=1
                                        ; =>  This Inner Loop Header: Depth=2
	global_load_dword v10, v[64:65], off
	v_add_u32_e32 v11, v117, v115
	s_nop 2
	v_lshl_add_u64 v[14:15], v[74:75], 0, v[42:43]
	v_add_u32_e32 v18, 0x800, v79
	v_mov_b32_e32 v56, v22
	v_mov_b32_e32 v55, v23
	v_add_u32_e32 v46, 0x1000, v79
	s_add_i32 s1, s1, -1
	v_lshl_add_u64 v[64:65], v[64:65], 0, s[68:69]
	v_lshl_add_u64 v[74:75], v[74:75], 0, s[66:67]
	s_cmp_lg_u32 s1, 0
	s_waitcnt vmcnt(0)
	ds_write_b32 v11, v10 offset:9216
	global_load_dword v10, v[66:67], off
	v_lshl_add_u64 v[66:67], v[66:67], 0, s[68:69]
	s_waitcnt vmcnt(0)
	ds_write_b32 v11, v10 offset:10368
	v_lshl_add_u64 v[10:11], v[72:73], 0, v[42:43]
	global_load_dwordx4 v[10:13], v[10:11], off
	v_lshl_add_u64 v[72:73], v[72:73], 0, s[66:67]
	s_waitcnt vmcnt(0)
	ds_write_b128 v77, v[10:13]
	global_load_dwordx4 v[10:13], v[14:15], off
	s_waitcnt vmcnt(0)
	ds_write_b128 v118, v[10:13]
	s_waitcnt lgkmcnt(0)
	s_barrier
	ds_read2_b64 v[10:13], v79 offset1:4
	s_waitcnt lgkmcnt(0)
	v_mfma_f32_16x16x16_f16 v[14:17], v[10:11], v[6:7], 0
	v_mfma_f32_16x16x16_f16 v[10:13], v[12:13], v[8:9], v[14:17]
	s_nop 6
	ds_read2_b64 v[14:17], v79 offset0:8 offset1:12
	s_waitcnt lgkmcnt(0)
	v_mfma_f32_16x16x16_f16 v[10:13], v[14:15], v[2:3], v[10:13]
	v_mfma_f32_16x16x16_f16 v[22:25], v[16:17], v[4:5], v[10:13]
	s_nop 6
	ds_read2_b64 v[10:13], v18 offset0:32 offset1:36
	;; [unrolled: 5-line block ×5, first 2 shown]
	s_waitcnt lgkmcnt(0)
	v_mfma_f32_16x16x16_f16 v[10:13], v[14:15], v[2:3], v[10:13]
	v_add_u32_e32 v46, 0x1800, v79
	v_mfma_f32_16x16x16_f16 v[14:17], v[16:17], v[4:5], v[10:13]
	s_nop 5
	ds_read2_b64 v[10:13], v46 offset0:96 offset1:100
	s_waitcnt lgkmcnt(0)
	v_mfma_f32_16x16x16_f16 v[58:61], v[10:11], v[6:7], 0
	v_mfma_f32_16x16x16_f16 v[10:13], v[12:13], v[8:9], v[58:61]
	s_nop 6
	ds_read2_b64 v[58:61], v46 offset0:104 offset1:108
	s_waitcnt lgkmcnt(0)
	s_barrier
	ds_read_b32 v46, v80 offset:9216
	v_mfma_f32_16x16x16_f16 v[10:13], v[58:59], v[2:3], v[10:13]
	s_waitcnt lgkmcnt(0)
	v_cvt_f32_f16_e32 v47, v46
	v_cvt_f32_f16_sdwa v46, v46 dst_sel:DWORD dst_unused:UNUSED_PAD src0_sel:WORD_1
	v_add_f32_e32 v47, v22, v47
	ds_read_b32 v22, v81 offset:9216
	v_add_f32_e32 v46, v23, v46
	v_mfma_f32_16x16x16_f16 v[10:13], v[60:61], v[4:5], v[10:13]
	s_waitcnt lgkmcnt(0)
	v_cvt_f32_f16_e32 v23, v22
	v_cvt_f32_f16_sdwa v22, v22 dst_sel:DWORD dst_unused:UNUSED_PAD src0_sel:WORD_1
	v_add_f32_e32 v24, v24, v23
	v_add_f32_e32 v25, v25, v22
	v_add_u32_e32 v22, 0x2400, v119
	ds_read2_b32 v[22:23], v22 offset1:1
	s_waitcnt lgkmcnt(0)
	v_cvt_f32_f16_e32 v48, v22
	v_cvt_f32_f16_sdwa v22, v22 dst_sel:DWORD dst_unused:UNUSED_PAD src0_sel:WORD_1
	v_add_f32_e32 v48, v18, v48
	v_cvt_f32_f16_e32 v18, v23
	v_add_f32_e32 v49, v19, v22
	v_cvt_f32_f16_sdwa v19, v23 dst_sel:DWORD dst_unused:UNUSED_PAD src0_sel:WORD_1
	v_add_f32_e32 v20, v20, v18
	v_add_u32_e32 v18, 0x2400, v120
	v_add_f32_e32 v21, v21, v19
	ds_read2_b32 v[18:19], v18 offset1:1
	s_waitcnt lgkmcnt(0)
	v_cvt_f32_f16_e32 v22, v18
	v_cvt_f32_f16_sdwa v18, v18 dst_sel:DWORD dst_unused:UNUSED_PAD src0_sel:WORD_1
	v_add_f32_e32 v23, v14, v22
	v_cvt_f32_f16_e32 v14, v19
	v_add_f32_e32 v53, v15, v18
	v_cvt_f32_f16_sdwa v15, v19 dst_sel:DWORD dst_unused:UNUSED_PAD src0_sel:WORD_1
	v_add_f32_e32 v54, v16, v14
	v_add_u32_e32 v14, 0x2400, v121
	v_add_f32_e32 v57, v17, v15
	ds_read2_b32 v[14:15], v14 offset1:1
	s_waitcnt lgkmcnt(0)
	v_cvt_f32_f16_e32 v16, v14
	v_cvt_f32_f16_sdwa v14, v14 dst_sel:DWORD dst_unused:UNUSED_PAD src0_sel:WORD_1
	v_add_f32_e32 v58, v10, v16
	v_add_f32_e32 v59, v11, v14
	v_cvt_f32_f16_e32 v10, v15
	v_cvt_f32_f16_sdwa v11, v15 dst_sel:DWORD dst_unused:UNUSED_PAD src0_sel:WORD_1
	v_add_f32_e32 v60, v12, v10
	v_add_f32_e32 v15, v13, v11
	;; [unrolled: 1-line block ×4, first 2 shown]
	v_max3_f32 v10, v56, v10, v11
	v_add_f32_e32 v11, 0x40051340, v24
	v_add_f32_e32 v12, 0x40051340, v25
	v_max3_f32 v10, v10, v11, v12
	v_add_f32_e32 v11, 0x40051340, v48
	v_add_f32_e32 v12, 0x40051340, v49
	;; [unrolled: 3-line block ×7, first 2 shown]
	v_max3_f32 v10, v10, v11, v12
	ds_bpermute_b32 v11, v105, v10
	s_waitcnt lgkmcnt(0)
	v_max_f32_e32 v11, v11, v11
	v_max_f32_e32 v10, v10, v11
	ds_bpermute_b32 v11, v101, v10
	s_waitcnt lgkmcnt(0)
	v_max_f32_e32 v11, v11, v11
	v_max_f32_e32 v22, v10, v11
	v_sub_f32_e32 v10, v47, v22
	v_mul_f32_e32 v11, 0x3fb8aa3b, v10
	v_fma_f32 v12, v10, s41, -v11
	v_rndne_f32_e32 v13, v11
	v_fmac_f32_e32 v12, 0x32a5705f, v10
	v_sub_f32_e32 v11, v11, v13
	v_add_f32_e32 v11, v11, v12
	v_exp_f32_e32 v11, v11
	v_cvt_i32_f32_e32 v12, v13
	v_cmp_ngt_f32_e32 vcc, s98, v10
	v_sub_f32_e32 v15, v15, v22
	v_ldexp_f32 v11, v11, v12
	v_cndmask_b32_e32 v11, 0, v11, vcc
	v_cmp_nlt_f32_e32 vcc, s58, v10
	s_nop 1
	v_cndmask_b32_e32 v10, v126, v11, vcc
	v_sub_f32_e32 v11, v46, v22
	v_mul_f32_e32 v12, 0x3fb8aa3b, v11
	v_fma_f32 v13, v11, s41, -v12
	v_rndne_f32_e32 v14, v12
	v_fmac_f32_e32 v13, 0x32a5705f, v11
	v_sub_f32_e32 v12, v12, v14
	v_add_f32_e32 v12, v12, v13
	v_exp_f32_e32 v12, v12
	v_cvt_i32_f32_e32 v13, v14
	v_cmp_ngt_f32_e32 vcc, s98, v11
	v_ldexp_f32 v12, v12, v13
	s_nop 0
	v_cndmask_b32_e32 v12, 0, v12, vcc
	v_cmp_nlt_f32_e32 vcc, s58, v11
	s_nop 1
	v_cndmask_b32_e32 v11, v126, v12, vcc
	v_sub_f32_e32 v12, v24, v22
	v_mul_f32_e32 v14, 0x3fb8aa3b, v12
	v_fma_f32 v16, v12, s41, -v14
	v_rndne_f32_e32 v17, v14
	v_fmac_f32_e32 v16, 0x32a5705f, v12
	v_sub_f32_e32 v14, v14, v17
	v_add_f32_e32 v14, v14, v16
	v_exp_f32_e32 v14, v14
	v_cvt_i32_f32_e32 v16, v17
	v_cmp_ngt_f32_e32 vcc, s98, v12
	v_add_f32_e32 v13, v10, v11
	v_ldexp_f32 v14, v14, v16
	v_cndmask_b32_e32 v14, 0, v14, vcc
	v_cmp_nlt_f32_e32 vcc, s58, v12
	s_nop 1
	v_cndmask_b32_e32 v12, v126, v14, vcc
	v_sub_f32_e32 v14, v25, v22
	v_mul_f32_e32 v16, 0x3fb8aa3b, v14
	v_fma_f32 v17, v14, s41, -v16
	v_rndne_f32_e32 v18, v16
	v_fmac_f32_e32 v17, 0x32a5705f, v14
	v_sub_f32_e32 v16, v16, v18
	v_add_f32_e32 v16, v16, v17
	v_exp_f32_e32 v16, v16
	v_cvt_i32_f32_e32 v17, v18
	v_cmp_ngt_f32_e32 vcc, s98, v14
	v_add_f32_e32 v13, v12, v13
	v_ldexp_f32 v16, v16, v17
	v_cndmask_b32_e32 v16, 0, v16, vcc
	v_cmp_nlt_f32_e32 vcc, s58, v14
	s_nop 1
	v_cndmask_b32_e32 v14, v126, v16, vcc
	v_add_f32_e32 v16, v14, v13
	v_sub_f32_e32 v13, v48, v22
	v_mul_f32_e32 v17, 0x3fb8aa3b, v13
	v_fma_f32 v18, v13, s41, -v17
	v_rndne_f32_e32 v19, v17
	v_fmac_f32_e32 v18, 0x32a5705f, v13
	v_sub_f32_e32 v17, v17, v19
	v_add_f32_e32 v17, v17, v18
	v_exp_f32_e32 v17, v17
	v_cvt_i32_f32_e32 v18, v19
	v_cmp_ngt_f32_e32 vcc, s98, v13
	v_ldexp_f32 v17, v17, v18
	s_nop 0
	v_cndmask_b32_e32 v17, 0, v17, vcc
	v_cmp_nlt_f32_e32 vcc, s58, v13
	s_nop 1
	v_cndmask_b32_e32 v13, v126, v17, vcc
	v_add_f32_e32 v17, v13, v16
	v_sub_f32_e32 v16, v49, v22
	v_mul_f32_e32 v18, 0x3fb8aa3b, v16
	v_fma_f32 v19, v16, s41, -v18
	v_rndne_f32_e32 v24, v18
	v_fmac_f32_e32 v19, 0x32a5705f, v16
	v_sub_f32_e32 v18, v18, v24
	v_add_f32_e32 v18, v18, v19
	v_exp_f32_e32 v18, v18
	v_cvt_i32_f32_e32 v19, v24
	v_cmp_ngt_f32_e32 vcc, s98, v16
	v_ldexp_f32 v18, v18, v19
	s_nop 0
	v_cndmask_b32_e32 v18, 0, v18, vcc
	v_cmp_nlt_f32_e32 vcc, s58, v16
	s_nop 1
	v_cndmask_b32_e32 v16, v126, v18, vcc
	v_add_f32_e32 v18, v16, v17
	v_sub_f32_e32 v17, v20, v22
	v_mul_f32_e32 v19, 0x3fb8aa3b, v17
	v_fma_f32 v20, v17, s41, -v19
	v_rndne_f32_e32 v24, v19
	v_fmac_f32_e32 v20, 0x32a5705f, v17
	v_sub_f32_e32 v19, v19, v24
	v_add_f32_e32 v19, v19, v20
	v_exp_f32_e32 v19, v19
	v_cvt_i32_f32_e32 v20, v24
	v_cmp_ngt_f32_e32 vcc, s98, v17
	v_cvt_pk_f16_f32 v16, v13, v16
	v_ldexp_f32 v19, v19, v20
	v_cndmask_b32_e32 v19, 0, v19, vcc
	v_cmp_nlt_f32_e32 vcc, s58, v17
	s_nop 1
	v_cndmask_b32_e32 v17, v126, v19, vcc
	v_sub_f32_e32 v19, v21, v22
	v_mul_f32_e32 v20, 0x3fb8aa3b, v19
	v_fma_f32 v21, v19, s41, -v20
	v_rndne_f32_e32 v24, v20
	v_fmac_f32_e32 v21, 0x32a5705f, v19
	v_sub_f32_e32 v20, v20, v24
	v_add_f32_e32 v20, v20, v21
	v_exp_f32_e32 v20, v20
	v_cvt_i32_f32_e32 v21, v24
	v_cmp_ngt_f32_e32 vcc, s98, v19
	v_add_f32_e32 v18, v17, v18
	v_ldexp_f32 v20, v20, v21
	v_cndmask_b32_e32 v20, 0, v20, vcc
	v_cmp_nlt_f32_e32 vcc, s58, v19
	s_nop 1
	v_cndmask_b32_e32 v19, v126, v20, vcc
	v_add_f32_e32 v20, v19, v18
	v_sub_f32_e32 v18, v23, v22
	v_mul_f32_e32 v21, 0x3fb8aa3b, v18
	v_fma_f32 v23, v18, s41, -v21
	v_rndne_f32_e32 v24, v21
	v_fmac_f32_e32 v23, 0x32a5705f, v18
	v_sub_f32_e32 v21, v21, v24
	v_add_f32_e32 v21, v21, v23
	v_exp_f32_e32 v21, v21
	v_cvt_i32_f32_e32 v23, v24
	v_cmp_ngt_f32_e32 vcc, s98, v18
	v_cvt_pk_f16_f32 v17, v17, v19
	v_ldexp_f32 v21, v21, v23
	v_cndmask_b32_e32 v21, 0, v21, vcc
	v_cmp_nlt_f32_e32 vcc, s58, v18
	s_nop 1
	v_cndmask_b32_e32 v18, v126, v21, vcc
	v_add_f32_e32 v21, v18, v20
	v_sub_f32_e32 v20, v53, v22
	v_mul_f32_e32 v23, 0x3fb8aa3b, v20
	v_fma_f32 v24, v20, s41, -v23
	v_rndne_f32_e32 v25, v23
	v_fmac_f32_e32 v24, 0x32a5705f, v20
	v_sub_f32_e32 v23, v23, v25
	v_add_f32_e32 v23, v23, v24
	v_exp_f32_e32 v23, v23
	v_cvt_i32_f32_e32 v24, v25
	v_cmp_ngt_f32_e32 vcc, s98, v20
	v_ldexp_f32 v23, v23, v24
	s_nop 0
	v_cndmask_b32_e32 v23, 0, v23, vcc
	v_cmp_nlt_f32_e32 vcc, s58, v20
	s_nop 1
	v_cndmask_b32_e32 v20, v126, v23, vcc
	v_add_f32_e32 v23, v20, v21
	v_sub_f32_e32 v21, v54, v22
	v_mul_f32_e32 v24, 0x3fb8aa3b, v21
	v_fma_f32 v25, v21, s41, -v24
	v_rndne_f32_e32 v46, v24
	v_fmac_f32_e32 v25, 0x32a5705f, v21
	v_sub_f32_e32 v24, v24, v46
	v_add_f32_e32 v24, v24, v25
	v_exp_f32_e32 v24, v24
	v_cvt_i32_f32_e32 v25, v46
	v_cmp_ngt_f32_e32 vcc, s98, v21
	v_cvt_pk_f16_f32 v18, v18, v20
	v_ldexp_f32 v24, v24, v25
	v_cndmask_b32_e32 v24, 0, v24, vcc
	v_cmp_nlt_f32_e32 vcc, s58, v21
	s_nop 1
	v_cndmask_b32_e32 v21, v126, v24, vcc
	v_sub_f32_e32 v24, v57, v22
	v_mul_f32_e32 v25, 0x3fb8aa3b, v24
	v_fma_f32 v46, v24, s41, -v25
	v_rndne_f32_e32 v47, v25
	v_fmac_f32_e32 v46, 0x32a5705f, v24
	v_sub_f32_e32 v25, v25, v47
	v_add_f32_e32 v25, v25, v46
	v_exp_f32_e32 v25, v25
	v_cvt_i32_f32_e32 v46, v47
	v_cmp_ngt_f32_e32 vcc, s98, v24
	v_add_f32_e32 v23, v21, v23
	v_ldexp_f32 v25, v25, v46
	v_cndmask_b32_e32 v25, 0, v25, vcc
	v_cmp_nlt_f32_e32 vcc, s58, v24
	v_sub_f32_e32 v24, v58, v22
	s_nop 0
	v_cndmask_b32_e32 v54, v126, v25, vcc
	v_mul_f32_e32 v25, 0x3fb8aa3b, v24
	v_fma_f32 v46, v24, s41, -v25
	v_rndne_f32_e32 v47, v25
	v_fmac_f32_e32 v46, 0x32a5705f, v24
	v_sub_f32_e32 v25, v25, v47
	v_add_f32_e32 v25, v25, v46
	v_exp_f32_e32 v25, v25
	v_cvt_i32_f32_e32 v46, v47
	v_cmp_ngt_f32_e32 vcc, s98, v24
	v_add_f32_e32 v23, v54, v23
	v_ldexp_f32 v25, v25, v46
	v_cndmask_b32_e32 v25, 0, v25, vcc
	v_cmp_nlt_f32_e32 vcc, s58, v24
	v_sub_f32_e32 v24, v59, v22
	v_mul_f32_e32 v46, 0x3fb8aa3b, v24
	v_fma_f32 v47, v24, s41, -v46
	v_rndne_f32_e32 v48, v46
	v_fmac_f32_e32 v47, 0x32a5705f, v24
	v_sub_f32_e32 v46, v46, v48
	v_add_f32_e32 v46, v46, v47
	v_exp_f32_e32 v46, v46
	v_cvt_i32_f32_e32 v47, v48
	v_cndmask_b32_e32 v25, v126, v25, vcc
	v_cmp_ngt_f32_e32 vcc, s98, v24
	v_add_f32_e32 v23, v25, v23
	v_ldexp_f32 v46, v46, v47
	v_cndmask_b32_e32 v46, 0, v46, vcc
	v_cmp_nlt_f32_e32 vcc, s58, v24
	v_sub_f32_e32 v24, v60, v22
	s_nop 0
	v_cndmask_b32_e32 v57, v126, v46, vcc
	v_mul_f32_e32 v46, 0x3fb8aa3b, v24
	v_fma_f32 v47, v24, s41, -v46
	v_rndne_f32_e32 v48, v46
	v_fmac_f32_e32 v47, 0x32a5705f, v24
	v_sub_f32_e32 v46, v46, v48
	v_add_f32_e32 v46, v46, v47
	v_exp_f32_e32 v46, v46
	v_cvt_i32_f32_e32 v47, v48
	v_cmp_ngt_f32_e32 vcc, s98, v24
	v_add_f32_e32 v23, v57, v23
	v_ldexp_f32 v46, v46, v47
	v_cndmask_b32_e32 v46, 0, v46, vcc
	v_cmp_nlt_f32_e32 vcc, s58, v24
	v_mul_f32_e32 v24, 0x3fb8aa3b, v15
	v_rndne_f32_e32 v47, v24
	v_cndmask_b32_e32 v58, v126, v46, vcc
	v_fma_f32 v46, v15, s41, -v24
	v_fmac_f32_e32 v46, 0x32a5705f, v15
	v_sub_f32_e32 v24, v24, v47
	v_add_f32_e32 v24, v24, v46
	v_exp_f32_e32 v24, v24
	v_cvt_i32_f32_e32 v46, v47
	v_cmp_ngt_f32_e32 vcc, s98, v15
	v_add_f32_e32 v23, v58, v23
	v_ldexp_f32 v24, v24, v46
	v_cndmask_b32_e32 v24, 0, v24, vcc
	v_cmp_nlt_f32_e32 vcc, s58, v15
	v_sub_f32_e32 v15, v56, v22
	s_nop 0
	v_cndmask_b32_e32 v59, v126, v24, vcc
	v_mul_f32_e32 v24, 0x3fb8aa3b, v15
	v_fma_f32 v46, v15, s41, -v24
	v_rndne_f32_e32 v47, v24
	v_fmac_f32_e32 v46, 0x32a5705f, v15
	v_sub_f32_e32 v24, v24, v47
	v_add_f32_e32 v24, v24, v46
	v_exp_f32_e32 v24, v24
	v_cvt_i32_f32_e32 v46, v47
	v_cmp_ngt_f32_e32 vcc, s98, v15
	v_add_f32_e32 v23, v59, v23
	v_ldexp_f32 v24, v24, v46
	v_cndmask_b32_e32 v24, 0, v24, vcc
	v_cmp_nlt_f32_e32 vcc, s58, v15
	s_nop 1
	v_cndmask_b32_e32 v24, v126, v24, vcc
	v_cmp_le_f32_e32 vcc, s59, v15
	s_nop 1
	v_cndmask_b32_e32 v15, 0, v24, vcc
	v_fmac_f32_e32 v23, v55, v15
	v_cvt_f16_f32_e32 v15, v15
	v_mul_u32_u24_e32 v46, 0x10001, v15
	v_pk_mul_f16 v60, v95, v46
	v_pk_mul_f16 v15, v112, v46
	;; [unrolled: 1-line block ×8, first 2 shown]
	v_lshl_add_u64 v[46:47], v[68:69], 0, v[42:43]
	global_load_dwordx4 v[46:49], v[46:47], off
	v_lshl_add_u64 v[96:97], v[70:71], 0, v[42:43]
	v_lshl_add_u64 v[68:69], v[68:69], 0, s[64:65]
	;; [unrolled: 1-line block ×3, first 2 shown]
	s_waitcnt vmcnt(0)
	ds_write_b128 v77, v[46:49]
	global_load_dwordx4 v[46:49], v[96:97], off
	s_waitcnt vmcnt(0)
	ds_write_b128 v118, v[46:49]
	s_waitcnt lgkmcnt(0)
	s_barrier
	ds_read_u16 v53, v83 offset:144
	v_cvt_f32_f16_e32 v46, v60
	v_cvt_f32_f16_sdwa v47, v60 dst_sel:DWORD dst_unused:UNUSED_PAD src0_sel:WORD_1
	v_cvt_f32_f16_e32 v48, v15
	v_cvt_f32_f16_sdwa v49, v15 dst_sel:DWORD dst_unused:UNUSED_PAD src0_sel:WORD_1
	ds_read_u16 v15, v84
	ds_read_u16 v96, v84 offset:32
	ds_read_u16 v60, v85
	ds_read_u16 v97, v85 offset:32
	s_waitcnt lgkmcnt(1)
	v_perm_b32 v61, v60, v15, s60
	ds_read_u16 v15, v83
	ds_read_u16 v98, v83 offset:32
	s_waitcnt lgkmcnt(1)
	v_perm_b32 v60, v53, v15, s60
	v_cvt_pk_f16_f32 v15, v12, v14
	v_cvt_pk_f16_f32 v14, v10, v11
	s_nop 1
	v_mfma_f32_16x16x16_f16 v[46:49], v[60:61], v[14:15], v[46:49]
	ds_read_u16 v53, v83 offset:2304
	ds_read_u16 v60, v83 offset:2448
	;; [unrolled: 1-line block ×4, first 2 shown]
	s_nop 3
	v_cvt_f16_f32_e32 v10, v46
	v_cvt_f16_f32_e32 v11, v47
	;; [unrolled: 1-line block ×4, first 2 shown]
	v_cvt_f32_f16_e32 v46, v10
	v_cvt_f32_f16_e32 v47, v11
	s_waitcnt lgkmcnt(0)
	v_perm_b32 v11, v109, v61, s60
	v_perm_b32 v10, v60, v53, s60
	v_cvt_f32_f16_e32 v48, v12
	v_cvt_f32_f16_e32 v49, v49
	;; [unrolled: 1-line block ×3, first 2 shown]
	v_cvt_f32_f16_sdwa v61, v55 dst_sel:DWORD dst_unused:UNUSED_PAD src0_sel:WORD_1
	v_mfma_f32_16x16x16_f16 v[10:13], v[10:11], v[16:17], v[46:49]
	ds_read_u16 v19, v83 offset:4608
	s_nop 1
	ds_read_u16 v46, v83 offset:4752
	ds_read_u16 v47, v84 offset:4608
	;; [unrolled: 1-line block ×3, first 2 shown]
	v_cvt_f32_f16_sdwa v49, v94 dst_sel:DWORD dst_unused:UNUSED_PAD src0_sel:WORD_1
	s_nop 0
	v_cvt_f16_f32_e32 v10, v10
	v_cvt_f16_f32_e32 v11, v11
	;; [unrolled: 1-line block ×4, first 2 shown]
	s_waitcnt lgkmcnt(0)
	v_perm_b32 v47, v48, v47, s60
	v_perm_b32 v46, v46, v19, s60
	v_cvt_f32_f16_e32 v10, v10
	v_cvt_f32_f16_e32 v11, v11
	;; [unrolled: 1-line block ×4, first 2 shown]
	v_cvt_pk_f16_f32 v19, v21, v54
	v_cvt_f32_f16_e32 v48, v94
	s_nop 0
	v_mfma_f32_16x16x16_f16 v[10:13], v[46:47], v[18:19], v[10:13]
	ds_read_u16 v20, v83 offset:6912
	ds_read_u16 v21, v83 offset:7056
	;; [unrolled: 1-line block ×4, first 2 shown]
	s_waitcnt lgkmcnt(0)
	v_perm_b32 v47, v47, v46, s60
	s_nop 1
	v_cvt_f16_f32_e32 v10, v10
	v_cvt_f16_f32_e32 v11, v11
	;; [unrolled: 1-line block ×4, first 2 shown]
	v_perm_b32 v46, v21, v20, s60
	v_cvt_pk_f16_f32 v20, v25, v57
	ds_read_u16 v25, v83 offset:176
	v_cvt_f32_f16_e32 v10, v10
	v_cvt_f32_f16_e32 v11, v11
	;; [unrolled: 1-line block ×4, first 2 shown]
	v_cvt_pk_f16_f32 v21, v58, v59
	v_perm_b32 v59, v97, v96, s60
	s_waitcnt lgkmcnt(0)
	v_perm_b32 v58, v25, v98, s60
	v_mfma_f32_16x16x16_f16 v[10:13], v[46:47], v[20:21], v[10:13]
	v_cvt_f32_f16_e32 v46, v95
	v_cvt_f32_f16_sdwa v47, v95 dst_sel:DWORD dst_unused:UNUSED_PAD src0_sel:WORD_1
	s_nop 1
	v_mfma_f32_16x16x16_f16 v[46:49], v[58:59], v[14:15], v[46:49]
	ds_read_u16 v53, v83 offset:2336
	ds_read_u16 v54, v83 offset:2480
	;; [unrolled: 1-line block ×4, first 2 shown]
	v_cvt_pk_f16_f32 v112, v12, v13
	s_nop 2
	v_cvt_f16_f32_e32 v25, v46
	v_cvt_f16_f32_e32 v47, v47
	;; [unrolled: 1-line block ×4, first 2 shown]
	s_waitcnt lgkmcnt(0)
	v_perm_b32 v59, v58, v57, s60
	v_perm_b32 v58, v54, v53, s60
	v_cvt_f32_f16_e32 v46, v25
	v_cvt_f32_f16_e32 v47, v47
	;; [unrolled: 1-line block ×4, first 2 shown]
	s_nop 1
	v_mfma_f32_16x16x16_f16 v[46:49], v[58:59], v[16:17], v[46:49]
	ds_read_u16 v53, v83 offset:4640
	ds_read_u16 v54, v83 offset:4784
	;; [unrolled: 1-line block ×4, first 2 shown]
	s_nop 3
	v_cvt_f16_f32_e32 v25, v46
	v_cvt_f16_f32_e32 v47, v47
	;; [unrolled: 1-line block ×4, first 2 shown]
	s_waitcnt lgkmcnt(0)
	v_perm_b32 v59, v58, v57, s60
	v_perm_b32 v58, v54, v53, s60
	v_cvt_f32_f16_e32 v46, v25
	v_cvt_f32_f16_e32 v47, v47
	v_cvt_f32_f16_e32 v48, v48
	v_cvt_f32_f16_e32 v49, v49
	s_nop 1
	v_mfma_f32_16x16x16_f16 v[46:49], v[58:59], v[18:19], v[46:49]
	ds_read_u16 v53, v83 offset:6944
	ds_read_u16 v54, v83 offset:7088
	;; [unrolled: 1-line block ×4, first 2 shown]
	s_nop 3
	v_cvt_f16_f32_e32 v25, v46
	v_cvt_f16_f32_e32 v47, v47
	;; [unrolled: 1-line block ×4, first 2 shown]
	v_cvt_f32_f16_e32 v46, v25
	s_waitcnt lgkmcnt(0)
	v_perm_b32 v59, v58, v57, s60
	v_perm_b32 v58, v54, v53, s60
	ds_read_u16 v25, v83 offset:64
	ds_read_u16 v53, v83 offset:208
	;; [unrolled: 1-line block ×4, first 2 shown]
	v_cvt_f32_f16_e32 v47, v47
	v_cvt_f32_f16_e32 v48, v48
	;; [unrolled: 1-line block ×3, first 2 shown]
	s_waitcnt lgkmcnt(0)
	v_perm_b32 v55, v57, v54, s60
	v_perm_b32 v54, v53, v25, s60
	v_mfma_f32_16x16x16_f16 v[46:49], v[58:59], v[20:21], v[46:49]
	v_cvt_f32_f16_e32 v58, v56
	v_cvt_f32_f16_sdwa v59, v56 dst_sel:DWORD dst_unused:UNUSED_PAD src0_sel:WORD_1
	s_nop 1
	v_mfma_f32_16x16x16_f16 v[54:57], v[54:55], v[14:15], v[58:61]
	s_nop 2
	ds_read_u16 v58, v83 offset:2368
	ds_read_u16 v60, v83 offset:2512
	ds_read_u16 v59, v84 offset:2368
	ds_read_u16 v61, v85 offset:2368
	v_cvt_pk_f16_f32 v96, v48, v49
	v_cvt_f16_f32_e32 v25, v54
	v_cvt_f16_f32_e32 v53, v55
	;; [unrolled: 1-line block ×4, first 2 shown]
	s_waitcnt lgkmcnt(0)
	v_perm_b32 v59, v61, v59, s60
	v_perm_b32 v58, v60, v58, s60
	v_cvt_f32_f16_e32 v54, v25
	v_cvt_f32_f16_e32 v55, v53
	;; [unrolled: 1-line block ×4, first 2 shown]
	s_nop 1
	v_mfma_f32_16x16x16_f16 v[54:57], v[58:59], v[16:17], v[54:57]
	ds_read_u16 v58, v83 offset:4672
	ds_read_u16 v60, v83 offset:4816
	;; [unrolled: 1-line block ×4, first 2 shown]
	s_nop 3
	v_cvt_f16_f32_e32 v25, v54
	v_cvt_f16_f32_e32 v53, v55
	;; [unrolled: 1-line block ×4, first 2 shown]
	s_waitcnt lgkmcnt(0)
	v_perm_b32 v59, v61, v59, s60
	v_perm_b32 v58, v60, v58, s60
	v_cvt_f32_f16_e32 v54, v25
	v_cvt_f32_f16_e32 v55, v53
	;; [unrolled: 1-line block ×4, first 2 shown]
	s_nop 1
	v_mfma_f32_16x16x16_f16 v[54:57], v[58:59], v[18:19], v[54:57]
	ds_read_u16 v58, v83 offset:6976
	ds_read_u16 v60, v83 offset:7120
	;; [unrolled: 1-line block ×4, first 2 shown]
	s_nop 3
	v_cvt_f16_f32_e32 v25, v54
	v_cvt_f16_f32_e32 v53, v55
	;; [unrolled: 1-line block ×4, first 2 shown]
	v_cvt_f32_f16_e32 v54, v25
	v_cvt_f32_f16_e32 v55, v53
	s_waitcnt lgkmcnt(0)
	v_perm_b32 v59, v61, v59, s60
	v_perm_b32 v58, v60, v58, s60
	ds_read_u16 v53, v83 offset:96
	ds_read_u16 v94, v83 offset:240
	;; [unrolled: 1-line block ×4, first 2 shown]
	v_cvt_f32_f16_e32 v56, v56
	v_cvt_f32_f16_e32 v57, v57
	;; [unrolled: 1-line block ×3, first 2 shown]
	v_cvt_f32_f16_sdwa v61, v1 dst_sel:DWORD dst_unused:UNUSED_PAD src0_sel:WORD_1
	v_mfma_f32_16x16x16_f16 v[54:57], v[58:59], v[20:21], v[54:57]
	v_cvt_f32_f16_e32 v58, v24
	v_cvt_f32_f16_sdwa v59, v24 dst_sel:DWORD dst_unused:UNUSED_PAD src0_sel:WORD_1
	s_waitcnt lgkmcnt(0)
	v_perm_b32 v25, v95, v25, s60
	v_perm_b32 v24, v94, v53, s60
	s_nop 2
	v_cvt_pk_f16_f32 v97, v54, v55
	v_mfma_f32_16x16x16_f16 v[58:61], v[24:25], v[14:15], v[58:61]
	ds_read_u16 v25, v83 offset:2400
	ds_read_u16 v53, v83 offset:2544
	;; [unrolled: 1-line block ×4, first 2 shown]
	s_nop 3
	v_cvt_f16_f32_e32 v14, v59
	v_cvt_f16_f32_e32 v15, v60
	;; [unrolled: 1-line block ×4, first 2 shown]
	v_cvt_f32_f16_e32 v59, v14
	v_cvt_f32_f16_e32 v60, v15
	s_waitcnt lgkmcnt(0)
	v_perm_b32 v15, v95, v94, s60
	v_perm_b32 v14, v53, v25, s60
	v_cvt_f32_f16_e32 v58, v1
	v_cvt_f32_f16_e32 v61, v24
	v_cvt_pk_f16_f32 v95, v10, v11
	v_cvt_pk_f16_f32 v94, v46, v47
	v_mfma_f32_16x16x16_f16 v[14:17], v[14:15], v[16:17], v[58:61]
	ds_read_u16 v24, v83 offset:4704
	ds_read_u16 v53, v83 offset:4848
	;; [unrolled: 1-line block ×4, first 2 shown]
	s_nop 3
	v_cvt_f16_f32_e32 v1, v14
	v_cvt_f16_f32_e32 v15, v15
	;; [unrolled: 1-line block ×4, first 2 shown]
	s_waitcnt lgkmcnt(0)
	v_perm_b32 v25, v58, v25, s60
	v_perm_b32 v24, v53, v24, s60
	v_cvt_f32_f16_e32 v14, v1
	v_cvt_f32_f16_e32 v15, v15
	;; [unrolled: 1-line block ×4, first 2 shown]
	s_nop 1
	v_mfma_f32_16x16x16_f16 v[14:17], v[24:25], v[18:19], v[14:17]
	ds_read_u16 v18, v83 offset:7008
	ds_read_u16 v24, v83 offset:7152
	;; [unrolled: 1-line block ×4, first 2 shown]
	s_waitcnt lgkmcnt(0)
	s_barrier
	s_nop 1
	v_cvt_f16_f32_e32 v1, v14
	v_cvt_f16_f32_e32 v15, v15
	;; [unrolled: 1-line block ×4, first 2 shown]
	v_perm_b32 v19, v25, v19, s60
	v_perm_b32 v18, v24, v18, s60
	v_cvt_f32_f16_e32 v14, v1
	v_cvt_f32_f16_e32 v15, v15
	;; [unrolled: 1-line block ×4, first 2 shown]
	v_cvt_pk_f16_f32 v1, v56, v57
	s_nop 0
	v_mfma_f32_16x16x16_f16 v[14:17], v[18:19], v[20:21], v[14:17]
	s_nop 7
	v_cvt_pk_f16_f32 v109, v14, v15
	v_cvt_pk_f16_f32 v98, v16, v17
	s_cbranch_scc1 .LBB0_143
; %bb.144:                              ;   in Loop: Header=BB0_13 Depth=1
	s_lshl_b32 s56, s0, 6
	v_mad_i64_i32 v[10:11], s[48:49], v28, s40, 0
	v_mad_i64_i32 v[12:13], s[48:49], v62, s40, 0
	s_mov_b64 s[76:77], s[56:57]
	v_readlane_b32 s53, v127, 33
	v_bfe_u32 v101, v0, 10, 10
	v_mov_b32_e32 v66, v52
	s_branch .LBB0_146
.LBB0_145:                              ;   in Loop: Header=BB0_13 Depth=1
	v_mov_b32_e32 v22, 0xfeffffff
	v_mov_b32_e32 v23, 0
	s_mov_b64 s[76:77], 0
	v_mov_b32_e32 v98, 0
	v_mov_b32_e32 v109, 0
	v_mov_b32_e32 v1, 0
	v_mov_b32_e32 v97, 0
	v_mov_b32_e32 v96, 0
	v_mov_b32_e32 v94, 0
	v_mov_b32_e32 v112, 0
	v_mov_b32_e32 v95, 0
	v_readlane_b32 s53, v127, 33
.LBB0_146:                              ;   in Loop: Header=BB0_13 Depth=1
	s_lshl_b64 s[0:1], s[76:77], 1
	s_add_u32 s0, s74, s0
	s_addc_u32 s1, s75, s1
	v_lshlrev_b32_e32 v28, 1, v44
	v_lshl_add_u64 v[14:15], s[0:1], 0, v[28:29]
	v_lshl_add_u64 v[10:11], v[10:11], 1, v[14:15]
	global_load_dword v10, v[10:11], off
	v_add_u32_e32 v16, v117, v115
	s_mul_i32 s0, s76, s27
	s_mul_hi_u32 s1, s76, s26
	s_add_i32 s1, s1, s0
	s_mul_i32 s0, s76, s26
	s_lshl_b64 s[0:1], s[0:1], 2
	s_add_u32 s0, s30, s0
	s_addc_u32 s1, s47, s1
	v_lshlrev_b32_e32 v28, 2, v30
	v_add_u32_e32 v24, 0x800, v79
	v_cmp_lt_i32_e32 vcc, v110, v102
	s_waitcnt vmcnt(0)
	ds_write_b32 v16, v10 offset:9216
	v_lshl_add_u64 v[10:11], v[12:13], 1, v[14:15]
	global_load_dword v10, v[10:11], off
	v_lshl_add_u64 v[12:13], v[34:35], 2, s[0:1]
	v_lshl_add_u64 v[14:15], v[12:13], 0, v[28:29]
	s_waitcnt vmcnt(0)
	ds_write_b32 v16, v10 offset:10368
	v_lshl_add_u64 v[10:11], v[32:33], 2, s[0:1]
	v_lshl_add_u64 v[10:11], v[10:11], 0, v[28:29]
	global_load_dwordx4 v[10:13], v[10:11], off
	s_mul_i32 s0, s76, s37
	s_mul_hi_u32 s1, s76, s36
	s_add_i32 s1, s1, s0
	s_mul_i32 s0, s76, s36
	s_lshl_b64 s[0:1], s[0:1], 2
	s_add_u32 s0, s61, s0
	s_addc_u32 s1, s63, s1
	s_cmp_eq_u64 s[72:73], 0
	s_waitcnt vmcnt(0)
	ds_write_b128 v77, v[10:13]
	global_load_dwordx4 v[10:13], v[14:15], off
	s_waitcnt vmcnt(0)
	ds_write_b128 v118, v[10:13]
	s_waitcnt lgkmcnt(0)
	s_barrier
	ds_read2_b64 v[10:13], v79 offset1:4
	s_waitcnt lgkmcnt(0)
	v_mfma_f32_16x16x16_f16 v[14:17], v[10:11], v[6:7], 0
	v_mfma_f32_16x16x16_f16 v[10:13], v[12:13], v[8:9], v[14:17]
	s_nop 6
	ds_read2_b64 v[14:17], v79 offset0:8 offset1:12
	s_waitcnt lgkmcnt(0)
	v_mfma_f32_16x16x16_f16 v[10:13], v[14:15], v[2:3], v[10:13]
	v_mfma_f32_16x16x16_f16 v[18:21], v[16:17], v[4:5], v[10:13]
	s_nop 6
	ds_read2_b64 v[10:13], v24 offset0:32 offset1:36
	;; [unrolled: 5-line block ×3, first 2 shown]
	s_waitcnt lgkmcnt(0)
	v_mfma_f32_16x16x16_f16 v[10:13], v[14:15], v[2:3], v[10:13]
	v_add_u32_e32 v24, 0x1000, v79
	v_mfma_f32_16x16x16_f16 v[14:17], v[16:17], v[4:5], v[10:13]
	s_nop 5
	ds_read2_b64 v[10:13], v24 offset0:64 offset1:68
	s_waitcnt lgkmcnt(0)
	v_mfma_f32_16x16x16_f16 v[46:49], v[10:11], v[6:7], 0
	v_mfma_f32_16x16x16_f16 v[10:13], v[12:13], v[8:9], v[46:49]
	s_nop 6
	ds_read2_b64 v[46:49], v24 offset0:72 offset1:76
	s_waitcnt lgkmcnt(0)
	v_mfma_f32_16x16x16_f16 v[10:13], v[46:47], v[2:3], v[10:13]
	v_add_u32_e32 v24, 0x1800, v79
	v_mfma_f32_16x16x16_f16 v[10:13], v[48:49], v[4:5], v[10:13]
	ds_read2_b64 v[46:49], v24 offset0:96 offset1:100
	s_waitcnt lgkmcnt(0)
	v_mfma_f32_16x16x16_f16 v[54:57], v[46:47], v[6:7], 0
	v_mfma_f32_16x16x16_f16 v[6:9], v[48:49], v[8:9], v[54:57]
	ds_read2_b64 v[46:49], v24 offset0:104 offset1:108
	s_waitcnt lgkmcnt(0)
	s_barrier
	v_mfma_f32_16x16x16_f16 v[6:9], v[46:47], v[2:3], v[6:9]
	v_mfma_f32_16x16x16_f16 v[2:5], v[48:49], v[4:5], v[6:9]
	s_nop 6
	ds_read_b32 v6, v80 offset:9216
	s_waitcnt lgkmcnt(0)
	v_cvt_f32_f16_e32 v7, v6
	v_cvt_f32_f16_sdwa v8, v6 dst_sel:DWORD dst_unused:UNUSED_PAD src0_sel:WORD_1
	v_add_f32_e32 v6, v18, v7
	v_add_f32_e32 v7, v19, v8
	ds_read_b32 v8, v81 offset:9216
	s_waitcnt lgkmcnt(0)
	v_cvt_f32_f16_e32 v9, v8
	v_cvt_f32_f16_sdwa v8, v8 dst_sel:DWORD dst_unused:UNUSED_PAD src0_sel:WORD_1
	v_add_f32_e32 v55, v20, v9
	v_add_f32_e32 v25, v21, v8
	v_add_u32_e32 v8, 0x2400, v119
	ds_read2_b32 v[8:9], v8 offset1:1
	s_waitcnt lgkmcnt(0)
	v_cvt_f32_f16_e32 v18, v8
	v_cvt_f32_f16_sdwa v8, v8 dst_sel:DWORD dst_unused:UNUSED_PAD src0_sel:WORD_1
	v_add_f32_e32 v54, v14, v18
	v_add_f32_e32 v24, v15, v8
	v_cvt_f32_f16_e32 v8, v9
	v_cvt_f32_f16_sdwa v9, v9 dst_sel:DWORD dst_unused:UNUSED_PAD src0_sel:WORD_1
	v_add_f32_e32 v15, v16, v8
	v_add_u32_e32 v8, 0x2400, v120
	v_add_f32_e32 v17, v17, v9
	ds_read2_b32 v[8:9], v8 offset1:1
	s_waitcnt lgkmcnt(0)
	v_cvt_f32_f16_e32 v14, v8
	v_cvt_f32_f16_sdwa v8, v8 dst_sel:DWORD dst_unused:UNUSED_PAD src0_sel:WORD_1
	v_add_f32_e32 v19, v10, v14
	v_add_f32_e32 v18, v11, v8
	v_cvt_f32_f16_e32 v8, v9
	v_cvt_f32_f16_sdwa v10, v9 dst_sel:DWORD dst_unused:UNUSED_PAD src0_sel:WORD_1
	v_add_f32_e32 v9, v12, v8
	v_add_f32_e32 v8, v13, v10
	v_add_u32_e32 v10, 0x2400, v121
	ds_read2_b32 v[10:11], v10 offset1:1
	s_waitcnt lgkmcnt(0)
	v_cvt_f32_f16_e32 v12, v10
	v_cvt_f32_f16_sdwa v10, v10 dst_sel:DWORD dst_unused:UNUSED_PAD src0_sel:WORD_1
	v_add_f32_e32 v21, v2, v12
	v_add_f32_e32 v2, v3, v10
	v_cvt_f32_f16_e32 v3, v11
	v_cvt_f32_f16_sdwa v10, v11 dst_sel:DWORD dst_unused:UNUSED_PAD src0_sel:WORD_1
	v_add_f32_e32 v11, 0x40051340, v25
	v_add_f32_e32 v4, v4, v3
	;; [unrolled: 1-line block ×5, first 2 shown]
	v_max3_f32 v5, v22, v5, v10
	v_add_f32_e32 v10, 0x40051340, v55
	v_max3_f32 v5, v5, v10, v11
	v_add_f32_e32 v10, 0x40051340, v54
	v_add_f32_e32 v11, 0x40051340, v24
	v_max3_f32 v5, v5, v10, v11
	v_add_f32_e32 v10, 0x40051340, v15
	;; [unrolled: 3-line block ×6, first 2 shown]
	v_add_f32_e32 v11, 0x40051340, v3
	v_max3_f32 v5, v5, v10, v11
	v_cndmask_b32_e32 v10, v99, v110, vcc
	v_lshlrev_b32_e32 v20, 2, v10
	ds_bpermute_b32 v10, v20, v5
	v_cmp_lt_i32_e32 vcc, v100, v102
	s_waitcnt lgkmcnt(0)
	v_max_f32_e32 v10, v10, v10
	v_max_f32_e32 v5, v5, v10
	v_cndmask_b32_e32 v10, v99, v100, vcc
	v_lshlrev_b32_e32 v13, 2, v10
	ds_bpermute_b32 v10, v13, v5
	s_waitcnt lgkmcnt(0)
	v_max_f32_e32 v10, v10, v10
	v_max_f32_e32 v12, v5, v10
	v_sub_f32_e32 v5, v6, v12
	v_mul_f32_e32 v6, 0x3fb8aa3b, v5
	v_fma_f32 v10, v5, s41, -v6
	v_rndne_f32_e32 v11, v6
	v_fmac_f32_e32 v10, 0x32a5705f, v5
	v_sub_f32_e32 v6, v6, v11
	v_add_f32_e32 v6, v6, v10
	v_exp_f32_e32 v6, v6
	v_cvt_i32_f32_e32 v10, v11
	v_cmp_ngt_f32_e32 vcc, s98, v5
	v_sub_f32_e32 v15, v15, v12
	v_sub_f32_e32 v17, v17, v12
	v_ldexp_f32 v6, v6, v10
	v_cndmask_b32_e32 v6, 0, v6, vcc
	v_cmp_nlt_f32_e32 vcc, s58, v5
	v_sub_f32_e32 v5, v7, v12
	v_mul_f32_e32 v7, 0x3fb8aa3b, v5
	v_fma_f32 v10, v5, s41, -v7
	v_rndne_f32_e32 v11, v7
	v_fmac_f32_e32 v10, 0x32a5705f, v5
	v_sub_f32_e32 v7, v7, v11
	v_add_f32_e32 v7, v7, v10
	v_exp_f32_e32 v7, v7
	v_cvt_i32_f32_e32 v10, v11
	v_cndmask_b32_e32 v6, v126, v6, vcc
	v_cmp_ngt_f32_e32 vcc, s98, v5
	v_sub_f32_e32 v19, v19, v12
	v_ldexp_f32 v7, v7, v10
	v_sub_f32_e32 v10, v55, v12
	v_mul_f32_e32 v11, 0x3fb8aa3b, v10
	v_fma_f32 v14, v10, s41, -v11
	v_rndne_f32_e32 v16, v11
	v_fmac_f32_e32 v14, 0x32a5705f, v10
	v_sub_f32_e32 v11, v11, v16
	v_add_f32_e32 v11, v11, v14
	v_exp_f32_e32 v11, v11
	v_cvt_i32_f32_e32 v14, v16
	v_cndmask_b32_e32 v7, 0, v7, vcc
	v_cmp_nlt_f32_e32 vcc, s58, v5
	v_sub_f32_e32 v18, v18, v12
	v_ldexp_f32 v11, v11, v14
	v_cndmask_b32_e32 v7, v126, v7, vcc
	v_cmp_ngt_f32_e32 vcc, s98, v10
	v_sub_f32_e32 v9, v9, v12
	v_sub_f32_e32 v8, v8, v12
	v_cndmask_b32_e32 v11, 0, v11, vcc
	v_cmp_nlt_f32_e32 vcc, s58, v10
	v_add_f32_e32 v5, v6, v7
	v_sub_f32_e32 v2, v2, v12
	v_cndmask_b32_e32 v10, v126, v11, vcc
	v_sub_f32_e32 v11, v25, v12
	v_mul_f32_e32 v14, 0x3fb8aa3b, v11
	v_fma_f32 v16, v11, s41, -v14
	v_rndne_f32_e32 v25, v14
	v_fmac_f32_e32 v16, 0x32a5705f, v11
	v_sub_f32_e32 v14, v14, v25
	v_add_f32_e32 v14, v14, v16
	v_exp_f32_e32 v14, v14
	v_cvt_i32_f32_e32 v16, v25
	v_cmp_ngt_f32_e32 vcc, s98, v11
	v_add_f32_e32 v5, v10, v5
	v_sub_f32_e32 v4, v4, v12
	v_ldexp_f32 v14, v14, v16
	v_cndmask_b32_e32 v14, 0, v14, vcc
	v_cmp_nlt_f32_e32 vcc, s58, v11
	v_sub_f32_e32 v11, v54, v12
	v_mul_f32_e32 v16, 0x3fb8aa3b, v11
	v_fma_f32 v25, v11, s41, -v16
	v_rndne_f32_e32 v46, v16
	v_fmac_f32_e32 v25, 0x32a5705f, v11
	v_sub_f32_e32 v16, v16, v46
	v_add_f32_e32 v16, v16, v25
	v_exp_f32_e32 v16, v16
	v_cvt_i32_f32_e32 v25, v46
	v_cndmask_b32_e32 v14, v126, v14, vcc
	v_cmp_ngt_f32_e32 vcc, s98, v11
	v_add_f32_e32 v5, v14, v5
	v_ldexp_f32 v16, v16, v25
	v_cndmask_b32_e32 v16, 0, v16, vcc
	v_cmp_nlt_f32_e32 vcc, s58, v11
	v_sub_f32_e32 v3, v3, v12
	v_add_u32_e32 v54, v82, v41
	v_cndmask_b32_e32 v11, v126, v16, vcc
	v_sub_f32_e32 v16, v24, v12
	v_mul_f32_e32 v24, 0x3fb8aa3b, v16
	v_fma_f32 v25, v16, s41, -v24
	v_rndne_f32_e32 v46, v24
	v_fmac_f32_e32 v25, 0x32a5705f, v16
	v_sub_f32_e32 v24, v24, v46
	v_add_f32_e32 v24, v24, v25
	v_exp_f32_e32 v24, v24
	v_cvt_i32_f32_e32 v25, v46
	v_cmp_ngt_f32_e32 vcc, s98, v16
	v_add_f32_e32 v5, v11, v5
	v_ldexp_f32 v24, v24, v25
	v_cndmask_b32_e32 v24, 0, v24, vcc
	v_cmp_nlt_f32_e32 vcc, s58, v16
	s_nop 1
	v_cndmask_b32_e32 v16, v126, v24, vcc
	v_mul_f32_e32 v24, 0x3fb8aa3b, v15
	v_fma_f32 v25, v15, s41, -v24
	v_rndne_f32_e32 v46, v24
	v_fmac_f32_e32 v25, 0x32a5705f, v15
	v_sub_f32_e32 v24, v24, v46
	v_add_f32_e32 v24, v24, v25
	v_exp_f32_e32 v24, v24
	v_cvt_i32_f32_e32 v25, v46
	v_cmp_ngt_f32_e32 vcc, s98, v15
	v_add_f32_e32 v5, v16, v5
	v_ldexp_f32 v24, v24, v25
	v_cndmask_b32_e32 v24, 0, v24, vcc
	v_cmp_nlt_f32_e32 vcc, s58, v15
	s_nop 1
	v_cndmask_b32_e32 v15, v126, v24, vcc
	;; [unrolled: 15-line block ×3, first 2 shown]
	v_mul_f32_e32 v24, 0x3fb8aa3b, v19
	v_fma_f32 v25, v19, s41, -v24
	v_rndne_f32_e32 v46, v24
	v_fmac_f32_e32 v25, 0x32a5705f, v19
	v_sub_f32_e32 v24, v24, v46
	v_add_f32_e32 v24, v24, v25
	v_exp_f32_e32 v24, v24
	v_cvt_i32_f32_e32 v25, v46
	v_cmp_ngt_f32_e32 vcc, s98, v19
	v_add_f32_e32 v5, v17, v5
	v_cvt_pk_f16_f32 v15, v15, v17
	v_ldexp_f32 v24, v24, v25
	v_cndmask_b32_e32 v24, 0, v24, vcc
	v_cmp_nlt_f32_e32 vcc, s58, v19
	v_mul_f32_e32 v19, 0x3fb8aa3b, v18
	v_rndne_f32_e32 v25, v19
	v_cndmask_b32_e32 v55, v126, v24, vcc
	v_fma_f32 v24, v18, s41, -v19
	v_fmac_f32_e32 v24, 0x32a5705f, v18
	v_sub_f32_e32 v19, v19, v25
	v_add_f32_e32 v19, v19, v24
	v_exp_f32_e32 v19, v19
	v_cvt_i32_f32_e32 v24, v25
	v_cmp_ngt_f32_e32 vcc, s98, v18
	v_add_f32_e32 v5, v55, v5
	v_ldexp_f32 v19, v19, v24
	v_cndmask_b32_e32 v19, 0, v19, vcc
	v_cmp_nlt_f32_e32 vcc, s58, v18
	v_mul_f32_e32 v18, 0x3fb8aa3b, v9
	v_rndne_f32_e32 v24, v18
	v_cndmask_b32_e32 v56, v126, v19, vcc
	v_fma_f32 v19, v9, s41, -v18
	v_fmac_f32_e32 v19, 0x32a5705f, v9
	v_sub_f32_e32 v18, v18, v24
	v_add_f32_e32 v18, v18, v19
	v_exp_f32_e32 v18, v18
	v_cvt_i32_f32_e32 v19, v24
	v_cmp_ngt_f32_e32 vcc, s98, v9
	v_add_f32_e32 v5, v56, v5
	;; [unrolled: 14-line block ×3, first 2 shown]
	v_ldexp_f32 v9, v9, v18
	v_cndmask_b32_e32 v9, 0, v9, vcc
	v_cmp_nlt_f32_e32 vcc, s58, v8
	v_sub_f32_e32 v8, v21, v12
	s_nop 0
	v_cndmask_b32_e32 v59, v126, v9, vcc
	v_mul_f32_e32 v9, 0x3fb8aa3b, v8
	v_fma_f32 v18, v8, s41, -v9
	v_rndne_f32_e32 v19, v9
	v_fmac_f32_e32 v18, 0x32a5705f, v8
	v_sub_f32_e32 v9, v9, v19
	v_add_f32_e32 v9, v9, v18
	v_exp_f32_e32 v9, v9
	v_cvt_i32_f32_e32 v18, v19
	v_cmp_ngt_f32_e32 vcc, s98, v8
	v_add_f32_e32 v5, v59, v5
	v_cvt_pk_f16_f32 v17, v57, v59
	v_ldexp_f32 v9, v9, v18
	v_cndmask_b32_e32 v9, 0, v9, vcc
	v_cmp_nlt_f32_e32 vcc, s58, v8
	v_mul_f32_e32 v8, 0x3fb8aa3b, v2
	v_rndne_f32_e32 v18, v8
	v_cndmask_b32_e32 v58, v126, v9, vcc
	v_fma_f32 v9, v2, s41, -v8
	v_fmac_f32_e32 v9, 0x32a5705f, v2
	v_sub_f32_e32 v8, v8, v18
	v_add_f32_e32 v8, v8, v9
	v_exp_f32_e32 v8, v8
	v_cvt_i32_f32_e32 v9, v18
	v_cmp_ngt_f32_e32 vcc, s98, v2
	v_add_f32_e32 v5, v58, v5
	v_ldexp_f32 v8, v8, v9
	v_cndmask_b32_e32 v8, 0, v8, vcc
	v_cmp_nlt_f32_e32 vcc, s58, v2
	s_nop 1
	v_cndmask_b32_e32 v60, v126, v8, vcc
	v_add_f32_e32 v2, v60, v5
	v_mul_f32_e32 v5, 0x3fb8aa3b, v4
	v_fma_f32 v8, v4, s41, -v5
	v_rndne_f32_e32 v9, v5
	v_fmac_f32_e32 v8, 0x32a5705f, v4
	v_sub_f32_e32 v5, v5, v9
	v_add_f32_e32 v5, v5, v8
	v_exp_f32_e32 v5, v5
	v_cvt_i32_f32_e32 v8, v9
	v_cmp_ngt_f32_e32 vcc, s98, v4
	v_ldexp_f32 v5, v5, v8
	s_nop 0
	v_cndmask_b32_e32 v5, 0, v5, vcc
	v_cmp_nlt_f32_e32 vcc, s58, v4
	v_mul_f32_e32 v4, 0x3fb8aa3b, v3
	v_rndne_f32_e32 v8, v4
	v_cndmask_b32_e32 v61, v126, v5, vcc
	v_fma_f32 v5, v3, s41, -v4
	v_fmac_f32_e32 v5, 0x32a5705f, v3
	v_sub_f32_e32 v4, v4, v8
	v_add_f32_e32 v4, v4, v5
	v_exp_f32_e32 v4, v4
	v_cvt_i32_f32_e32 v5, v8
	v_cmp_ngt_f32_e32 vcc, s98, v3
	v_add_f32_e32 v2, v61, v2
	v_ldexp_f32 v4, v4, v5
	v_cndmask_b32_e32 v4, 0, v4, vcc
	v_cmp_nlt_f32_e32 vcc, s58, v3
	s_nop 1
	v_cndmask_b32_e32 v62, v126, v4, vcc
	v_add_f32_e32 v21, v62, v2
	v_sub_f32_e32 v2, v22, v12
	v_mul_f32_e32 v3, 0x3fb8aa3b, v2
	v_fma_f32 v4, v2, s41, -v3
	v_rndne_f32_e32 v5, v3
	v_fmac_f32_e32 v4, 0x32a5705f, v2
	v_sub_f32_e32 v3, v3, v5
	v_add_f32_e32 v3, v3, v4
	v_exp_f32_e32 v3, v3
	v_cvt_i32_f32_e32 v4, v5
	v_cmp_ngt_f32_e32 vcc, s98, v2
	v_ldexp_f32 v3, v3, v4
	s_nop 0
	v_cndmask_b32_e32 v3, 0, v3, vcc
	v_cmp_nlt_f32_e32 vcc, s58, v2
	v_lshl_add_u64 v[4:5], v[38:39], 2, s[0:1]
	v_lshl_add_u64 v[46:47], v[4:5], 0, v[28:29]
	v_cndmask_b32_e32 v3, v126, v3, vcc
	v_cmp_le_f32_e32 vcc, s59, v2
	s_nop 1
	v_cndmask_b32_e32 v2, 0, v3, vcc
	v_fmac_f32_e32 v21, v23, v2
	v_cvt_f16_f32_e32 v2, v2
	v_mul_u32_u24_e32 v2, 0x10001, v2
	v_pk_mul_f16 v19, v95, v2
	v_pk_mul_f16 v18, v112, v2
	;; [unrolled: 1-line block ×8, first 2 shown]
	v_lshl_add_u64 v[2:3], v[36:37], 2, s[0:1]
	v_lshl_add_u64 v[2:3], v[2:3], 0, v[28:29]
	global_load_dwordx4 v[2:5], v[2:3], off
	v_add_u32_e32 v28, v82, v76
	s_waitcnt vmcnt(0)
	ds_write_b128 v77, v[2:5]
	global_load_dwordx4 v[2:5], v[46:47], off
	s_waitcnt vmcnt(0)
	ds_write_b128 v118, v[2:5]
	s_waitcnt lgkmcnt(0)
	s_barrier
	ds_read_u16 v1, v83 offset:144
	v_cvt_f32_f16_e32 v2, v19
	v_cvt_f32_f16_sdwa v3, v19 dst_sel:DWORD dst_unused:UNUSED_PAD src0_sel:WORD_1
	v_cvt_f32_f16_e32 v4, v18
	v_cvt_f32_f16_sdwa v5, v18 dst_sel:DWORD dst_unused:UNUSED_PAD src0_sel:WORD_1
	ds_read_u16 v18, v54
	ds_read_u16 v48, v54 offset:32
	ds_read_u16 v19, v28
	ds_read_u16 v49, v28 offset:32
	s_waitcnt lgkmcnt(1)
	v_perm_b32 v47, v19, v18, s60
	ds_read_u16 v18, v83
	ds_read_u16 v53, v83 offset:32
	v_cvt_pk_f16_f32 v19, v10, v14
	s_waitcnt lgkmcnt(1)
	v_perm_b32 v46, v1, v18, s60
	v_cvt_pk_f16_f32 v18, v6, v7
	ds_read_u16 v6, v83 offset:2304
	ds_read_u16 v10, v83 offset:2448
	;; [unrolled: 1-line block ×4, first 2 shown]
	v_mfma_f32_16x16x16_f16 v[2:5], v[46:47], v[18:19], v[2:5]
	s_waitcnt lgkmcnt(2)
	v_perm_b32 v6, v10, v6, s60
	s_waitcnt lgkmcnt(0)
	v_perm_b32 v7, v14, v7, s60
	v_cvt_pk_f16_f32 v14, v11, v16
	s_nop 2
	v_cvt_f16_f32_e32 v1, v2
	v_cvt_f16_f32_e32 v3, v3
	;; [unrolled: 1-line block ×4, first 2 shown]
	v_cvt_f32_f16_e32 v2, v1
	v_cvt_f32_f16_e32 v3, v3
	;; [unrolled: 1-line block ×4, first 2 shown]
	v_cvt_pk_f16_f32 v16, v55, v56
	s_nop 0
	v_mfma_f32_16x16x16_f16 v[2:5], v[6:7], v[14:15], v[2:5]
	ds_read_u16 v6, v83 offset:4608
	ds_read_u16 v10, v83 offset:4752
	;; [unrolled: 1-line block ×4, first 2 shown]
	s_nop 3
	v_cvt_f16_f32_e32 v1, v2
	v_cvt_f16_f32_e32 v3, v3
	;; [unrolled: 1-line block ×4, first 2 shown]
	s_waitcnt lgkmcnt(0)
	v_perm_b32 v7, v11, v7, s60
	v_perm_b32 v6, v10, v6, s60
	v_cvt_f32_f16_e32 v2, v1
	v_cvt_f32_f16_e32 v3, v3
	;; [unrolled: 1-line block ×4, first 2 shown]
	s_nop 1
	v_mfma_f32_16x16x16_f16 v[2:5], v[6:7], v[16:17], v[2:5]
	ds_read_u16 v6, v83 offset:6912
	ds_read_u16 v10, v83 offset:7056
	;; [unrolled: 1-line block ×5, first 2 shown]
	s_nop 2
	v_cvt_f16_f32_e32 v1, v2
	v_cvt_f16_f32_e32 v3, v3
	;; [unrolled: 1-line block ×4, first 2 shown]
	s_waitcnt lgkmcnt(1)
	v_perm_b32 v7, v11, v7, s60
	v_perm_b32 v6, v10, v6, s60
	v_cvt_f32_f16_e32 v2, v1
	v_cvt_f32_f16_e32 v3, v3
	;; [unrolled: 1-line block ×4, first 2 shown]
	v_cvt_pk_f16_f32 v11, v61, v62
	v_cvt_pk_f16_f32 v10, v58, v60
	s_nop 1
	v_mfma_f32_16x16x16_f16 v[2:5], v[6:7], v[10:11], v[2:5]
	v_cvt_f32_f16_e32 v6, v22
	v_cvt_f32_f16_sdwa v7, v22 dst_sel:DWORD dst_unused:UNUSED_PAD src0_sel:WORD_1
	s_waitcnt lgkmcnt(0)
	v_perm_b32 v22, v46, v53, s60
	s_nop 3
	v_cvt_f16_f32_e32 v1, v4
	v_cvt_f16_f32_e32 v4, v5
	v_cvt_f32_f16_sdwa v5, v23 dst_sel:DWORD dst_unused:UNUSED_PAD src0_sel:WORD_1
	v_perm_b32 v1, v4, v1, s60
	v_cvt_f32_f16_e32 v4, v23
	v_perm_b32 v23, v49, v48, s60
	v_cvt_f32_f16_e32 v48, v8
	v_cvt_f32_f16_sdwa v49, v8 dst_sel:DWORD dst_unused:UNUSED_PAD src0_sel:WORD_1
	v_mfma_f32_16x16x16_f16 v[4:7], v[22:23], v[18:19], v[4:7]
	ds_read_u16 v22, v83 offset:2336
	ds_read_u16 v46, v83 offset:2480
	;; [unrolled: 1-line block ×4, first 2 shown]
	s_nop 3
	v_cvt_f16_f32_e32 v4, v4
	v_cvt_f16_f32_e32 v5, v5
	;; [unrolled: 1-line block ×4, first 2 shown]
	s_waitcnt lgkmcnt(0)
	v_perm_b32 v23, v47, v23, s60
	v_perm_b32 v22, v46, v22, s60
	v_cvt_f32_f16_e32 v4, v4
	v_cvt_f32_f16_e32 v5, v5
	;; [unrolled: 1-line block ×4, first 2 shown]
	s_nop 1
	v_mfma_f32_16x16x16_f16 v[4:7], v[22:23], v[14:15], v[4:7]
	ds_read_u16 v22, v83 offset:4640
	ds_read_u16 v46, v83 offset:4784
	;; [unrolled: 1-line block ×4, first 2 shown]
	s_nop 3
	v_cvt_f16_f32_e32 v4, v4
	v_cvt_f16_f32_e32 v5, v5
	;; [unrolled: 1-line block ×4, first 2 shown]
	s_waitcnt lgkmcnt(0)
	v_perm_b32 v23, v47, v23, s60
	v_perm_b32 v22, v46, v22, s60
	v_cvt_f32_f16_e32 v4, v4
	v_cvt_f32_f16_e32 v5, v5
	;; [unrolled: 1-line block ×4, first 2 shown]
	s_nop 1
	v_mfma_f32_16x16x16_f16 v[4:7], v[22:23], v[16:17], v[4:7]
	ds_read_u16 v22, v83 offset:6944
	ds_read_u16 v46, v83 offset:7088
	;; [unrolled: 1-line block ×4, first 2 shown]
	s_nop 3
	v_cvt_f16_f32_e32 v4, v4
	v_cvt_f16_f32_e32 v5, v5
	;; [unrolled: 1-line block ×4, first 2 shown]
	s_waitcnt lgkmcnt(0)
	v_perm_b32 v23, v47, v23, s60
	v_perm_b32 v22, v46, v22, s60
	v_cvt_f32_f16_e32 v4, v4
	v_cvt_f32_f16_e32 v5, v5
	;; [unrolled: 1-line block ×5, first 2 shown]
	v_cvt_f32_f16_sdwa v47, v9 dst_sel:DWORD dst_unused:UNUSED_PAD src0_sel:WORD_1
	v_mfma_f32_16x16x16_f16 v[4:7], v[22:23], v[10:11], v[4:7]
	s_nop 7
	v_cvt_f16_f32_e32 v6, v6
	v_cvt_f16_f32_e32 v7, v7
	v_perm_b32 v22, v7, v6, s60
	ds_read_u16 v6, v83 offset:64
	ds_read_u16 v23, v83 offset:208
	;; [unrolled: 1-line block ×4, first 2 shown]
	s_waitcnt lgkmcnt(2)
	v_perm_b32 v6, v23, v6, s60
	s_waitcnt lgkmcnt(0)
	v_perm_b32 v7, v53, v7, s60
	s_nop 1
	v_mfma_f32_16x16x16_f16 v[6:9], v[6:7], v[18:19], v[46:49]
	ds_read_u16 v23, v83 offset:2368
	s_nop 1
	ds_read_u16 v46, v83 offset:2512
	ds_read_u16 v47, v54 offset:2368
	ds_read_u16 v48, v28 offset:2368
	v_cvt_f32_f16_sdwa v49, v24 dst_sel:DWORD dst_unused:UNUSED_PAD src0_sel:WORD_1
	s_nop 0
	v_cvt_f16_f32_e32 v6, v6
	v_cvt_f16_f32_e32 v7, v7
	;; [unrolled: 1-line block ×4, first 2 shown]
	s_waitcnt lgkmcnt(0)
	v_perm_b32 v47, v48, v47, s60
	v_perm_b32 v46, v46, v23, s60
	v_cvt_f32_f16_e32 v6, v6
	v_cvt_f32_f16_e32 v7, v7
	;; [unrolled: 1-line block ×4, first 2 shown]
	s_nop 1
	v_mfma_f32_16x16x16_f16 v[6:9], v[46:47], v[14:15], v[6:9]
	ds_read_u16 v23, v83 offset:4672
	ds_read_u16 v46, v83 offset:4816
	;; [unrolled: 1-line block ×4, first 2 shown]
	s_nop 3
	v_cvt_f16_f32_e32 v6, v6
	v_cvt_f16_f32_e32 v7, v7
	v_cvt_f16_f32_e32 v8, v8
	v_cvt_f16_f32_e32 v9, v9
	s_waitcnt lgkmcnt(0)
	v_perm_b32 v47, v48, v47, s60
	v_perm_b32 v46, v46, v23, s60
	v_cvt_f32_f16_e32 v6, v6
	v_cvt_f32_f16_e32 v7, v7
	;; [unrolled: 1-line block ×4, first 2 shown]
	s_nop 1
	v_mfma_f32_16x16x16_f16 v[6:9], v[46:47], v[16:17], v[6:9]
	ds_read_u16 v23, v83 offset:6976
	ds_read_u16 v46, v83 offset:7120
	;; [unrolled: 1-line block ×4, first 2 shown]
	s_nop 3
	v_cvt_f16_f32_e32 v6, v6
	v_cvt_f16_f32_e32 v7, v7
	;; [unrolled: 1-line block ×4, first 2 shown]
	s_waitcnt lgkmcnt(0)
	v_perm_b32 v47, v48, v47, s60
	v_perm_b32 v46, v46, v23, s60
	v_cvt_f32_f16_e32 v6, v6
	v_cvt_f32_f16_e32 v7, v7
	;; [unrolled: 1-line block ×5, first 2 shown]
	s_nop 0
	v_mfma_f32_16x16x16_f16 v[6:9], v[46:47], v[10:11], v[6:9]
	v_cvt_f32_f16_e32 v46, v25
	v_cvt_f32_f16_sdwa v47, v25 dst_sel:DWORD dst_unused:UNUSED_PAD src0_sel:WORD_1
	s_nop 5
	v_cvt_f16_f32_e32 v8, v8
	v_cvt_f16_f32_e32 v9, v9
	v_perm_b32 v23, v9, v8, s60
	ds_read_u16 v8, v83 offset:96
	ds_read_u16 v53, v83 offset:240
	;; [unrolled: 1-line block ×4, first 2 shown]
	s_waitcnt lgkmcnt(2)
	v_perm_b32 v8, v53, v8, s60
	s_waitcnt lgkmcnt(0)
	v_perm_b32 v9, v55, v9, s60
	s_nop 1
	v_mfma_f32_16x16x16_f16 v[46:49], v[8:9], v[18:19], v[46:49]
	ds_read_u16 v8, v83 offset:2400
	ds_read_u16 v25, v83 offset:2544
	;; [unrolled: 1-line block ×4, first 2 shown]
	s_nop 3
	v_cvt_f16_f32_e32 v9, v46
	v_cvt_f16_f32_e32 v18, v47
	;; [unrolled: 1-line block ×4, first 2 shown]
	v_cvt_f32_f16_e32 v46, v9
	s_waitcnt lgkmcnt(0)
	v_perm_b32 v9, v55, v53, s60
	v_perm_b32 v8, v25, v8, s60
	v_cvt_f32_f16_e32 v47, v18
	v_cvt_f32_f16_e32 v48, v19
	;; [unrolled: 1-line block ×3, first 2 shown]
	ds_read_u16 v18, v83 offset:4704
	ds_read_u16 v19, v83 offset:4848
	;; [unrolled: 1-line block ×4, first 2 shown]
	v_mfma_f32_16x16x16_f16 v[46:49], v[8:9], v[14:15], v[46:49]
	s_nop 7
	v_cvt_f16_f32_e32 v8, v46
	v_cvt_f16_f32_e32 v9, v47
	;; [unrolled: 1-line block ×4, first 2 shown]
	v_cvt_f32_f16_e32 v46, v8
	v_cvt_f32_f16_e32 v47, v9
	s_waitcnt lgkmcnt(0)
	v_perm_b32 v9, v25, v24, s60
	v_perm_b32 v8, v19, v18, s60
	v_cvt_f32_f16_e32 v48, v14
	v_cvt_f32_f16_e32 v49, v15
	s_nop 1
	v_mfma_f32_16x16x16_f16 v[14:17], v[8:9], v[16:17], v[46:49]
	ds_read_u16 v8, v83 offset:7008
	ds_read_u16 v9, v83 offset:7152
	;; [unrolled: 1-line block ×4, first 2 shown]
	s_waitcnt lgkmcnt(0)
	s_barrier
	s_nop 1
	v_cvt_f16_f32_e32 v14, v14
	v_cvt_f16_f32_e32 v15, v15
	;; [unrolled: 1-line block ×4, first 2 shown]
	v_perm_b32 v19, v19, v18, s60
	v_perm_b32 v18, v9, v8, s60
	v_cvt_f32_f16_e32 v14, v14
	v_cvt_f32_f16_e32 v15, v15
	;; [unrolled: 1-line block ×4, first 2 shown]
	s_nop 1
	v_mfma_f32_16x16x16_f16 v[8:11], v[18:19], v[10:11], v[14:17]
	s_nop 7
	v_cvt_f16_f32_e32 v10, v10
	v_cvt_f16_f32_e32 v11, v11
	v_perm_b32 v10, v11, v10, s60
	ds_bpermute_b32 v11, v20, v21
	s_waitcnt lgkmcnt(0)
	v_add_f32_e32 v11, v21, v11
	ds_bpermute_b32 v13, v13, v11
	s_waitcnt lgkmcnt(0)
	v_add_f32_e32 v13, v11, v13
	s_cbranch_scc1 .LBB0_148
; %bb.147:                              ;   in Loop: Header=BB0_13 Depth=1
	v_cvt_pk_f16_f32 v3, v2, v3
	v_and_b32_e32 v2, 3, v0
	v_lshlrev_b32_e32 v2, 2, v2
	v_cvt_pk_f16_f32 v5, v4, v5
	global_load_dword v4, v2, s[72:73]
	v_cvt_pk_f16_f32 v6, v6, v7
	v_cvt_pk_f16_f32 v7, v8, v9
	v_max_f32_e32 v8, v12, v12
	s_waitcnt vmcnt(0)
	v_max_f32_e32 v2, v4, v4
	v_max_f32_e32 v2, v8, v2
	v_sub_f32_e32 v8, v12, v2
	v_mul_f32_e32 v9, 0x3fb8aa3b, v8
	v_fma_f32 v11, v8, s41, -v9
	v_rndne_f32_e32 v12, v9
	v_fmac_f32_e32 v11, 0x32a5705f, v8
	v_sub_f32_e32 v9, v9, v12
	v_add_f32_e32 v9, v9, v11
	v_exp_f32_e32 v9, v9
	v_cvt_i32_f32_e32 v11, v12
	v_cmp_ngt_f32_e32 vcc, s98, v8
	v_ldexp_f32 v9, v9, v11
	s_nop 0
	v_cndmask_b32_e32 v9, 0, v9, vcc
	v_cmp_nlt_f32_e32 vcc, s58, v8
	s_nop 1
	v_cndmask_b32_e32 v9, v126, v9, vcc
	v_cmp_le_f32_e32 vcc, s59, v8
	s_nop 1
	v_cndmask_b32_e32 v8, 0, v9, vcc
	v_sub_f32_e32 v9, v4, v2
	v_cvt_f16_f32_e32 v4, v8
	v_cmp_ngt_f32_e32 vcc, s98, v9
	v_mul_u32_u24_e32 v11, 0x10001, v4
	v_pk_mul_f16 v4, v3, v11
	v_mul_f32_e32 v3, 0x3fb8aa3b, v9
	v_pk_mul_f16 v1, v1, v11
	v_pk_mul_f16 v5, v5, v11
	;; [unrolled: 1-line block ×7, first 2 shown]
	v_fma_f32 v11, v9, s41, -v3
	v_rndne_f32_e32 v12, v3
	v_fmac_f32_e32 v11, 0x32a5705f, v9
	v_sub_f32_e32 v3, v3, v12
	v_add_f32_e32 v3, v3, v11
	v_exp_f32_e32 v3, v3
	v_cvt_i32_f32_e32 v11, v12
	v_ldexp_f32 v3, v3, v11
	v_cndmask_b32_e32 v3, 0, v3, vcc
	v_cmp_nlt_f32_e32 vcc, s58, v9
	s_nop 1
	v_cndmask_b32_e32 v3, v126, v3, vcc
	v_fmac_f32_e32 v3, v13, v8
	v_mov_b64_e32 v[12:13], v[2:3]
	s_branch .LBB0_149
.LBB0_148:                              ;   in Loop: Header=BB0_13 Depth=1
	v_cvt_f16_f32_e32 v2, v2
	v_cvt_f16_f32_e32 v3, v3
	;; [unrolled: 1-line block ×8, first 2 shown]
	v_perm_b32 v4, v3, v2, s60
	v_perm_b32 v5, v5, v11, s60
	v_perm_b32 v6, v7, v6, s60
	v_perm_b32 v7, v9, v8, s60
.LBB0_149:                              ;   in Loop: Header=BB0_13 Depth=1
	s_mov_b64 s[72:73], exec
	v_readlane_b32 s0, v127, 20
	v_readlane_b32 s1, v127, 21
	s_and_b64 s[0:1], s[72:73], s[0:1]
	s_mov_b64 exec, s[0:1]
	s_cbranch_execz .LBB0_151
; %bb.150:                              ;   in Loop: Header=BB0_13 Depth=1
	scratch_load_dword v2, off, off offset:20 ; 4-byte Folded Reload
	s_waitcnt vmcnt(0)
	ds_write2_b32 v2, v12, v13 offset0:32 offset1:33
.LBB0_151:                              ;   in Loop: Header=BB0_13 Depth=1
	s_or_b64 exec, exec, s[72:73]
	v_add_u32_e32 v2, v78, v92
	s_waitcnt lgkmcnt(0)
	s_barrier
	ds_write2_b32 v2, v4, v1 offset1:1
	ds_write2_b32 v2, v5, v22 offset0:8 offset1:9
	ds_write2_b32 v2, v6, v23 offset0:16 offset1:17
	;; [unrolled: 1-line block ×3, first 2 shown]
	v_mov_b32_e32 v1, 50
	s_waitcnt lgkmcnt(0)
	s_barrier
	s_and_saveexec_b64 s[72:73], s[92:93]
	s_cbranch_execz .LBB0_153
; %bb.152:                              ;   in Loop: Header=BB0_13 Depth=1
	v_mad_u64_u32 v[2:3], s[0:1], v104, s25, v[40:41]
	scratch_load_dword v3, off, off offset:8 ; 4-byte Folded Reload
	ds_read_b32 v1, v93 offset:132
	v_lshl_or_b32 v2, v2, 5, v26
	s_waitcnt vmcnt(0)
	ds_read_b32 v4, v3
	v_ashrrev_i32_e32 v3, 31, v2
	v_lshl_add_u64 v[2:3], v[2:3], 3, s[70:71]
	s_waitcnt lgkmcnt(0)
	v_cvt_f32_f16_sdwa v5, v4 dst_sel:DWORD dst_unused:UNUSED_PAD src0_sel:WORD_1
	v_cvt_f32_f16_e32 v4, v4
	v_pk_add_f32 v[4:5], v[4:5], 0 op_sel_hi:[1,0]
	s_nop 0
	v_div_scale_f32 v6, s[0:1], v1, v1, v5
	v_rcp_f32_e32 v7, v6
	s_nop 0
	v_fma_f32 v8, -v6, v7, 1.0
	v_fmac_f32_e32 v7, v8, v7
	v_div_scale_f32 v8, vcc, v5, v1, v5
	v_mul_f32_e32 v9, v8, v7
	v_fma_f32 v10, -v6, v9, v8
	v_fmac_f32_e32 v9, v10, v7
	v_fma_f32 v6, -v6, v9, v8
	v_div_fmas_f32 v6, v6, v7, v9
	v_div_fixup_f32 v5, v6, v1, v5
	v_div_scale_f32 v6, s[0:1], v1, v1, v4
	v_rcp_f32_e32 v7, v6
	s_nop 0
	v_fma_f32 v8, -v6, v7, 1.0
	v_fmac_f32_e32 v7, v8, v7
	v_div_scale_f32 v8, vcc, v4, v1, v4
	v_mul_f32_e32 v9, v8, v7
	v_fma_f32 v10, -v6, v9, v8
	v_fmac_f32_e32 v9, v10, v7
	v_fma_f32 v6, -v6, v9, v8
	v_div_fmas_f32 v6, v6, v7, v9
	v_div_fixup_f32 v4, v6, v1, v4
	v_mov_b32_e32 v1, 0
	global_store_dwordx2 v[2:3], v[4:5], off
.LBB0_153:                              ;   in Loop: Header=BB0_13 Depth=1
	s_or_b64 exec, exec, s[72:73]
	v_cmp_gt_i32_e32 vcc, 50, v1
	s_mov_b64 s[74:75], -1
	s_and_saveexec_b64 s[72:73], vcc
; %bb.154:                              ;   in Loop: Header=BB0_13 Depth=1
	v_cmp_eq_u32_e32 vcc, 0, v1
	s_orn2_b64 s[74:75], vcc, exec
; %bb.155:                              ;   in Loop: Header=BB0_13 Depth=1
	s_or_b64 exec, exec, s[72:73]
                                        ; implicit-def: $vgpr4_vgpr5
                                        ; implicit-def: $vgpr2
	s_and_saveexec_b64 s[72:73], s[74:75]
	s_cbranch_execz .LBB0_195
; %bb.156:                              ;   in Loop: Header=BB0_13 Depth=1
	v_mov_b32_e32 v1, 50
	s_and_saveexec_b64 s[74:75], s[90:91]
	s_cbranch_execz .LBB0_158
; %bb.157:                              ;   in Loop: Header=BB0_13 Depth=1
	v_mad_u64_u32 v[2:3], s[0:1], v111, s25, v[40:41]
	scratch_load_dword v3, off, off offset:56 ; 4-byte Folded Reload
	v_add_u32_e32 v1, 0x480, v93
	ds_read_b32 v1, v1 offset:132
	v_lshl_or_b32 v2, v2, 5, v26
	s_waitcnt vmcnt(0)
	ds_read_b32 v4, v3
	v_ashrrev_i32_e32 v3, 31, v2
	v_lshl_add_u64 v[2:3], v[2:3], 3, s[70:71]
	s_waitcnt lgkmcnt(0)
	v_cvt_f32_f16_sdwa v5, v4 dst_sel:DWORD dst_unused:UNUSED_PAD src0_sel:WORD_1
	v_cvt_f32_f16_e32 v4, v4
	v_pk_add_f32 v[4:5], v[4:5], 0 op_sel_hi:[1,0]
	s_nop 0
	v_div_scale_f32 v6, s[0:1], v1, v1, v5
	v_rcp_f32_e32 v7, v6
	s_nop 0
	v_fma_f32 v8, -v6, v7, 1.0
	v_fmac_f32_e32 v7, v8, v7
	v_div_scale_f32 v8, vcc, v5, v1, v5
	v_mul_f32_e32 v9, v8, v7
	v_fma_f32 v10, -v6, v9, v8
	v_fmac_f32_e32 v9, v10, v7
	v_fma_f32 v6, -v6, v9, v8
	v_div_fmas_f32 v6, v6, v7, v9
	v_div_fixup_f32 v5, v6, v1, v5
	v_div_scale_f32 v6, s[0:1], v1, v1, v4
	v_rcp_f32_e32 v7, v6
	s_nop 0
	v_fma_f32 v8, -v6, v7, 1.0
	v_fmac_f32_e32 v7, v8, v7
	v_div_scale_f32 v8, vcc, v4, v1, v4
	v_mul_f32_e32 v9, v8, v7
	v_fma_f32 v10, -v6, v9, v8
	v_fmac_f32_e32 v9, v10, v7
	v_fma_f32 v6, -v6, v9, v8
	v_div_fmas_f32 v6, v6, v7, v9
	v_div_fixup_f32 v4, v6, v1, v4
	v_mov_b32_e32 v1, 0
	global_store_dwordx2 v[2:3], v[4:5], off
.LBB0_158:                              ;   in Loop: Header=BB0_13 Depth=1
	s_or_b64 exec, exec, s[74:75]
	v_cmp_gt_i32_e32 vcc, 50, v1
	s_mov_b64 s[78:79], -1
	s_and_saveexec_b64 s[74:75], vcc
; %bb.159:                              ;   in Loop: Header=BB0_13 Depth=1
	v_cmp_eq_u32_e32 vcc, 0, v1
	s_orn2_b64 s[78:79], vcc, exec
; %bb.160:                              ;   in Loop: Header=BB0_13 Depth=1
	s_or_b64 exec, exec, s[74:75]
	s_mov_b64 s[76:77], s[6:7]
                                        ; implicit-def: $vgpr4_vgpr5
                                        ; implicit-def: $vgpr2
	s_and_saveexec_b64 s[74:75], s[78:79]
	s_cbranch_execz .LBB0_194
; %bb.161:                              ;   in Loop: Header=BB0_13 Depth=1
	v_mov_b32_e32 v1, 50
	s_and_saveexec_b64 s[76:77], s[88:89]
	s_cbranch_execz .LBB0_163
; %bb.162:                              ;   in Loop: Header=BB0_13 Depth=1
	v_mad_u64_u32 v[2:3], s[0:1], v106, s25, v[40:41]
	scratch_load_dword v1, off, off offset:64 ; 4-byte Folded Reload
	scratch_load_dword v3, off, off offset:68 ; 4-byte Folded Reload
	v_lshl_or_b32 v2, v2, 5, v26
	s_waitcnt vmcnt(1)
	ds_read_b32 v1, v1 offset:132
	s_waitcnt vmcnt(0)
	ds_read_b32 v4, v3
	v_ashrrev_i32_e32 v3, 31, v2
	v_lshl_add_u64 v[2:3], v[2:3], 3, s[70:71]
	s_waitcnt lgkmcnt(0)
	v_cvt_f32_f16_sdwa v5, v4 dst_sel:DWORD dst_unused:UNUSED_PAD src0_sel:WORD_1
	v_cvt_f32_f16_e32 v4, v4
	v_pk_add_f32 v[4:5], v[4:5], 0 op_sel_hi:[1,0]
	s_nop 0
	v_div_scale_f32 v6, s[0:1], v1, v1, v5
	v_rcp_f32_e32 v7, v6
	s_nop 0
	v_fma_f32 v8, -v6, v7, 1.0
	v_fmac_f32_e32 v7, v8, v7
	v_div_scale_f32 v8, vcc, v5, v1, v5
	v_mul_f32_e32 v9, v8, v7
	v_fma_f32 v10, -v6, v9, v8
	v_fmac_f32_e32 v9, v10, v7
	v_fma_f32 v6, -v6, v9, v8
	v_div_fmas_f32 v6, v6, v7, v9
	v_div_fixup_f32 v5, v6, v1, v5
	v_div_scale_f32 v6, s[0:1], v1, v1, v4
	v_rcp_f32_e32 v7, v6
	s_nop 0
	v_fma_f32 v8, -v6, v7, 1.0
	v_fmac_f32_e32 v7, v8, v7
	v_div_scale_f32 v8, vcc, v4, v1, v4
	v_mul_f32_e32 v9, v8, v7
	v_fma_f32 v10, -v6, v9, v8
	v_fmac_f32_e32 v9, v10, v7
	v_fma_f32 v6, -v6, v9, v8
	v_div_fmas_f32 v6, v6, v7, v9
	v_div_fixup_f32 v4, v6, v1, v4
	v_mov_b32_e32 v1, 0
	global_store_dwordx2 v[2:3], v[4:5], off
.LBB0_163:                              ;   in Loop: Header=BB0_13 Depth=1
	s_or_b64 exec, exec, s[76:77]
	v_cmp_gt_i32_e32 vcc, 50, v1
	s_mov_b64 s[88:89], -1
	s_and_saveexec_b64 s[76:77], vcc
; %bb.164:                              ;   in Loop: Header=BB0_13 Depth=1
	v_cmp_eq_u32_e32 vcc, 0, v1
	s_orn2_b64 s[88:89], vcc, exec
; %bb.165:                              ;   in Loop: Header=BB0_13 Depth=1
	s_or_b64 exec, exec, s[76:77]
	s_mov_b64 s[78:79], s[6:7]
                                        ; implicit-def: $vgpr4_vgpr5
                                        ; implicit-def: $vgpr2
	s_and_saveexec_b64 s[76:77], s[88:89]
	s_cbranch_execz .LBB0_193
; %bb.166:                              ;   in Loop: Header=BB0_13 Depth=1
	v_mov_b32_e32 v1, 50
	s_and_saveexec_b64 s[78:79], s[86:87]
	s_cbranch_execz .LBB0_168
; %bb.167:                              ;   in Loop: Header=BB0_13 Depth=1
	v_mad_u64_u32 v[2:3], s[0:1], v103, s25, v[40:41]
	scratch_load_dword v3, off, off offset:72 ; 4-byte Folded Reload
	v_add_u32_e32 v1, 0xd80, v93
	ds_read_b32 v1, v1 offset:132
	v_lshl_or_b32 v2, v2, 5, v26
	s_waitcnt vmcnt(0)
	ds_read_b32 v4, v3
	v_ashrrev_i32_e32 v3, 31, v2
	v_lshl_add_u64 v[2:3], v[2:3], 3, s[70:71]
	s_waitcnt lgkmcnt(0)
	v_cvt_f32_f16_sdwa v5, v4 dst_sel:DWORD dst_unused:UNUSED_PAD src0_sel:WORD_1
	v_cvt_f32_f16_e32 v4, v4
	v_pk_add_f32 v[4:5], v[4:5], 0 op_sel_hi:[1,0]
	s_nop 0
	v_div_scale_f32 v6, s[0:1], v1, v1, v5
	v_rcp_f32_e32 v7, v6
	s_nop 0
	v_fma_f32 v8, -v6, v7, 1.0
	v_fmac_f32_e32 v7, v8, v7
	v_div_scale_f32 v8, vcc, v5, v1, v5
	v_mul_f32_e32 v9, v8, v7
	v_fma_f32 v10, -v6, v9, v8
	v_fmac_f32_e32 v9, v10, v7
	v_fma_f32 v6, -v6, v9, v8
	v_div_fmas_f32 v6, v6, v7, v9
	v_div_fixup_f32 v5, v6, v1, v5
	v_div_scale_f32 v6, s[0:1], v1, v1, v4
	v_rcp_f32_e32 v7, v6
	s_nop 0
	v_fma_f32 v8, -v6, v7, 1.0
	v_fmac_f32_e32 v7, v8, v7
	v_div_scale_f32 v8, vcc, v4, v1, v4
	v_mul_f32_e32 v9, v8, v7
	v_fma_f32 v10, -v6, v9, v8
	v_fmac_f32_e32 v9, v10, v7
	v_fma_f32 v6, -v6, v9, v8
	v_div_fmas_f32 v6, v6, v7, v9
	v_div_fixup_f32 v4, v6, v1, v4
	v_mov_b32_e32 v1, 0
	global_store_dwordx2 v[2:3], v[4:5], off
.LBB0_168:                              ;   in Loop: Header=BB0_13 Depth=1
	s_or_b64 exec, exec, s[78:79]
	v_cmp_gt_i32_e32 vcc, 50, v1
	s_mov_b64 s[88:89], -1
	s_and_saveexec_b64 s[78:79], vcc
; %bb.169:                              ;   in Loop: Header=BB0_13 Depth=1
	v_cmp_eq_u32_e32 vcc, 0, v1
	s_orn2_b64 s[88:89], vcc, exec
; %bb.170:                              ;   in Loop: Header=BB0_13 Depth=1
	s_or_b64 exec, exec, s[78:79]
	s_mov_b64 s[86:87], s[6:7]
                                        ; implicit-def: $vgpr4_vgpr5
                                        ; implicit-def: $vgpr2
	s_and_saveexec_b64 s[78:79], s[88:89]
	s_cbranch_execz .LBB0_192
; %bb.171:                              ;   in Loop: Header=BB0_13 Depth=1
	v_mov_b32_e32 v1, 50
	s_and_saveexec_b64 s[86:87], s[84:85]
	s_cbranch_execz .LBB0_173
; %bb.172:                              ;   in Loop: Header=BB0_13 Depth=1
	v_mad_u64_u32 v[2:3], s[0:1], v108, s25, v[40:41]
	scratch_load_dword v1, off, off offset:80 ; 4-byte Folded Reload
	scratch_load_dword v3, off, off offset:84 ; 4-byte Folded Reload
	v_lshl_or_b32 v2, v2, 5, v26
	s_waitcnt vmcnt(1)
	ds_read_b32 v1, v1 offset:132
	s_waitcnt vmcnt(0)
	ds_read_b32 v4, v3
	v_ashrrev_i32_e32 v3, 31, v2
	v_lshl_add_u64 v[2:3], v[2:3], 3, s[70:71]
	s_waitcnt lgkmcnt(0)
	v_cvt_f32_f16_sdwa v5, v4 dst_sel:DWORD dst_unused:UNUSED_PAD src0_sel:WORD_1
	v_cvt_f32_f16_e32 v4, v4
	v_pk_add_f32 v[4:5], v[4:5], 0 op_sel_hi:[1,0]
	s_nop 0
	v_div_scale_f32 v6, s[0:1], v1, v1, v5
	v_rcp_f32_e32 v7, v6
	s_nop 0
	v_fma_f32 v8, -v6, v7, 1.0
	v_fmac_f32_e32 v7, v8, v7
	v_div_scale_f32 v8, vcc, v5, v1, v5
	v_mul_f32_e32 v9, v8, v7
	v_fma_f32 v10, -v6, v9, v8
	v_fmac_f32_e32 v9, v10, v7
	v_fma_f32 v6, -v6, v9, v8
	v_div_fmas_f32 v6, v6, v7, v9
	v_div_fixup_f32 v5, v6, v1, v5
	v_div_scale_f32 v6, s[0:1], v1, v1, v4
	v_rcp_f32_e32 v7, v6
	s_nop 0
	v_fma_f32 v8, -v6, v7, 1.0
	v_fmac_f32_e32 v7, v8, v7
	v_div_scale_f32 v8, vcc, v4, v1, v4
	v_mul_f32_e32 v9, v8, v7
	v_fma_f32 v10, -v6, v9, v8
	v_fmac_f32_e32 v9, v10, v7
	v_fma_f32 v6, -v6, v9, v8
	v_div_fmas_f32 v6, v6, v7, v9
	v_div_fixup_f32 v4, v6, v1, v4
	v_mov_b32_e32 v1, 0
	global_store_dwordx2 v[2:3], v[4:5], off
.LBB0_173:                              ;   in Loop: Header=BB0_13 Depth=1
	s_or_b64 exec, exec, s[86:87]
	v_cmp_gt_i32_e32 vcc, 50, v1
	s_mov_b64 s[88:89], -1
	s_and_saveexec_b64 s[84:85], vcc
; %bb.174:                              ;   in Loop: Header=BB0_13 Depth=1
	v_cmp_eq_u32_e32 vcc, 0, v1
	s_orn2_b64 s[88:89], vcc, exec
; %bb.175:                              ;   in Loop: Header=BB0_13 Depth=1
	s_or_b64 exec, exec, s[84:85]
	s_mov_b64 s[86:87], s[6:7]
                                        ; implicit-def: $vgpr4_vgpr5
                                        ; implicit-def: $vgpr2
	s_and_saveexec_b64 s[84:85], s[88:89]
	s_cbranch_execz .LBB0_191
; %bb.176:                              ;   in Loop: Header=BB0_13 Depth=1
	v_mov_b32_e32 v1, 50
	s_and_saveexec_b64 s[86:87], s[82:83]
	s_cbranch_execz .LBB0_178
; %bb.177:                              ;   in Loop: Header=BB0_13 Depth=1
	v_mad_u64_u32 v[2:3], s[0:1], v107, s25, v[40:41]
	scratch_load_dword v3, off, off offset:88 ; 4-byte Folded Reload
	v_add_u32_e32 v1, 0x1680, v93
	ds_read_b32 v1, v1 offset:132
	v_lshl_or_b32 v2, v2, 5, v26
	s_waitcnt vmcnt(0)
	ds_read_b32 v4, v3
	v_ashrrev_i32_e32 v3, 31, v2
	v_lshl_add_u64 v[2:3], v[2:3], 3, s[70:71]
	s_waitcnt lgkmcnt(0)
	v_cvt_f32_f16_sdwa v5, v4 dst_sel:DWORD dst_unused:UNUSED_PAD src0_sel:WORD_1
	v_cvt_f32_f16_e32 v4, v4
	v_pk_add_f32 v[4:5], v[4:5], 0 op_sel_hi:[1,0]
	s_nop 0
	v_div_scale_f32 v6, s[0:1], v1, v1, v5
	v_rcp_f32_e32 v7, v6
	s_nop 0
	v_fma_f32 v8, -v6, v7, 1.0
	v_fmac_f32_e32 v7, v8, v7
	v_div_scale_f32 v8, vcc, v5, v1, v5
	v_mul_f32_e32 v9, v8, v7
	v_fma_f32 v10, -v6, v9, v8
	v_fmac_f32_e32 v9, v10, v7
	v_fma_f32 v6, -v6, v9, v8
	v_div_fmas_f32 v6, v6, v7, v9
	v_div_fixup_f32 v5, v6, v1, v5
	v_div_scale_f32 v6, s[0:1], v1, v1, v4
	v_rcp_f32_e32 v7, v6
	s_nop 0
	v_fma_f32 v8, -v6, v7, 1.0
	v_fmac_f32_e32 v7, v8, v7
	v_div_scale_f32 v8, vcc, v4, v1, v4
	v_mul_f32_e32 v9, v8, v7
	v_fma_f32 v10, -v6, v9, v8
	v_fmac_f32_e32 v9, v10, v7
	v_fma_f32 v6, -v6, v9, v8
	v_div_fmas_f32 v6, v6, v7, v9
	v_div_fixup_f32 v4, v6, v1, v4
	v_mov_b32_e32 v1, 0
	global_store_dwordx2 v[2:3], v[4:5], off
.LBB0_178:                              ;   in Loop: Header=BB0_13 Depth=1
	s_or_b64 exec, exec, s[86:87]
	v_cmp_gt_i32_e32 vcc, 50, v1
	s_mov_b64 s[88:89], -1
	s_and_saveexec_b64 s[82:83], vcc
; %bb.179:                              ;   in Loop: Header=BB0_13 Depth=1
	v_cmp_eq_u32_e32 vcc, 0, v1
	s_orn2_b64 s[88:89], vcc, exec
; %bb.180:                              ;   in Loop: Header=BB0_13 Depth=1
	s_or_b64 exec, exec, s[82:83]
	s_mov_b64 s[86:87], s[6:7]
                                        ; implicit-def: $vgpr4_vgpr5
                                        ; implicit-def: $vgpr2
	s_and_saveexec_b64 s[82:83], s[88:89]
	s_cbranch_execz .LBB0_190
; %bb.181:                              ;   in Loop: Header=BB0_13 Depth=1
	v_mov_b32_e32 v1, 50
	s_and_saveexec_b64 s[86:87], s[80:81]
	s_cbranch_execz .LBB0_183
; %bb.182:                              ;   in Loop: Header=BB0_13 Depth=1
	v_mad_u64_u32 v[2:3], s[0:1], v63, s25, v[40:41]
	scratch_load_dword v1, off, off offset:96 ; 4-byte Folded Reload
	scratch_load_dword v3, off, off offset:100 ; 4-byte Folded Reload
	v_lshl_or_b32 v2, v2, 5, v26
	s_waitcnt vmcnt(1)
	ds_read_b32 v1, v1 offset:132
	s_waitcnt vmcnt(0)
	ds_read_b32 v4, v3
	v_ashrrev_i32_e32 v3, 31, v2
	v_lshl_add_u64 v[2:3], v[2:3], 3, s[70:71]
	s_waitcnt lgkmcnt(0)
	v_cvt_f32_f16_sdwa v5, v4 dst_sel:DWORD dst_unused:UNUSED_PAD src0_sel:WORD_1
	v_cvt_f32_f16_e32 v4, v4
	v_pk_add_f32 v[4:5], v[4:5], 0 op_sel_hi:[1,0]
	s_nop 0
	v_div_scale_f32 v6, s[0:1], v1, v1, v5
	v_rcp_f32_e32 v7, v6
	s_nop 0
	v_fma_f32 v8, -v6, v7, 1.0
	v_fmac_f32_e32 v7, v8, v7
	v_div_scale_f32 v8, vcc, v5, v1, v5
	v_mul_f32_e32 v9, v8, v7
	v_fma_f32 v10, -v6, v9, v8
	v_fmac_f32_e32 v9, v10, v7
	v_fma_f32 v6, -v6, v9, v8
	v_div_fmas_f32 v6, v6, v7, v9
	v_div_fixup_f32 v5, v6, v1, v5
	v_div_scale_f32 v6, s[0:1], v1, v1, v4
	v_rcp_f32_e32 v7, v6
	s_nop 0
	v_fma_f32 v8, -v6, v7, 1.0
	v_fmac_f32_e32 v7, v8, v7
	v_div_scale_f32 v8, vcc, v4, v1, v4
	v_mul_f32_e32 v9, v8, v7
	v_fma_f32 v10, -v6, v9, v8
	v_fmac_f32_e32 v9, v10, v7
	v_fma_f32 v6, -v6, v9, v8
	v_div_fmas_f32 v6, v6, v7, v9
	v_div_fixup_f32 v4, v6, v1, v4
	v_mov_b32_e32 v1, 0
	global_store_dwordx2 v[2:3], v[4:5], off
.LBB0_183:                              ;   in Loop: Header=BB0_13 Depth=1
	s_or_b64 exec, exec, s[86:87]
	v_cmp_gt_i32_e32 vcc, 50, v1
	s_mov_b64 s[88:89], -1
	s_and_saveexec_b64 s[80:81], vcc
; %bb.184:                              ;   in Loop: Header=BB0_13 Depth=1
	v_cmp_eq_u32_e32 vcc, 0, v1
	s_orn2_b64 s[88:89], vcc, exec
; %bb.185:                              ;   in Loop: Header=BB0_13 Depth=1
	s_or_b64 exec, exec, s[80:81]
	s_mov_b64 s[86:87], s[6:7]
                                        ; implicit-def: $vgpr4_vgpr5
                                        ; implicit-def: $vgpr2
	s_and_saveexec_b64 s[80:81], s[88:89]
	s_cbranch_execz .LBB0_189
; %bb.186:                              ;   in Loop: Header=BB0_13 Depth=1
	s_mov_b64 s[88:89], s[6:7]
                                        ; implicit-def: $vgpr4_vgpr5
                                        ; implicit-def: $vgpr2
	s_and_saveexec_b64 s[86:87], s[4:5]
	s_cbranch_execz .LBB0_188
; %bb.187:                              ;   in Loop: Header=BB0_13 Depth=1
	v_mad_u64_u32 v[2:3], s[0:1], v51, s25, v[40:41]
	scratch_load_dword v3, off, off offset:104 ; 4-byte Folded Reload
	v_add_u32_e32 v1, 0x1f80, v93
	ds_read_b32 v1, v1 offset:132
	s_or_b64 s[88:89], s[6:7], exec
	s_waitcnt vmcnt(0)
	ds_read_b32 v3, v3
	s_waitcnt lgkmcnt(0)
	v_cvt_f32_f16_sdwa v5, v3 dst_sel:DWORD dst_unused:UNUSED_PAD src0_sel:WORD_1
	v_cvt_f32_f16_e32 v4, v3
	v_pk_add_f32 v[4:5], v[4:5], 0 op_sel_hi:[1,0]
	s_nop 0
	v_div_scale_f32 v3, s[0:1], v1, v1, v5
	v_rcp_f32_e32 v6, v3
	s_nop 0
	v_fma_f32 v7, -v3, v6, 1.0
	v_fmac_f32_e32 v6, v7, v6
	v_div_scale_f32 v7, vcc, v5, v1, v5
	v_mul_f32_e32 v8, v7, v6
	v_fma_f32 v9, -v3, v8, v7
	v_fmac_f32_e32 v8, v9, v6
	v_fma_f32 v3, -v3, v8, v7
	v_div_fmas_f32 v3, v3, v6, v8
	v_div_fixup_f32 v5, v3, v1, v5
	v_div_scale_f32 v3, s[0:1], v1, v1, v4
	v_rcp_f32_e32 v6, v3
	s_nop 0
	v_fma_f32 v7, -v3, v6, 1.0
	v_fmac_f32_e32 v6, v7, v6
	v_div_scale_f32 v7, vcc, v4, v1, v4
	v_mul_f32_e32 v8, v7, v6
	v_fma_f32 v9, -v3, v8, v7
	v_fmac_f32_e32 v8, v9, v6
	v_fma_f32 v3, -v3, v8, v7
	v_div_fmas_f32 v3, v3, v6, v8
	v_div_fixup_f32 v4, v3, v1, v4
.LBB0_188:                              ;   in Loop: Header=BB0_13 Depth=1
	s_or_b64 exec, exec, s[86:87]
	s_andn2_b64 s[0:1], s[6:7], exec
	s_and_b64 s[4:5], s[88:89], exec
	s_or_b64 s[86:87], s[0:1], s[4:5]
.LBB0_189:                              ;   in Loop: Header=BB0_13 Depth=1
	s_or_b64 exec, exec, s[80:81]
	s_andn2_b64 s[0:1], s[6:7], exec
	s_and_b64 s[4:5], s[86:87], exec
	s_or_b64 s[86:87], s[0:1], s[4:5]
.LBB0_190:                              ;   in Loop: Header=BB0_13 Depth=1
	s_or_b64 exec, exec, s[82:83]
	s_andn2_b64 s[0:1], s[6:7], exec
	s_and_b64 s[4:5], s[86:87], exec
	s_or_b64 s[86:87], s[0:1], s[4:5]
.LBB0_191:                              ;   in Loop: Header=BB0_13 Depth=1
	s_or_b64 exec, exec, s[84:85]
	s_andn2_b64 s[0:1], s[6:7], exec
	s_and_b64 s[4:5], s[86:87], exec
	s_or_b64 s[86:87], s[0:1], s[4:5]
.LBB0_192:                              ;   in Loop: Header=BB0_13 Depth=1
	s_or_b64 exec, exec, s[78:79]
	s_andn2_b64 s[0:1], s[6:7], exec
	s_and_b64 s[4:5], s[86:87], exec
	s_or_b64 s[78:79], s[0:1], s[4:5]
.LBB0_193:                              ;   in Loop: Header=BB0_13 Depth=1
	s_or_b64 exec, exec, s[76:77]
	s_andn2_b64 s[0:1], s[6:7], exec
	s_and_b64 s[4:5], s[78:79], exec
	s_or_b64 s[76:77], s[0:1], s[4:5]
.LBB0_194:                              ;   in Loop: Header=BB0_13 Depth=1
	s_or_b64 exec, exec, s[74:75]
	s_andn2_b64 s[0:1], s[6:7], exec
	s_and_b64 s[4:5], s[76:77], exec
	s_or_b64 s[6:7], s[0:1], s[4:5]
.LBB0_195:                              ;   in Loop: Header=BB0_13 Depth=1
	s_or_b64 exec, exec, s[72:73]
	s_and_saveexec_b64 s[4:5], s[6:7]
	s_cbranch_execz .LBB0_12
.LBB0_196:                              ;   in Loop: Header=BB0_13 Depth=1
	v_lshl_or_b32 v2, v2, 5, v26
	v_ashrrev_i32_e32 v3, 31, v2
	v_lshl_add_u64 v[2:3], v[2:3], 3, s[70:71]
	global_store_dwordx2 v[2:3], v[4:5], off
	s_branch .LBB0_12
.LBB0_197:
	v_readlane_b32 s54, v127, 31
	v_readlane_b32 s55, v127, 32
	s_andn2_b64 vcc, exec, s[4:5]
	s_cbranch_vccnz .LBB0_10
.LBB0_198:
	v_readlane_b32 s7, v127, 3
	s_abs_i32 s1, s7
	v_cvt_f32_u32_e32 v1, s1
	s_sub_i32 s4, 0, s1
	s_abs_i32 s3, s50
	s_xor_b32 s2, s50, s7
	v_rcp_iflag_f32_e32 v1, v1
	s_ashr_i32 s2, s2, 31
	v_readlane_b32 s17, v127, 2
	v_readlane_b32 s20, v127, 1
	v_mul_f32_e32 v1, 0x4f7ffffe, v1
	v_cvt_u32_f32_e32 v1, v1
	v_mov_b32_e32 v8, s0
	v_readfirstlane_b32 s5, v1
	s_mul_i32 s4, s4, s5
	s_mul_hi_u32 s4, s5, s4
	s_add_i32 s5, s5, s4
	s_mul_hi_u32 s4, s3, s5
	s_mul_i32 s5, s4, s1
	s_sub_i32 s3, s3, s5
	s_add_i32 s6, s4, 1
	s_sub_i32 s5, s3, s1
	s_cmp_ge_u32 s3, s1
	s_cselect_b32 s4, s6, s4
	s_cselect_b32 s3, s5, s3
	s_add_i32 s5, s4, 1
	s_cmp_ge_u32 s3, s1
	s_cselect_b32 s1, s5, s4
	s_abs_i32 s4, s17
	v_cvt_f32_u32_e32 v1, s4
	s_xor_b32 s1, s1, s2
	s_sub_i32 s3, s1, s2
	s_sub_i32 s5, 0, s4
	v_rcp_iflag_f32_e32 v1, v1
	s_mul_i32 s1, s3, s7
	s_sub_i32 s1, s50, s1
	s_abs_i32 s6, s1
	v_mul_f32_e32 v1, 0x4f7ffffe, v1
	v_cvt_u32_f32_e32 v1, v1
	s_xor_b32 s2, s1, s17
	s_ashr_i32 s2, s2, 31
	v_readfirstlane_b32 s7, v1
	s_mul_i32 s5, s5, s7
	s_mul_hi_u32 s5, s7, s5
	s_add_i32 s7, s7, s5
	s_mul_hi_u32 s5, s6, s7
	s_mul_i32 s7, s5, s4
	s_sub_i32 s6, s6, s7
	s_add_i32 s16, s5, 1
	s_sub_i32 s7, s6, s4
	s_cmp_ge_u32 s6, s4
	s_cselect_b32 s5, s16, s5
	s_cselect_b32 s6, s7, s6
	s_add_i32 s7, s5, 1
	s_cmp_ge_u32 s6, s4
	s_cselect_b32 s4, s7, s5
	s_abs_i32 s5, s20
	v_cvt_f32_u32_e32 v1, s5
	s_xor_b32 s4, s4, s2
	s_sub_i32 s6, 0, s5
	s_sub_i32 s16, s4, s2
	v_rcp_iflag_f32_e32 v1, v1
	s_mul_i32 s2, s16, s17
	s_sub_i32 s2, s1, s2
	s_abs_i32 s4, s2
	v_mul_f32_e32 v1, 0x4f7ffffe, v1
	v_cvt_u32_f32_e32 v1, v1
	s_xor_b32 s1, s2, s20
	s_ashr_i32 s1, s1, 31
	v_readfirstlane_b32 s7, v1
	s_mul_i32 s6, s6, s7
	s_mul_hi_u32 s6, s7, s6
	s_add_i32 s7, s7, s6
	s_mul_hi_u32 s6, s4, s7
	s_mul_i32 s7, s6, s5
	s_sub_i32 s4, s4, s7
	s_add_i32 s17, s6, 1
	s_sub_i32 s7, s4, s5
	s_cmp_ge_u32 s4, s5
	s_cselect_b32 s6, s17, s6
	s_cselect_b32 s4, s7, s4
	s_add_i32 s7, s6, 1
	s_cmp_ge_u32 s4, s5
	s_cselect_b32 s4, s7, s6
	s_xor_b32 s4, s4, s1
	s_sub_i32 s1, s4, s1
	s_mul_i32 s4, s1, s20
	s_sub_i32 s2, s2, s4
	s_ashr_i32 s4, s2, 31
	v_readlane_b32 s5, v127, 14
	s_abs_i32 s2, s2
	s_xor_b32 s4, s4, s5
	s_mul_hi_u32 s5, s2, s53
	s_mul_i32 s6, s5, s35
	s_sub_i32 s2, s2, s6
	s_add_i32 s6, s5, 1
	s_sub_i32 s7, s2, s35
	s_cmp_ge_u32 s2, s35
	s_cselect_b32 s5, s6, s5
	s_cselect_b32 s2, s7, s2
	s_add_i32 s6, s5, 1
	s_cmp_ge_u32 s2, s35
	s_cselect_b32 s2, s6, s5
	s_abs_i32 s17, s54
	v_cvt_f32_u32_e32 v1, s17
	s_xor_b32 s2, s2, s4
	s_sub_i32 s2, s2, s4
	s_cmp_eq_u64 s[18:19], 0
	v_rcp_iflag_f32_e32 v1, v1
	s_nop 0
	v_mul_f32_e32 v1, 0x4f7ffffe, v1
	v_cvt_u32_f32_e32 v1, v1
	s_nop 0
	v_readfirstlane_b32 s20, v1
	s_cbranch_scc1 .LBB0_200
; %bb.199:
	v_readlane_b32 s4, v127, 0
	s_mul_i32 s4, s3, s4
	s_add_i32 s4, s2, s4
	s_ashr_i32 s5, s4, 31
	s_lshl_b64 s[4:5], s[4:5], 2
	s_add_u32 s4, s18, s4
	s_addc_u32 s5, s19, s5
	v_mov_b32_e32 v1, 0
	global_load_dword v1, v1, s[4:5]
	s_waitcnt vmcnt(0)
	v_ashrrev_i32_e32 v2, 31, v1
	v_lshrrev_b32_e32 v2, 26, v2
	v_add_u32_e32 v1, v1, v2
	v_ashrrev_i32_e32 v1, 6, v1
	v_min_i32_e32 v8, s0, v1
.LBB0_200:
	v_readlane_b32 s6, v127, 6
	v_readlane_b32 s7, v127, 7
	s_mul_i32 s0, s16, s33
	s_lshl_b32 s4, s1, 2
	s_mul_i32 s1, s3, s7
	s_add_i32 s0, s4, s0
	s_ashr_i32 s5, s1, 31
	s_add_u32 s1, s8, s1
	s_mul_i32 s0, s0, s6
	s_addc_u32 s5, s9, s5
	s_ashr_i32 s7, s0, 31
	s_add_u32 s6, s1, s0
	s_addc_u32 s7, s5, s7
	s_lshl_b32 s2, s2, 4
	v_lshrrev_b32_e32 v2, 2, v27
	v_and_b32_e32 v1, 3, v27
	v_add_u32_e32 v3, s2, v2
	v_or_b32_e32 v2, s4, v1
	v_cmp_le_i32_e64 s[0:1], s24, v3
	v_cmp_le_i32_e64 s[4:5], s33, v2
	s_mov_b32 s8, 0x10001
	v_lshl_add_u32 v50, v26, 2, 0
	v_cmp_gt_i32_e32 vcc, s33, v2
	s_or_b64 s[0:1], s[0:1], s[4:5]
	s_and_saveexec_b64 s[4:5], s[0:1]
	s_xor_b64 s[0:1], exec, s[4:5]
; %bb.201:
	s_movk_i32 s4, 0x90
	v_mad_u32_u24 v2, v27, s4, v50
	v_mov_b32_e32 v3, 0
	ds_write_b32 v2, v3
                                        ; implicit-def: $vgpr3
; %bb.202:
	s_or_saveexec_b64 s[0:1], s[0:1]
	v_mul_lo_u32 v2, v66, s8
	v_readlane_b32 s21, v127, 15
	s_xor_b64 exec, exec, s[0:1]
	s_cbranch_execz .LBB0_204
; %bb.203:
	v_mul_lo_u32 v3, v3, s51
	v_mul_lo_u32 v4, v1, s21
	v_add3_u32 v4, v4, v26, v3
	v_ashrrev_i32_e32 v5, 31, v4
	v_lshl_add_u64 v[4:5], v[4:5], 3, s[6:7]
	global_load_dwordx2 v[4:5], v[4:5], off
	s_movk_i32 s4, 0x90
	s_waitcnt vmcnt(0)
	v_cvt_pk_f16_f32 v3, v4, v5
	v_pk_mul_f16 v3, v3, v2
	v_mad_u32_u24 v4, v27, s4, v50
	ds_write_b32 v4, v3
.LBB0_204:
	s_or_b64 exec, exec, s[0:1]
	v_add_u32_e32 v51, 8, v27
	v_lshrrev_b32_e32 v3, 2, v51
	v_add_u32_e32 v3, s2, v3
	v_cmp_le_i32_e64 s[0:1], s24, v3
	s_xor_b64 s[4:5], vcc, -1
	s_or_b64 s[0:1], s[0:1], s[4:5]
	s_and_saveexec_b64 s[8:9], s[0:1]
	s_xor_b64 s[0:1], exec, s[8:9]
; %bb.205:
	s_movk_i32 s8, 0x90
	v_mad_u32_u24 v3, v51, s8, v50
	v_mov_b32_e32 v4, 0
	ds_write_b32 v3, v4
                                        ; implicit-def: $vgpr3
; %bb.206:
	s_andn2_saveexec_b64 s[0:1], s[0:1]
	s_cbranch_execz .LBB0_208
; %bb.207:
	v_mul_lo_u32 v3, v3, s51
	v_mul_lo_u32 v4, v1, s21
	v_add3_u32 v4, v4, v26, v3
	v_ashrrev_i32_e32 v5, 31, v4
	v_lshl_add_u64 v[4:5], v[4:5], 3, s[6:7]
	global_load_dwordx2 v[4:5], v[4:5], off
	s_movk_i32 s8, 0x90
	s_waitcnt vmcnt(0)
	v_cvt_pk_f16_f32 v3, v4, v5
	v_pk_mul_f16 v3, v3, v2
	v_mad_u32_u24 v4, v51, s8, v50
	ds_write_b32 v4, v3
.LBB0_208:
	s_or_b64 exec, exec, s[0:1]
	v_add_u32_e32 v52, 16, v27
	v_lshrrev_b32_e32 v3, 2, v52
	v_add_u32_e32 v3, s2, v3
	v_cmp_le_i32_e32 vcc, s24, v3
	s_or_b64 s[0:1], vcc, s[4:5]
	s_and_saveexec_b64 s[8:9], s[0:1]
	s_xor_b64 s[0:1], exec, s[8:9]
; %bb.209:
	s_movk_i32 s8, 0x90
	v_mad_u32_u24 v3, v52, s8, v50
	v_mov_b32_e32 v4, 0
	ds_write_b32 v3, v4
                                        ; implicit-def: $vgpr3
; %bb.210:
	s_andn2_saveexec_b64 s[0:1], s[0:1]
	s_cbranch_execz .LBB0_212
; %bb.211:
	v_mul_lo_u32 v3, v3, s51
	v_mul_lo_u32 v4, v1, s21
	v_add3_u32 v4, v4, v26, v3
	v_ashrrev_i32_e32 v5, 31, v4
	v_lshl_add_u64 v[4:5], v[4:5], 3, s[6:7]
	global_load_dwordx2 v[4:5], v[4:5], off
	s_movk_i32 s8, 0x90
	s_waitcnt vmcnt(0)
	v_cvt_pk_f16_f32 v3, v4, v5
	v_pk_mul_f16 v3, v3, v2
	v_mad_u32_u24 v4, v52, s8, v50
	ds_write_b32 v4, v3
.LBB0_212:
	s_or_b64 exec, exec, s[0:1]
	v_add_u32_e32 v53, 24, v27
	v_lshrrev_b32_e32 v3, 2, v53
	v_add_u32_e32 v3, s2, v3
	v_cmp_le_i32_e32 vcc, s24, v3
	s_or_b64 s[0:1], vcc, s[4:5]
	;; [unrolled: 31-line block ×3, first 2 shown]
	s_and_saveexec_b64 s[8:9], s[0:1]
	s_xor_b64 s[0:1], exec, s[8:9]
; %bb.217:
	s_movk_i32 s8, 0x90
	v_mad_u32_u24 v3, v54, s8, v50
	v_mov_b32_e32 v4, 0
	ds_write_b32 v3, v4
                                        ; implicit-def: $vgpr3
; %bb.218:
	s_andn2_saveexec_b64 s[0:1], s[0:1]
	s_cbranch_execz .LBB0_220
; %bb.219:
	v_mul_lo_u32 v3, v3, s51
	v_mul_lo_u32 v4, v1, s21
	v_add3_u32 v4, v4, v26, v3
	v_ashrrev_i32_e32 v5, 31, v4
	v_lshl_add_u64 v[4:5], v[4:5], 3, s[6:7]
	global_load_dwordx2 v[4:5], v[4:5], off
	s_movk_i32 s8, 0x90
	s_waitcnt vmcnt(0)
	v_cvt_pk_f16_f32 v3, v4, v5
	v_pk_mul_f16 v3, v3, v2
	v_mad_u32_u24 v4, v54, s8, v50
	ds_write_b32 v4, v3
.LBB0_220:
	s_or_b64 exec, exec, s[0:1]
	v_add_u32_e32 v55, 40, v27
	v_lshrrev_b32_e32 v3, 2, v55
	v_add_u32_e32 v3, s2, v3
	v_cmp_le_i32_e32 vcc, s24, v3
	s_sub_i32 s8, 0, s17
	s_or_b64 s[0:1], vcc, s[4:5]
	s_and_saveexec_b64 s[18:19], s[0:1]
	s_xor_b64 s[0:1], exec, s[18:19]
; %bb.221:
	s_movk_i32 s9, 0x90
	v_mad_u32_u24 v3, v55, s9, v50
	v_mov_b32_e32 v4, 0
	ds_write_b32 v3, v4
                                        ; implicit-def: $vgpr3
; %bb.222:
	s_or_saveexec_b64 s[0:1], s[0:1]
	s_mul_i32 s8, s8, s20
	s_xor_b64 exec, exec, s[0:1]
	s_cbranch_execz .LBB0_224
; %bb.223:
	v_mul_lo_u32 v3, v3, s51
	v_mul_lo_u32 v4, v1, s21
	v_add3_u32 v4, v4, v26, v3
	v_ashrrev_i32_e32 v5, 31, v4
	v_lshl_add_u64 v[4:5], v[4:5], 3, s[6:7]
	global_load_dwordx2 v[4:5], v[4:5], off
	s_movk_i32 s9, 0x90
	s_waitcnt vmcnt(0)
	v_cvt_pk_f16_f32 v3, v4, v5
	v_pk_mul_f16 v3, v3, v2
	v_mad_u32_u24 v4, v55, s9, v50
	ds_write_b32 v4, v3
.LBB0_224:
	s_or_b64 exec, exec, s[0:1]
	v_add_u32_e32 v56, 48, v27
	v_lshrrev_b32_e32 v3, 2, v56
	v_add_u32_e32 v3, s2, v3
	v_cmp_le_i32_e32 vcc, s24, v3
	s_mul_hi_u32 s9, s20, s8
	s_or_b64 s[0:1], vcc, s[4:5]
	s_and_saveexec_b64 s[18:19], s[0:1]
	s_xor_b64 s[0:1], exec, s[18:19]
; %bb.225:
	s_movk_i32 s8, 0x90
	v_mad_u32_u24 v3, v56, s8, v50
	v_mov_b32_e32 v4, 0
	ds_write_b32 v3, v4
                                        ; implicit-def: $vgpr3
; %bb.226:
	s_or_saveexec_b64 s[0:1], s[0:1]
	s_abs_i32 s8, s3
	s_add_i32 s20, s20, s9
	s_xor_b64 exec, exec, s[0:1]
	s_cbranch_execz .LBB0_228
; %bb.227:
	v_mul_lo_u32 v3, v3, s51
	v_mul_lo_u32 v4, v1, s21
	v_add3_u32 v4, v4, v26, v3
	v_ashrrev_i32_e32 v5, 31, v4
	v_lshl_add_u64 v[4:5], v[4:5], 3, s[6:7]
	global_load_dwordx2 v[4:5], v[4:5], off
	s_movk_i32 s9, 0x90
	s_waitcnt vmcnt(0)
	v_cvt_pk_f16_f32 v3, v4, v5
	v_pk_mul_f16 v3, v3, v2
	v_mad_u32_u24 v4, v56, s9, v50
	ds_write_b32 v4, v3
.LBB0_228:
	s_or_b64 exec, exec, s[0:1]
	v_add_u32_e32 v57, 56, v27
	v_lshrrev_b32_e32 v3, 2, v57
	v_add_u32_e32 v3, s2, v3
	v_cmp_le_i32_e32 vcc, s24, v3
	s_mul_hi_u32 s9, s8, s20
	s_or_b64 s[0:1], vcc, s[4:5]
	s_and_saveexec_b64 s[4:5], s[0:1]
	s_xor_b64 s[0:1], exec, s[4:5]
; %bb.229:
	s_movk_i32 s4, 0x90
	v_mad_u32_u24 v1, v57, s4, v50
	v_mov_b32_e32 v2, 0
	ds_write_b32 v1, v2
                                        ; implicit-def: $vgpr3
                                        ; implicit-def: $vgpr1
                                        ; implicit-def: $vgpr2
; %bb.230:
	s_or_saveexec_b64 s[0:1], s[0:1]
	s_ashr_i32 s18, s3, 31
	v_and_b32_e32 v58, 0x3ff, v0
	s_xor_b64 exec, exec, s[0:1]
	s_cbranch_execz .LBB0_232
; %bb.231:
	v_mul_lo_u32 v0, v3, s51
	v_mul_lo_u32 v1, v1, s21
	v_add3_u32 v0, v1, v26, v0
	v_ashrrev_i32_e32 v1, 31, v0
	v_lshl_add_u64 v[0:1], v[0:1], 3, s[6:7]
	global_load_dwordx2 v[0:1], v[0:1], off
	s_movk_i32 s4, 0x90
	s_waitcnt vmcnt(0)
	v_cvt_pk_f16_f32 v0, v0, v1
	v_pk_mul_f16 v0, v0, v2
	v_mad_u32_u24 v1, v57, s4, v50
	ds_write_b32 v1, v0
.LBB0_232:
	s_or_b64 exec, exec, s[0:1]
	s_mul_hi_u32 s0, s28, s3
	s_mul_i32 s1, s28, s18
	s_add_i32 s0, s0, s1
	s_mul_i32 s1, s29, s3
	v_readlane_b32 s4, v127, 12
	s_add_i32 s0, s0, s1
	s_mul_i32 s1, s28, s3
	v_readlane_b32 s5, v127, 13
	s_add_u32 s1, s10, s1
	s_mul_i32 s4, s16, s5
	s_addc_u32 s0, s11, s0
	s_ashr_i32 s5, s4, 31
	s_add_u32 s4, s1, s4
	s_mul_i32 s9, s9, s17
	s_addc_u32 s5, s0, s5
	s_sub_i32 s0, s8, s9
	s_sub_i32 s1, s0, s17
	s_cmp_ge_u32 s0, s17
	s_cselect_b32 s0, s1, s0
	s_sub_i32 s1, s0, s17
	s_cmp_ge_u32 s0, s17
	s_cselect_b32 s0, s1, s0
	s_xor_b32 s0, s0, s18
	s_sub_i32 s0, s0, s18
	s_ashr_i32 s1, s0, 31
	s_mul_i32 s1, s44, s1
	s_mul_hi_u32 s6, s44, s0
	s_add_i32 s1, s6, s1
	s_mul_i32 s6, s45, s0
	s_add_i32 s1, s1, s6
	s_mul_i32 s0, s44, s0
	s_add_u32 s6, s14, s0
	s_addc_u32 s7, s15, s1
	s_mul_hi_u32 s0, s42, s3
	s_mul_i32 s1, s42, s18
	s_add_i32 s0, s0, s1
	s_mul_i32 s1, s43, s3
	s_add_i32 s0, s0, s1
	s_mul_i32 s1, s42, s3
	s_add_u32 s1, s12, s1
	s_mul_i32 s16, s16, s31
	s_addc_u32 s3, s13, s0
	s_ashr_i32 s8, s16, 31
	s_add_u32 s0, s1, s16
	v_lshrrev_b32_e32 v12, 3, v58
	s_addc_u32 s1, s3, s8
	s_movk_i32 s3, 0x900
	v_and_b32_e32 v59, 15, v58
	v_and_b32_e32 v1, 0x7e, v12
	v_mad_u32_u24 v0, v101, s3, 0
	v_mul_u32_u24_e32 v67, 0x90, v59
	v_lshlrev_b32_e32 v60, 2, v1
	v_add3_u32 v0, v0, v67, v60
	s_waitcnt lgkmcnt(0)
	s_barrier
	ds_read2_b64 v[4:7], v0 offset1:4
	ds_read2_b64 v[0:3], v0 offset0:8 offset1:12
	v_add_u32_e32 v86, -1, v8
	v_cmp_lt_i32_e32 vcc, s80, v86
	v_lshlrev_b32_e32 v8, 1, v58
	s_movk_i32 s3, 0x90
	v_and_b32_e32 v13, 62, v8
	v_mov_b32_e32 v62, 0
	s_waitcnt lgkmcnt(0)
	s_barrier
	s_cbranch_vccnz .LBB0_236
; %bb.233:
	v_add_u32_e32 v8, s2, v27
	v_mul_hi_u32 v9, s38, v8
	v_add_u32_e32 v9, v8, v9
	v_lshrrev_b32_e32 v9, s39, v9
	v_mul_lo_u32 v9, v9, s24
	v_sub_u32_e32 v8, v8, v9
	v_mad_i64_i32 v[32:33], s[8:9], v8, s40, 0
	v_add_u32_e32 v8, s2, v51
	v_mul_hi_u32 v9, s38, v8
	v_add_u32_e32 v9, v8, v9
	v_lshrrev_b32_e32 v9, s39, v9
	v_mul_lo_u32 v9, v9, s24
	v_sub_u32_e32 v8, v8, v9
	v_mov_b32_e32 v9, 0x480
	v_mad_u32_u24 v74, v27, s3, v9
	v_lshlrev_b32_e32 v9, 2, v58
	v_mad_i64_i32 v[36:37], s[8:9], v8, s40, 0
	v_lshl_add_u32 v8, v101, 3, v12
	v_and_b32_e32 v34, 28, v9
	v_mov_b32_e32 v9, 0x1200
	v_lshlrev_b32_e32 v61, 4, v101
	v_mad_u32_u24 v85, v8, s3, v9
	v_lshrrev_b32_e32 v9, 2, v58
	v_and_or_b32 v10, v58, 12, v61
	v_and_b32_e32 v9, 0xfc, v9
	v_lshrrev_b32_e32 v10, 2, v10
	v_mul_u32_u24_e32 v81, 0x90, v10
	v_add_u32_e32 v10, 16, v9
	v_lshrrev_b32_e32 v83, 1, v10
	v_add_u32_e32 v10, 18, v9
	v_lshrrev_b32_e32 v80, 1, v10
	;; [unrolled: 2-line block ×4, first 2 shown]
	v_lshrrev_b32_e32 v78, 1, v10
	v_add_u32_e32 v10, 48, v9
	v_add_u32_e32 v9, 50, v9
	v_lshrrev_b32_e32 v76, 1, v9
	v_mbcnt_lo_u32_b32 v9, -1, 0
	v_mbcnt_hi_u32_b32 v68, -1, v9
	v_mul_u32_u24_e32 v75, 0x90, v8
	v_mul_lo_u32 v38, s26, v8
	v_and_b32_e32 v9, 64, v68
	v_mul_lo_u32 v28, s36, v8
	v_lshlrev_b32_e32 v8, 1, v12
	v_add_u32_e32 v69, 64, v9
	v_and_b32_e32 v9, 0xfc, v8
	s_ashr_i32 s27, s26, 31
	v_lshl_add_u32 v40, s26, 5, v38
	s_ashr_i32 s37, s36, 31
	v_lshl_add_u32 v30, s36, 5, v28
	v_mul_u32_u24_e32 v64, 0x90, v9
	v_or_b32_e32 v9, 2, v8
	v_or_b32_e32 v8, 3, v8
	v_mul_u32_u24_e32 v73, 0x90, v27
	v_mov_b32_e32 v35, 0
	v_ashrrev_i32_e32 v39, 31, v38
	v_ashrrev_i32_e32 v41, 31, v40
	v_or_b32_e32 v82, 1, v12
	v_lshrrev_b32_e32 v77, 1, v10
	v_xor_b32_e32 v71, 32, v68
	v_xor_b32_e32 v72, 16, v68
	v_ashrrev_i32_e32 v29, 31, v28
	v_ashrrev_i32_e32 v31, 31, v30
	v_mul_u32_u24_e32 v65, 0x90, v9
	v_mul_u32_u24_e32 v66, 0x90, v8
	v_mov_b64_e32 v[8:9], s[36:37]
	v_mov_b64_e32 v[10:11], s[26:27]
	v_lshlrev_b32_e32 v24, 1, v13
	v_lshlrev_b32_e32 v63, 1, v59
	s_cbranch_execz .LBB0_237
; %bb.234:
	v_mov_b32_e32 v70, 0xfeffffff
	v_mov_b32_e32 v17, 0
	;; [unrolled: 1-line block ×9, first 2 shown]
	s_branch .LBB0_240
.LBB0_235:
                                        ; implicit-def: $sgpr6_sgpr7
                                        ; kill: killed $sgpr6_sgpr7
	s_load_dwordx2 s[38:39], s[0:1], 0x5c
	s_branch .LBB0_7
.LBB0_236:
                                        ; implicit-def: $vgpr73
                                        ; implicit-def: $vgpr32_vgpr33
                                        ; implicit-def: $vgpr74
                                        ; implicit-def: $vgpr36_vgpr37
                                        ; implicit-def: $vgpr10_vgpr11
                                        ; implicit-def: $vgpr75
                                        ; implicit-def: $vgpr34
                                        ; implicit-def: $vgpr38_vgpr39
                                        ; implicit-def: $vgpr85
                                        ; implicit-def: $vgpr40_vgpr41
                                        ; implicit-def: $vgpr61
                                        ; implicit-def: $vgpr81
                                        ; implicit-def: $vgpr84
                                        ; implicit-def: $vgpr82
                                        ; implicit-def: $vgpr83
                                        ; implicit-def: $vgpr80
                                        ; implicit-def: $vgpr79
                                        ; implicit-def: $vgpr78
                                        ; implicit-def: $vgpr77
                                        ; implicit-def: $vgpr76
                                        ; implicit-def: $vgpr68
                                        ; implicit-def: $vgpr69
                                        ; implicit-def: $vgpr71
                                        ; implicit-def: $vgpr72
                                        ; implicit-def: $vgpr8_vgpr9
                                        ; implicit-def: $vgpr28_vgpr29
                                        ; implicit-def: $vgpr30_vgpr31
                                        ; implicit-def: $vgpr64
                                        ; implicit-def: $vgpr65
                                        ; implicit-def: $vgpr66
	v_lshlrev_b32_e32 v24, 1, v13
	v_lshlrev_b32_e32 v63, 1, v59
.LBB0_237:
	v_add_u32_e32 v9, s2, v27
	v_mul_hi_u32 v10, s38, v9
	v_add_u32_e32 v10, v9, v10
	v_lshrrev_b32_e32 v10, s39, v10
	v_mul_lo_u32 v10, v10, s24
	v_sub_u32_e32 v9, v9, v10
	v_mad_i64_i32 v[32:33], s[8:9], v9, s40, 0
	v_add_u32_e32 v9, s2, v51
	v_mul_hi_u32 v10, s38, v9
	v_add_u32_e32 v10, v9, v10
	v_lshrrev_b32_e32 v10, s39, v10
	v_mul_lo_u32 v10, v10, s24
	s_movk_i32 s10, 0x90
	v_sub_u32_e32 v9, v9, v10
	v_mov_b32_e32 v10, 0x480
	v_mad_u32_u24 v74, v27, s10, v10
	v_lshlrev_b32_e32 v10, 2, v58
	v_mov_b32_e32 v43, 0
	v_mad_i64_i32 v[36:37], s[2:3], v9, s40, 0
	v_lshl_add_u32 v9, v101, 3, v12
	v_and_b32_e32 v34, 28, v10
	v_mov_b32_e32 v25, v43
	v_mul_u32_u24_e32 v75, 0x90, v9
	v_lshlrev_b32_e32 v10, 2, v34
	v_lshl_add_u64 v[44:45], s[6:7], 0, v[24:25]
	v_add3_u32 v25, 0, v75, v10
	v_mov_b32_e32 v10, 0x1200
	v_lshlrev_b32_e32 v61, 4, v101
	v_mad_u32_u24 v85, v9, s10, v10
	v_lshrrev_b32_e32 v10, 2, v58
	v_and_or_b32 v11, v58, 12, v61
	v_and_b32_e32 v10, 0xfc, v10
	v_lshrrev_b32_e32 v11, 2, v11
	v_mul_u32_u24_e32 v81, 0x90, v11
	v_mad_u32_u24 v11, v11, s10, 0
	v_add_u32_e32 v14, 18, v10
	v_add_u32_e32 v15, 34, v10
	v_lshrrev_b32_e32 v84, 1, v10
	v_lshl_add_u32 v89, v10, 1, v11
	v_add_u32_e32 v13, 16, v10
	v_lshrrev_b32_e32 v80, 1, v14
	v_add_u32_e32 v14, 32, v10
	v_lshrrev_b32_e32 v78, 1, v15
	v_add_u32_e32 v15, 48, v10
	v_add_u32_e32 v10, 50, v10
	v_lshrrev_b32_e32 v76, 1, v10
	v_mbcnt_lo_u32_b32 v10, -1, 0
	v_mbcnt_hi_u32_b32 v68, -1, v10
	v_and_b32_e32 v10, 64, v68
	v_add_u32_e32 v69, 64, v10
	v_xor_b32_e32 v71, 32, v68
	v_cmp_lt_i32_e32 vcc, v71, v69
	v_xor_b32_e32 v72, 16, v68
	v_mul_lo_u32 v38, s26, v9
	v_cndmask_b32_e32 v10, v68, v71, vcc
	v_cmp_lt_i32_e32 vcc, v72, v69
	v_lshlrev_b32_e32 v91, 2, v10
	v_mul_lo_u32 v28, s36, v9
	v_cndmask_b32_e32 v10, v68, v72, vcc
	v_lshlrev_b32_e32 v9, 1, v12
	v_lshlrev_b32_e32 v92, 2, v10
	v_and_b32_e32 v10, 0xfc, v9
	v_or_b32_e32 v82, 1, v12
	v_mul_u32_u24_e32 v64, 0x90, v10
	v_or_b32_e32 v10, 2, v9
	v_or_b32_e32 v9, 3, v9
	v_add_u32_e32 v8, 0, v24
	v_mul_u32_u24_e32 v73, 0x90, v27
	v_lshl_add_u32 v40, s26, 5, v38
	v_lshl_add_u32 v90, v82, 2, v11
	v_lshrrev_b32_e32 v83, 1, v13
	v_lshl_add_u32 v13, v13, 1, v11
	v_lshrrev_b32_e32 v79, 1, v14
	v_lshl_add_u32 v14, v14, 1, v11
	v_lshl_add_u32 v11, v15, 1, v11
	;; [unrolled: 1-line block ×3, first 2 shown]
	v_mul_u32_u24_e32 v65, 0x90, v10
	v_mul_u32_u24_e32 v66, 0x90, v9
	s_ashr_i32 s27, s26, 31
	v_mov_b32_e32 v35, v43
	v_ashrrev_i32_e32 v39, 31, v38
	v_add_u32_e32 v87, 0x1200, v25
	v_ashrrev_i32_e32 v41, 31, v40
	v_add3_u32 v88, 0, v67, v60
	v_lshrrev_b32_e32 v77, 1, v15
	s_ashr_i32 s37, s36, 31
	v_ashrrev_i32_e32 v29, 31, v28
	v_ashrrev_i32_e32 v31, 31, v30
	v_add3_u32 v93, 0, v64, v63
	v_add3_u32 v94, 0, v65, v63
	;; [unrolled: 1-line block ×3, first 2 shown]
	s_lshl_b32 s8, s80, 6
	v_mov_b32_e32 v70, 0xfeffffff
	v_add_u32_e32 v96, v8, v73
	v_lshlrev_b32_e32 v42, 2, v34
	v_add_u32_e32 v97, 0x2400, v13
	v_add_u32_e32 v98, 0x2400, v14
	;; [unrolled: 1-line block ×3, first 2 shown]
	s_mov_b32 s2, 0x3fb8aa3b
	s_mov_b32 s3, 0xc2ce8ed0
	;; [unrolled: 1-line block ×5, first 2 shown]
	v_mov_b32_e32 v100, 0x7f800000
	v_mov_b32_e32 v62, v43
	;; [unrolled: 1-line block ×10, first 2 shown]
.LBB0_238:                              ; =>This Inner Loop Header: Depth=1
	s_ashr_i32 s9, s8, 31
	v_lshl_add_u64 v[8:9], s[8:9], 1, v[44:45]
	v_lshl_add_u64 v[10:11], v[32:33], 1, v[8:9]
	;; [unrolled: 1-line block ×3, first 2 shown]
	global_load_dword v10, v[10:11], off
	s_mul_hi_i32 s15, s8, s26
	global_load_dword v8, v[8:9], off
	s_mul_i32 s14, s8, s26
	s_lshl_b64 s[14:15], s[14:15], 2
	s_add_u32 s14, s4, s14
	s_addc_u32 s15, s5, s15
	v_add_u32_e32 v16, 0x800, v88
	v_mov_b32_e32 v20, v62
	v_mov_b32_e32 v21, v70
	s_waitcnt vmcnt(1)
	ds_write_b32 v96, v10 offset:9216
	v_lshl_add_u64 v[10:11], v[40:41], 2, s[14:15]
	s_waitcnt vmcnt(0)
	ds_write_b32 v96, v8 offset:10368
	v_lshl_add_u64 v[8:9], v[38:39], 2, s[14:15]
	v_lshl_add_u64 v[8:9], v[8:9], 0, v[42:43]
	;; [unrolled: 1-line block ×3, first 2 shown]
	global_load_dwordx4 v[8:11], v[8:9], off
	s_mul_hi_i32 s15, s8, s36
	s_mul_i32 s14, s8, s36
	s_lshl_b64 s[14:15], s[14:15], 2
	s_add_u32 s14, s0, s14
	s_addc_u32 s15, s1, s15
	s_add_i32 s80, s80, 1
	s_add_i32 s8, s8, 64
	s_waitcnt vmcnt(0)
	ds_write_b128 v25, v[8:11]
	global_load_dwordx4 v[8:11], v[12:13], off
	s_waitcnt vmcnt(0)
	ds_write_b128 v87, v[8:11]
	s_waitcnt lgkmcnt(0)
	s_barrier
	ds_read2_b64 v[8:11], v88 offset1:4
	s_waitcnt lgkmcnt(0)
	v_mfma_f32_16x16x16_f16 v[12:15], v[8:9], v[4:5], 0
	v_mfma_f32_16x16x16_f16 v[8:11], v[10:11], v[6:7], v[12:15]
	s_nop 6
	ds_read2_b64 v[12:15], v88 offset0:8 offset1:12
	s_waitcnt lgkmcnt(0)
	v_mfma_f32_16x16x16_f16 v[8:11], v[12:13], v[0:1], v[8:11]
	v_mfma_f32_16x16x16_f16 v[8:11], v[14:15], v[2:3], v[8:11]
	ds_read2_b64 v[12:15], v16 offset0:32 offset1:36
	s_waitcnt lgkmcnt(0)
	v_mfma_f32_16x16x16_f16 v[104:107], v[12:13], v[4:5], 0
	v_mfma_f32_16x16x16_f16 v[12:15], v[14:15], v[6:7], v[104:107]
	s_nop 6
	ds_read2_b64 v[104:107], v16 offset0:40 offset1:44
	s_waitcnt lgkmcnt(0)
	v_mfma_f32_16x16x16_f16 v[12:15], v[104:105], v[0:1], v[12:15]
	v_add_u32_e32 v16, 0x1000, v88
	v_mfma_f32_16x16x16_f16 v[12:15], v[106:107], v[2:3], v[12:15]
	ds_read2_b64 v[104:107], v16 offset0:64 offset1:68
	s_waitcnt lgkmcnt(0)
	v_mfma_f32_16x16x16_f16 v[108:111], v[104:105], v[4:5], 0
	v_mfma_f32_16x16x16_f16 v[104:107], v[106:107], v[6:7], v[108:111]
	s_nop 6
	ds_read2_b64 v[108:111], v16 offset0:72 offset1:76
	s_waitcnt lgkmcnt(0)
	v_mfma_f32_16x16x16_f16 v[104:107], v[108:109], v[0:1], v[104:107]
	v_add_u32_e32 v16, 0x1800, v88
	v_mfma_f32_16x16x16_f16 v[104:107], v[110:111], v[2:3], v[104:107]
	ds_read2_b64 v[108:111], v16 offset0:96 offset1:100
	s_waitcnt lgkmcnt(0)
	v_mfma_f32_16x16x16_f16 v[112:115], v[108:109], v[4:5], 0
	v_mfma_f32_16x16x16_f16 v[108:111], v[110:111], v[6:7], v[112:115]
	s_nop 6
	ds_read2_b64 v[112:115], v16 offset0:104 offset1:108
	s_waitcnt lgkmcnt(0)
	s_barrier
	ds_read_b32 v16, v89 offset:9216
	v_mfma_f32_16x16x16_f16 v[108:111], v[112:113], v[0:1], v[108:111]
	s_waitcnt lgkmcnt(0)
	v_cvt_f32_f16_e32 v18, v16
	v_cvt_f32_f16_sdwa v16, v16 dst_sel:DWORD dst_unused:UNUSED_PAD src0_sel:WORD_1
	v_add_f32_e32 v18, v8, v18
	ds_read_b32 v8, v90 offset:9216
	v_add_f32_e32 v16, v9, v16
	v_mfma_f32_16x16x16_f16 v[108:111], v[114:115], v[2:3], v[108:111]
	s_waitcnt lgkmcnt(0)
	v_cvt_f32_f16_e32 v9, v8
	v_cvt_f32_f16_sdwa v8, v8 dst_sel:DWORD dst_unused:UNUSED_PAD src0_sel:WORD_1
	v_add_f32_e32 v10, v10, v9
	v_add_f32_e32 v11, v11, v8
	ds_read2_b32 v[8:9], v97 offset1:1
	s_waitcnt lgkmcnt(0)
	v_cvt_f32_f16_e32 v19, v8
	v_cvt_f32_f16_sdwa v8, v8 dst_sel:DWORD dst_unused:UNUSED_PAD src0_sel:WORD_1
	v_add_f32_e32 v19, v12, v19
	v_add_f32_e32 v13, v13, v8
	v_cvt_f32_f16_e32 v8, v9
	v_cvt_f32_f16_sdwa v9, v9 dst_sel:DWORD dst_unused:UNUSED_PAD src0_sel:WORD_1
	v_add_f32_e32 v14, v14, v8
	v_add_f32_e32 v15, v15, v9
	ds_read2_b32 v[8:9], v98 offset1:1
	s_waitcnt lgkmcnt(0)
	v_cvt_f32_f16_e32 v12, v8
	v_cvt_f32_f16_sdwa v8, v8 dst_sel:DWORD dst_unused:UNUSED_PAD src0_sel:WORD_1
	v_add_f32_e32 v23, v104, v12
	v_add_f32_e32 v62, v105, v8
	;; [unrolled: 10-line block ×3, first 2 shown]
	v_cvt_f32_f16_e32 v8, v9
	v_cvt_f32_f16_sdwa v9, v9 dst_sel:DWORD dst_unused:UNUSED_PAD src0_sel:WORD_1
	v_add_f32_e32 v12, 0x40051340, v11
	v_add_f32_e32 v108, v110, v8
	;; [unrolled: 1-line block ×5, first 2 shown]
	v_max3_f32 v8, v21, v8, v9
	v_add_f32_e32 v9, 0x40051340, v10
	v_max3_f32 v8, v8, v9, v12
	v_add_f32_e32 v9, 0x40051340, v19
	v_add_f32_e32 v12, 0x40051340, v13
	v_max3_f32 v8, v8, v9, v12
	v_add_f32_e32 v9, 0x40051340, v14
	;; [unrolled: 3-line block ×6, first 2 shown]
	v_add_f32_e32 v12, 0x40051340, v22
	v_max3_f32 v8, v8, v9, v12
	ds_bpermute_b32 v9, v91, v8
	s_waitcnt lgkmcnt(0)
	v_max_f32_e32 v9, v9, v9
	v_max_f32_e32 v8, v8, v9
	ds_bpermute_b32 v9, v92, v8
	s_waitcnt lgkmcnt(0)
	v_max_f32_e32 v9, v9, v9
	v_max_f32_e32 v70, v8, v9
	v_sub_f32_e32 v8, v18, v70
	v_mul_f32_e32 v9, 0x3fb8aa3b, v8
	v_fma_f32 v12, v8, s2, -v9
	v_rndne_f32_e32 v18, v9
	v_fmac_f32_e32 v12, 0x32a5705f, v8
	v_sub_f32_e32 v9, v9, v18
	v_add_f32_e32 v9, v9, v12
	v_exp_f32_e32 v9, v9
	v_cvt_i32_f32_e32 v12, v18
	v_cmp_ngt_f32_e32 vcc, s3, v8
	v_sub_f32_e32 v10, v10, v70
	v_sub_f32_e32 v11, v11, v70
	v_ldexp_f32 v9, v9, v12
	v_cndmask_b32_e32 v9, 0, v9, vcc
	v_cmp_nlt_f32_e32 vcc, s10, v8
	v_sub_f32_e32 v13, v13, v70
	v_sub_f32_e32 v14, v14, v70
	v_cndmask_b32_e32 v8, v100, v9, vcc
	v_sub_f32_e32 v9, v16, v70
	v_mul_f32_e32 v12, 0x3fb8aa3b, v9
	v_fma_f32 v16, v9, s2, -v12
	v_rndne_f32_e32 v18, v12
	v_fmac_f32_e32 v16, 0x32a5705f, v9
	v_sub_f32_e32 v12, v12, v18
	v_add_f32_e32 v12, v12, v16
	v_exp_f32_e32 v12, v12
	v_cvt_i32_f32_e32 v16, v18
	v_cmp_ngt_f32_e32 vcc, s3, v9
	v_sub_f32_e32 v15, v15, v70
	v_sub_f32_e32 v22, v22, v70
	v_ldexp_f32 v12, v12, v16
	v_mul_f32_e32 v16, 0x3fb8aa3b, v10
	v_fma_f32 v18, v10, s2, -v16
	v_rndne_f32_e32 v109, v16
	v_fmac_f32_e32 v18, 0x32a5705f, v10
	v_sub_f32_e32 v16, v16, v109
	v_add_f32_e32 v16, v16, v18
	v_exp_f32_e32 v16, v16
	v_cvt_i32_f32_e32 v18, v109
	v_cndmask_b32_e32 v12, 0, v12, vcc
	v_cmp_nlt_f32_e32 vcc, s10, v9
	v_sub_f32_e32 v21, v21, v70
	v_ldexp_f32 v16, v16, v18
	v_cndmask_b32_e32 v9, v100, v12, vcc
	v_cmp_ngt_f32_e32 vcc, s3, v10
	v_add_f32_e32 v12, v8, v9
	s_nop 0
	v_cndmask_b32_e32 v16, 0, v16, vcc
	v_cmp_nlt_f32_e32 vcc, s10, v10
	s_nop 1
	v_cndmask_b32_e32 v10, v100, v16, vcc
	v_add_f32_e32 v16, v10, v12
	v_mul_f32_e32 v12, 0x3fb8aa3b, v11
	v_fma_f32 v18, v11, s2, -v12
	v_rndne_f32_e32 v109, v12
	v_fmac_f32_e32 v18, 0x32a5705f, v11
	v_sub_f32_e32 v12, v12, v109
	v_add_f32_e32 v12, v12, v18
	v_exp_f32_e32 v12, v12
	v_cvt_i32_f32_e32 v18, v109
	v_cmp_ngt_f32_e32 vcc, s3, v11
	v_ldexp_f32 v12, v12, v18
	s_nop 0
	v_cndmask_b32_e32 v12, 0, v12, vcc
	v_cmp_nlt_f32_e32 vcc, s10, v11
	v_sub_f32_e32 v11, v19, v70
	v_mul_f32_e32 v18, 0x3fb8aa3b, v11
	v_fma_f32 v19, v11, s2, -v18
	v_rndne_f32_e32 v109, v18
	v_fmac_f32_e32 v19, 0x32a5705f, v11
	v_sub_f32_e32 v18, v18, v109
	v_add_f32_e32 v18, v18, v19
	v_exp_f32_e32 v18, v18
	v_cvt_i32_f32_e32 v19, v109
	v_cndmask_b32_e32 v12, v100, v12, vcc
	v_cmp_ngt_f32_e32 vcc, s3, v11
	v_add_f32_e32 v16, v12, v16
	v_ldexp_f32 v18, v18, v19
	v_cndmask_b32_e32 v18, 0, v18, vcc
	v_cmp_nlt_f32_e32 vcc, s10, v11
	s_nop 1
	v_cndmask_b32_e32 v11, v100, v18, vcc
	v_mul_f32_e32 v18, 0x3fb8aa3b, v13
	v_fma_f32 v19, v13, s2, -v18
	v_rndne_f32_e32 v109, v18
	v_fmac_f32_e32 v19, 0x32a5705f, v13
	v_sub_f32_e32 v18, v18, v109
	v_add_f32_e32 v18, v18, v19
	v_exp_f32_e32 v18, v18
	v_cvt_i32_f32_e32 v19, v109
	v_cmp_ngt_f32_e32 vcc, s3, v13
	v_add_f32_e32 v16, v11, v16
	v_ldexp_f32 v18, v18, v19
	v_cndmask_b32_e32 v18, 0, v18, vcc
	v_cmp_nlt_f32_e32 vcc, s10, v13
	s_nop 1
	v_cndmask_b32_e32 v13, v100, v18, vcc
	v_mul_f32_e32 v18, 0x3fb8aa3b, v14
	v_fma_f32 v19, v14, s2, -v18
	v_rndne_f32_e32 v109, v18
	v_fmac_f32_e32 v19, 0x32a5705f, v14
	v_sub_f32_e32 v18, v18, v109
	v_add_f32_e32 v18, v18, v19
	v_exp_f32_e32 v18, v18
	v_cvt_i32_f32_e32 v19, v109
	v_cmp_ngt_f32_e32 vcc, s3, v14
	v_add_f32_e32 v16, v13, v16
	v_ldexp_f32 v18, v18, v19
	v_cndmask_b32_e32 v18, 0, v18, vcc
	v_cmp_nlt_f32_e32 vcc, s10, v14
	s_nop 1
	v_cndmask_b32_e32 v14, v100, v18, vcc
	v_add_f32_e32 v18, v14, v16
	v_mul_f32_e32 v16, 0x3fb8aa3b, v15
	v_fma_f32 v19, v15, s2, -v16
	v_rndne_f32_e32 v109, v16
	v_fmac_f32_e32 v19, 0x32a5705f, v15
	v_sub_f32_e32 v16, v16, v109
	v_add_f32_e32 v16, v16, v19
	v_exp_f32_e32 v16, v16
	v_cvt_i32_f32_e32 v19, v109
	v_cmp_ngt_f32_e32 vcc, s3, v15
	v_ldexp_f32 v16, v16, v19
	s_nop 0
	v_cndmask_b32_e32 v16, 0, v16, vcc
	v_cmp_nlt_f32_e32 vcc, s10, v15
	v_sub_f32_e32 v15, v23, v70
	v_mul_f32_e32 v19, 0x3fb8aa3b, v15
	v_fma_f32 v23, v15, s2, -v19
	v_rndne_f32_e32 v109, v19
	v_fmac_f32_e32 v23, 0x32a5705f, v15
	v_sub_f32_e32 v19, v19, v109
	v_add_f32_e32 v19, v19, v23
	v_exp_f32_e32 v19, v19
	v_cvt_i32_f32_e32 v23, v109
	v_cndmask_b32_e32 v16, v100, v16, vcc
	v_cmp_ngt_f32_e32 vcc, s3, v15
	v_add_f32_e32 v18, v16, v18
	v_ldexp_f32 v19, v19, v23
	v_cndmask_b32_e32 v19, 0, v19, vcc
	v_cmp_nlt_f32_e32 vcc, s10, v15
	s_nop 1
	v_cndmask_b32_e32 v15, v100, v19, vcc
	v_add_f32_e32 v19, v15, v18
	v_sub_f32_e32 v18, v62, v70
	v_mul_f32_e32 v23, 0x3fb8aa3b, v18
	v_fma_f32 v62, v18, s2, -v23
	v_rndne_f32_e32 v109, v23
	v_fmac_f32_e32 v62, 0x32a5705f, v18
	v_sub_f32_e32 v23, v23, v109
	v_add_f32_e32 v23, v23, v62
	v_exp_f32_e32 v23, v23
	v_cvt_i32_f32_e32 v62, v109
	v_cmp_ngt_f32_e32 vcc, s3, v18
	v_ldexp_f32 v23, v23, v62
	s_nop 0
	v_cndmask_b32_e32 v23, 0, v23, vcc
	v_cmp_nlt_f32_e32 vcc, s10, v18
	s_nop 1
	v_cndmask_b32_e32 v18, v100, v23, vcc
	v_add_f32_e32 v23, v18, v19
	v_sub_f32_e32 v19, v104, v70
	v_mul_f32_e32 v62, 0x3fb8aa3b, v19
	v_fma_f32 v104, v19, s2, -v62
	v_rndne_f32_e32 v109, v62
	v_fmac_f32_e32 v104, 0x32a5705f, v19
	v_sub_f32_e32 v62, v62, v109
	v_add_f32_e32 v62, v62, v104
	v_exp_f32_e32 v62, v62
	v_cvt_i32_f32_e32 v104, v109
	v_cmp_ngt_f32_e32 vcc, s3, v19
	v_ldexp_f32 v62, v62, v104
	s_nop 0
	v_cndmask_b32_e32 v62, 0, v62, vcc
	v_cmp_nlt_f32_e32 vcc, s10, v19
	s_nop 1
	v_cndmask_b32_e32 v19, v100, v62, vcc
	v_sub_f32_e32 v62, v105, v70
	v_mul_f32_e32 v104, 0x3fb8aa3b, v62
	v_fma_f32 v105, v62, s2, -v104
	v_rndne_f32_e32 v109, v104
	v_fmac_f32_e32 v105, 0x32a5705f, v62
	v_sub_f32_e32 v104, v104, v109
	v_add_f32_e32 v104, v104, v105
	v_exp_f32_e32 v104, v104
	v_cvt_i32_f32_e32 v105, v109
	v_cmp_ngt_f32_e32 vcc, s3, v62
	v_add_f32_e32 v23, v19, v23
	v_ldexp_f32 v104, v104, v105
	v_cndmask_b32_e32 v104, 0, v104, vcc
	v_cmp_nlt_f32_e32 vcc, s10, v62
	v_sub_f32_e32 v62, v106, v70
	s_nop 0
	v_cndmask_b32_e32 v105, v100, v104, vcc
	v_mul_f32_e32 v104, 0x3fb8aa3b, v62
	v_fma_f32 v106, v62, s2, -v104
	v_rndne_f32_e32 v109, v104
	v_fmac_f32_e32 v106, 0x32a5705f, v62
	v_sub_f32_e32 v104, v104, v109
	v_add_f32_e32 v104, v104, v106
	v_exp_f32_e32 v104, v104
	v_cvt_i32_f32_e32 v106, v109
	v_cmp_ngt_f32_e32 vcc, s3, v62
	v_add_f32_e32 v23, v105, v23
	v_ldexp_f32 v104, v104, v106
	v_cndmask_b32_e32 v104, 0, v104, vcc
	v_cmp_nlt_f32_e32 vcc, s10, v62
	v_sub_f32_e32 v62, v107, v70
	v_mul_f32_e32 v106, 0x3fb8aa3b, v62
	v_fma_f32 v107, v62, s2, -v106
	v_rndne_f32_e32 v109, v106
	v_fmac_f32_e32 v107, 0x32a5705f, v62
	v_sub_f32_e32 v106, v106, v109
	v_add_f32_e32 v106, v106, v107
	v_exp_f32_e32 v106, v106
	v_cvt_i32_f32_e32 v107, v109
	v_cndmask_b32_e32 v104, v100, v104, vcc
	v_cmp_ngt_f32_e32 vcc, s3, v62
	v_add_f32_e32 v23, v104, v23
	v_ldexp_f32 v106, v106, v107
	v_cndmask_b32_e32 v106, 0, v106, vcc
	v_cmp_nlt_f32_e32 vcc, s10, v62
	v_sub_f32_e32 v62, v108, v70
	s_nop 0
	v_cndmask_b32_e32 v107, v100, v106, vcc
	v_mul_f32_e32 v106, 0x3fb8aa3b, v62
	v_fma_f32 v108, v62, s2, -v106
	v_rndne_f32_e32 v109, v106
	v_fmac_f32_e32 v108, 0x32a5705f, v62
	v_sub_f32_e32 v106, v106, v109
	v_add_f32_e32 v106, v106, v108
	v_exp_f32_e32 v106, v106
	v_cvt_i32_f32_e32 v108, v109
	v_cmp_ngt_f32_e32 vcc, s3, v62
	v_add_f32_e32 v23, v107, v23
	v_ldexp_f32 v106, v106, v108
	v_cndmask_b32_e32 v106, 0, v106, vcc
	v_cmp_nlt_f32_e32 vcc, s10, v62
	v_mul_f32_e32 v62, 0x3fb8aa3b, v22
	v_rndne_f32_e32 v109, v62
	v_cndmask_b32_e32 v108, v100, v106, vcc
	v_fma_f32 v106, v22, s2, -v62
	v_fmac_f32_e32 v106, 0x32a5705f, v22
	v_sub_f32_e32 v62, v62, v109
	v_add_f32_e32 v62, v62, v106
	v_exp_f32_e32 v62, v62
	v_cvt_i32_f32_e32 v106, v109
	v_cmp_ngt_f32_e32 vcc, s3, v22
	v_add_f32_e32 v23, v108, v23
	v_ldexp_f32 v62, v62, v106
	v_cndmask_b32_e32 v62, 0, v62, vcc
	v_cmp_nlt_f32_e32 vcc, s10, v22
	v_mul_f32_e32 v22, 0x3fb8aa3b, v21
	v_rndne_f32_e32 v106, v22
	v_cndmask_b32_e32 v109, v100, v62, vcc
	v_add_f32_e32 v62, v109, v23
	v_fma_f32 v23, v21, s2, -v22
	v_fmac_f32_e32 v23, 0x32a5705f, v21
	v_sub_f32_e32 v22, v22, v106
	v_add_f32_e32 v22, v22, v23
	v_exp_f32_e32 v22, v22
	v_cvt_i32_f32_e32 v23, v106
	v_cmp_ngt_f32_e32 vcc, s3, v21
	v_ldexp_f32 v22, v22, v23
	s_nop 0
	v_cndmask_b32_e32 v22, 0, v22, vcc
	v_cmp_nlt_f32_e32 vcc, s10, v21
	s_nop 1
	v_cndmask_b32_e32 v22, v100, v22, vcc
	v_cmp_le_f32_e32 vcc, s11, v21
	s_nop 1
	v_cndmask_b32_e32 v21, 0, v22, vcc
	v_fmac_f32_e32 v62, v20, v21
	v_cvt_f16_f32_e32 v20, v21
	v_cmp_lt_i32_e32 vcc, s80, v86
	s_and_b64 vcc, exec, vcc
	v_mul_u32_u24_e32 v22, 0x10001, v20
	v_pk_mul_f16 v21, v103, v22
	v_pk_mul_f16 v20, v102, v22
	v_pk_mul_f16 v111, v101, v22
	v_pk_mul_f16 v110, v49, v22
	v_pk_mul_f16 v106, v48, v22
	v_pk_mul_f16 v103, v47, v22
	v_pk_mul_f16 v102, v46, v22
	v_pk_mul_f16 v101, v17, v22
	v_lshl_add_u64 v[22:23], v[28:29], 2, s[14:15]
	v_lshl_add_u64 v[22:23], v[22:23], 0, v[42:43]
	;; [unrolled: 1-line block ×4, first 2 shown]
	global_load_dwordx4 v[46:49], v[22:23], off
	s_waitcnt vmcnt(0)
	ds_write_b128 v25, v[46:49]
	global_load_dwordx4 v[46:49], v[112:113], off
	s_waitcnt vmcnt(0)
	ds_write_b128 v87, v[46:49]
	s_waitcnt lgkmcnt(0)
	s_barrier
	ds_read_u16 v17, v93 offset:144
	v_cvt_f32_f16_e32 v46, v21
	v_cvt_f32_f16_sdwa v47, v21 dst_sel:DWORD dst_unused:UNUSED_PAD src0_sel:WORD_1
	v_cvt_f32_f16_e32 v48, v20
	v_cvt_f32_f16_sdwa v49, v20 dst_sel:DWORD dst_unused:UNUSED_PAD src0_sel:WORD_1
	ds_read_u16 v20, v94
	ds_read_u16 v112, v94 offset:32
	ds_read_u16 v21, v95
	ds_read_u16 v113, v95 offset:32
	s_waitcnt lgkmcnt(1)
	v_perm_b32 v23, v21, v20, s12
	ds_read_u16 v20, v93
	ds_read_u16 v114, v93 offset:32
	v_cvt_pk_f16_f32 v21, v10, v12
	s_waitcnt lgkmcnt(1)
	v_perm_b32 v22, v17, v20, s12
	v_cvt_pk_f16_f32 v20, v8, v9
	s_nop 1
	v_mfma_f32_16x16x16_f16 v[46:49], v[22:23], v[20:21], v[46:49]
	ds_read_u16 v17, v93 offset:2304
	ds_read_u16 v22, v93 offset:2448
	;; [unrolled: 1-line block ×4, first 2 shown]
	s_nop 3
	v_cvt_f16_f32_e32 v8, v46
	v_cvt_f16_f32_e32 v9, v47
	;; [unrolled: 1-line block ×4, first 2 shown]
	v_cvt_f32_f16_e32 v46, v8
	v_cvt_f32_f16_e32 v47, v9
	s_waitcnt lgkmcnt(0)
	v_perm_b32 v9, v115, v23, s12
	v_perm_b32 v8, v22, v17, s12
	v_cvt_f32_f16_e32 v48, v10
	v_cvt_f32_f16_e32 v49, v12
	v_cvt_pk_f16_f32 v23, v14, v16
	v_cvt_pk_f16_f32 v22, v11, v13
	ds_read_u16 v12, v93 offset:4608
	ds_read_u16 v14, v93 offset:4752
	;; [unrolled: 1-line block ×4, first 2 shown]
	v_mfma_f32_16x16x16_f16 v[8:11], v[8:9], v[22:23], v[46:49]
	v_perm_b32 v17, v113, v112, s12
	s_waitcnt lgkmcnt(2)
	v_perm_b32 v12, v14, v12, s12
	s_waitcnt lgkmcnt(0)
	v_perm_b32 v13, v16, v13, s12
	v_cvt_pk_f16_f32 v47, v19, v105
	s_nop 1
	v_cvt_f16_f32_e32 v8, v8
	v_cvt_f16_f32_e32 v9, v9
	;; [unrolled: 1-line block ×4, first 2 shown]
	v_cvt_f32_f16_e32 v8, v8
	v_cvt_f32_f16_e32 v9, v9
	;; [unrolled: 1-line block ×4, first 2 shown]
	v_cvt_pk_f16_f32 v46, v15, v18
	v_cvt_pk_f16_f32 v49, v108, v109
	;; [unrolled: 1-line block ×3, first 2 shown]
	v_mfma_f32_16x16x16_f16 v[8:11], v[12:13], v[46:47], v[8:11]
	ds_read_u16 v12, v93 offset:6912
	ds_read_u16 v14, v93 offset:7056
	;; [unrolled: 1-line block ×5, first 2 shown]
	s_nop 2
	v_cvt_f16_f32_e32 v8, v8
	v_cvt_f16_f32_e32 v9, v9
	;; [unrolled: 1-line block ×4, first 2 shown]
	s_waitcnt lgkmcnt(1)
	v_perm_b32 v13, v15, v13, s12
	v_perm_b32 v12, v14, v12, s12
	v_cvt_f32_f16_e32 v8, v8
	v_cvt_f32_f16_e32 v9, v9
	;; [unrolled: 1-line block ×4, first 2 shown]
	s_waitcnt lgkmcnt(0)
	v_perm_b32 v16, v16, v114, s12
	v_cvt_f32_f16_e32 v14, v110
	v_mfma_f32_16x16x16_f16 v[8:11], v[12:13], v[48:49], v[8:11]
	v_cvt_f32_f16_e32 v12, v111
	v_cvt_f32_f16_sdwa v13, v111 dst_sel:DWORD dst_unused:UNUSED_PAD src0_sel:WORD_1
	v_cvt_f32_f16_sdwa v15, v110 dst_sel:DWORD dst_unused:UNUSED_PAD src0_sel:WORD_1
	s_nop 1
	v_mfma_f32_16x16x16_f16 v[12:15], v[16:17], v[20:21], v[12:15]
	ds_read_u16 v16, v93 offset:2336
	ds_read_u16 v18, v93 offset:2480
	;; [unrolled: 1-line block ×4, first 2 shown]
	s_nop 3
	v_cvt_f16_f32_e32 v12, v12
	v_cvt_f16_f32_e32 v13, v13
	;; [unrolled: 1-line block ×4, first 2 shown]
	s_waitcnt lgkmcnt(0)
	v_perm_b32 v17, v19, v17, s12
	v_perm_b32 v16, v18, v16, s12
	v_cvt_f32_f16_e32 v12, v12
	v_cvt_f32_f16_e32 v13, v13
	;; [unrolled: 1-line block ×4, first 2 shown]
	s_nop 1
	v_mfma_f32_16x16x16_f16 v[12:15], v[16:17], v[22:23], v[12:15]
	ds_read_u16 v16, v93 offset:4640
	ds_read_u16 v18, v93 offset:4784
	;; [unrolled: 1-line block ×4, first 2 shown]
	s_nop 3
	v_cvt_f16_f32_e32 v12, v12
	v_cvt_f16_f32_e32 v13, v13
	;; [unrolled: 1-line block ×4, first 2 shown]
	s_waitcnt lgkmcnt(0)
	v_perm_b32 v17, v19, v17, s12
	v_perm_b32 v16, v18, v16, s12
	v_cvt_f32_f16_e32 v12, v12
	v_cvt_f32_f16_e32 v13, v13
	;; [unrolled: 1-line block ×4, first 2 shown]
	s_nop 1
	v_mfma_f32_16x16x16_f16 v[12:15], v[16:17], v[46:47], v[12:15]
	ds_read_u16 v16, v93 offset:6944
	ds_read_u16 v18, v93 offset:7088
	;; [unrolled: 1-line block ×8, first 2 shown]
	v_cvt_f16_f32_e32 v12, v12
	v_cvt_f16_f32_e32 v13, v13
	;; [unrolled: 1-line block ×4, first 2 shown]
	s_waitcnt lgkmcnt(4)
	v_perm_b32 v17, v19, v17, s12
	v_perm_b32 v16, v18, v16, s12
	v_cvt_f32_f16_e32 v12, v12
	v_cvt_f32_f16_e32 v13, v13
	;; [unrolled: 1-line block ×4, first 2 shown]
	s_waitcnt lgkmcnt(0)
	v_perm_b32 v105, v108, v105, s12
	v_perm_b32 v104, v107, v104, s12
	v_mfma_f32_16x16x16_f16 v[12:15], v[16:17], v[48:49], v[12:15]
	v_cvt_f32_f16_e32 v16, v106
	v_cvt_f32_f16_sdwa v17, v106 dst_sel:DWORD dst_unused:UNUSED_PAD src0_sel:WORD_1
	v_cvt_f32_f16_e32 v18, v103
	v_cvt_f32_f16_sdwa v19, v103 dst_sel:DWORD dst_unused:UNUSED_PAD src0_sel:WORD_1
	v_cvt_f32_f16_sdwa v107, v101 dst_sel:DWORD dst_unused:UNUSED_PAD src0_sel:WORD_1
	s_nop 0
	v_mfma_f32_16x16x16_f16 v[16:19], v[104:105], v[20:21], v[16:19]
	ds_read_u16 v103, v93 offset:2368
	ds_read_u16 v104, v93 offset:2512
	;; [unrolled: 1-line block ×4, first 2 shown]
	s_nop 3
	v_cvt_f16_f32_e32 v16, v16
	v_cvt_f16_f32_e32 v17, v17
	;; [unrolled: 1-line block ×4, first 2 shown]
	s_waitcnt lgkmcnt(0)
	v_perm_b32 v105, v106, v105, s12
	v_perm_b32 v104, v104, v103, s12
	v_cvt_f32_f16_e32 v16, v16
	v_cvt_f32_f16_e32 v17, v17
	;; [unrolled: 1-line block ×4, first 2 shown]
	s_nop 1
	v_mfma_f32_16x16x16_f16 v[16:19], v[104:105], v[22:23], v[16:19]
	ds_read_u16 v103, v93 offset:4672
	ds_read_u16 v104, v93 offset:4816
	;; [unrolled: 1-line block ×4, first 2 shown]
	s_nop 3
	v_cvt_f16_f32_e32 v16, v16
	v_cvt_f16_f32_e32 v17, v17
	;; [unrolled: 1-line block ×4, first 2 shown]
	s_waitcnt lgkmcnt(0)
	v_perm_b32 v105, v106, v105, s12
	v_perm_b32 v104, v104, v103, s12
	v_cvt_f32_f16_e32 v16, v16
	v_cvt_f32_f16_e32 v17, v17
	;; [unrolled: 1-line block ×4, first 2 shown]
	s_nop 1
	v_mfma_f32_16x16x16_f16 v[16:19], v[104:105], v[46:47], v[16:19]
	ds_read_u16 v103, v93 offset:6976
	ds_read_u16 v104, v93 offset:7120
	;; [unrolled: 1-line block ×4, first 2 shown]
	s_nop 3
	v_cvt_f16_f32_e32 v16, v16
	v_cvt_f16_f32_e32 v17, v17
	;; [unrolled: 1-line block ×4, first 2 shown]
	s_waitcnt lgkmcnt(0)
	v_perm_b32 v105, v106, v105, s12
	v_perm_b32 v104, v104, v103, s12
	ds_read_u16 v108, v93 offset:96
	ds_read_u16 v109, v93 offset:240
	;; [unrolled: 1-line block ×4, first 2 shown]
	v_cvt_f32_f16_e32 v16, v16
	v_cvt_f32_f16_e32 v17, v17
	;; [unrolled: 1-line block ×4, first 2 shown]
	s_waitcnt lgkmcnt(0)
	v_perm_b32 v103, v110, v103, s12
	v_cvt_f32_f16_e32 v106, v101
	v_mfma_f32_16x16x16_f16 v[16:19], v[104:105], v[48:49], v[16:19]
	v_cvt_f32_f16_e32 v104, v102
	v_cvt_f32_f16_sdwa v105, v102 dst_sel:DWORD dst_unused:UNUSED_PAD src0_sel:WORD_1
	v_perm_b32 v102, v109, v108, s12
	s_nop 1
	v_mfma_f32_16x16x16_f16 v[102:105], v[102:103], v[20:21], v[104:107]
	s_nop 2
	ds_read_u16 v106, v93 offset:2400
	ds_read_u16 v107, v93 offset:2544
	;; [unrolled: 1-line block ×4, first 2 shown]
	s_nop 0
	v_cvt_f16_f32_e32 v20, v102
	v_cvt_f16_f32_e32 v21, v103
	;; [unrolled: 1-line block ×4, first 2 shown]
	v_cvt_f32_f16_e32 v102, v20
	v_cvt_f32_f16_e32 v103, v21
	s_waitcnt lgkmcnt(0)
	v_perm_b32 v21, v109, v108, s12
	v_perm_b32 v20, v107, v106, s12
	v_cvt_f32_f16_e32 v104, v101
	v_cvt_f32_f16_e32 v105, v105
	s_nop 1
	v_mfma_f32_16x16x16_f16 v[20:23], v[20:21], v[22:23], v[102:105]
	ds_read_u16 v101, v93 offset:4704
	s_nop 1
	ds_read_u16 v102, v93 offset:4848
	ds_read_u16 v103, v94 offset:4704
	;; [unrolled: 1-line block ×3, first 2 shown]
	s_nop 1
	v_cvt_f16_f32_e32 v20, v20
	v_cvt_f16_f32_e32 v21, v21
	;; [unrolled: 1-line block ×4, first 2 shown]
	s_waitcnt lgkmcnt(0)
	v_perm_b32 v103, v104, v103, s12
	v_perm_b32 v102, v102, v101, s12
	v_cvt_f32_f16_e32 v20, v20
	v_cvt_f32_f16_e32 v21, v21
	;; [unrolled: 1-line block ×4, first 2 shown]
	s_nop 1
	v_mfma_f32_16x16x16_f16 v[20:23], v[102:103], v[46:47], v[20:23]
	ds_read_u16 v46, v93 offset:7008
	ds_read_u16 v101, v93 offset:7152
	;; [unrolled: 1-line block ×4, first 2 shown]
	v_cvt_pk_f16_f32 v103, v8, v9
	s_waitcnt lgkmcnt(0)
	s_nop 1
	v_cvt_f16_f32_e32 v20, v20
	v_cvt_f16_f32_e32 v21, v21
	;; [unrolled: 1-line block ×4, first 2 shown]
	v_perm_b32 v47, v102, v47, s12
	v_perm_b32 v46, v101, v46, s12
	v_cvt_f32_f16_e32 v20, v20
	v_cvt_f32_f16_e32 v21, v21
	;; [unrolled: 1-line block ×4, first 2 shown]
	v_cvt_pk_f16_f32 v102, v10, v11
	v_cvt_pk_f16_f32 v101, v12, v13
	v_mfma_f32_16x16x16_f16 v[20:23], v[46:47], v[48:49], v[20:23]
	v_cvt_pk_f16_f32 v49, v14, v15
	v_cvt_pk_f16_f32 v48, v16, v17
	v_cvt_pk_f16_f32 v47, v18, v19
	s_barrier
	s_nop 3
	v_cvt_pk_f16_f32 v46, v20, v21
	v_cvt_pk_f16_f32 v17, v22, v23
	s_cbranch_vccnz .LBB0_238
; %bb.239:
	v_mov_b64_e32 v[8:9], s[36:37]
	v_mov_b64_e32 v[10:11], s[26:27]
.LBB0_240:
	s_lshl_b32 s8, s80, 6
	s_ashr_i32 s9, s8, 31
	s_lshl_b64 s[2:3], s[8:9], 1
	s_add_u32 s2, s6, s2
	s_addc_u32 s3, s7, s3
	v_mov_b32_e32 v25, 0
	v_lshl_add_u64 v[12:13], s[2:3], 0, v[24:25]
	v_lshl_add_u64 v[14:15], v[32:33], 1, v[12:13]
	;; [unrolled: 1-line block ×3, first 2 shown]
	global_load_dword v16, v[14:15], off
	global_load_dword v22, v[12:13], off
	v_mul_lo_u32 v12, v10, s9
	v_mul_hi_u32 v13, v10, s8
	v_add_u32_e32 v12, v13, v12
	v_mul_lo_u32 v11, v11, s8
	v_add_u32_e32 v11, v12, v11
	v_mul_lo_u32 v10, v10, s8
	v_lshlrev_b64 v[10:11], 2, v[10:11]
	v_lshl_add_u64 v[12:13], s[4:5], 0, v[10:11]
	v_lshl_add_u64 v[14:15], v[38:39], 2, v[12:13]
	v_lshlrev_b64 v[10:11], 2, v[34:35]
	v_lshl_add_u64 v[14:15], v[14:15], 0, v[10:11]
	v_lshl_add_u64 v[12:13], v[40:41], 2, v[12:13]
	;; [unrolled: 1-line block ×3, first 2 shown]
	global_load_dwordx4 v[18:21], v[14:15], off
	global_load_dwordx4 v[36:39], v[12:13], off
	v_add_u32_e32 v12, 0, v24
	v_lshlrev_b32_e32 v13, 2, v34
	v_add3_u32 v14, 0, v67, v60
	v_add_u32_e32 v15, v12, v73
	v_add_u32_e32 v23, v12, v74
	v_add3_u32 v12, 0, v75, v13
	v_add3_u32 v13, 0, v85, v13
	v_cmp_lt_i32_e32 vcc, v71, v69
	s_mov_b32 s4, 0x3fb8aa3b
	s_mov_b32 s3, 0xc2ce8ed0
	s_mov_b32 s2, 0x42b17218
	v_readlane_b32 s12, v127, 4
	v_readlane_b32 s10, v127, 8
	;; [unrolled: 1-line block ×3, first 2 shown]
	s_waitcnt vmcnt(3)
	ds_write_b32 v15, v16 offset:9216
	s_waitcnt vmcnt(2)
	ds_write_b32 v23, v22 offset:9216
	s_waitcnt vmcnt(1)
	ds_write_b128 v12, v[18:21]
	s_waitcnt vmcnt(0)
	ds_write_b128 v13, v[36:39]
	v_add_u32_e32 v15, 0x800, v14
	s_waitcnt lgkmcnt(0)
	s_barrier
	ds_read2_b64 v[18:21], v14 offset1:4
	ds_read2_b64 v[36:39], v15 offset0:32 offset1:36
	v_add_u32_e32 v16, 0x1000, v14
	v_add_u32_e32 v22, 0x1800, v14
	ds_read2_b64 v[86:89], v16 offset0:64 offset1:68
	ds_read2_b64 v[94:97], v22 offset0:96 offset1:100
	s_waitcnt lgkmcnt(3)
	v_mfma_f32_16x16x16_f16 v[32:35], v[18:19], v[4:5], 0
	v_add_u32_e32 v23, 0, v81
	v_lshl_add_u32 v67, v80, 2, v23
	v_lshl_add_u32 v73, v79, 2, v23
	s_waitcnt lgkmcnt(2)
	v_mfma_f32_16x16x16_f16 v[40:43], v[36:37], v[4:5], 0
	v_lshl_add_u32 v24, v84, 2, v23
	v_lshl_add_u32 v44, v82, 2, v23
	;; [unrolled: 1-line block ×3, first 2 shown]
	v_mfma_f32_16x16x16_f16 v[18:21], v[20:21], v[6:7], v[32:35]
	v_mfma_f32_16x16x16_f16 v[32:35], v[38:39], v[6:7], v[40:43]
	ds_read2_b64 v[36:39], v14 offset0:8 offset1:12
	v_lshl_add_u32 v14, v78, 2, v23
	ds_read2_b64 v[78:81], v15 offset0:40 offset1:44
	s_waitcnt lgkmcnt(3)
	v_mfma_f32_16x16x16_f16 v[90:93], v[86:87], v[4:5], 0
	v_lshl_add_u32 v86, v77, 2, v23
	v_lshl_add_u32 v15, v76, 2, v23
	ds_read2_b64 v[74:77], v16 offset0:72 offset1:76
	ds_read2_b64 v[82:85], v22 offset0:104 offset1:108
	s_waitcnt lgkmcnt(4)
	v_mfma_f32_16x16x16_f16 v[104:107], v[94:95], v[4:5], 0
	s_waitcnt lgkmcnt(0)
	s_barrier
	v_mfma_f32_16x16x16_f16 v[40:43], v[88:89], v[6:7], v[90:93]
	v_mfma_f32_16x16x16_f16 v[4:7], v[96:97], v[6:7], v[104:107]
	;; [unrolled: 1-line block ×3, first 2 shown]
	ds_read_b32 v16, v24 offset:9216
	ds_read_b32 v22, v44 offset:9216
	;; [unrolled: 1-line block ×8, first 2 shown]
	s_waitcnt lgkmcnt(7)
	v_cvt_f32_f16_e32 v45, v16
	v_cvt_f32_f16_sdwa v16, v16 dst_sel:DWORD dst_unused:UNUSED_PAD src0_sel:WORD_1
	v_mfma_f32_16x16x16_f16 v[32:35], v[78:79], v[0:1], v[32:35]
	s_waitcnt lgkmcnt(6)
	v_cvt_f32_f16_e32 v67, v22
	v_cvt_f32_f16_sdwa v22, v22 dst_sel:DWORD dst_unused:UNUSED_PAD src0_sel:WORD_1
	s_waitcnt lgkmcnt(3)
	v_cvt_f32_f16_e32 v73, v36
	v_mfma_f32_16x16x16_f16 v[40:43], v[74:75], v[0:1], v[40:43]
	v_cvt_f32_f16_sdwa v74, v36 dst_sel:DWORD dst_unused:UNUSED_PAD src0_sel:WORD_1
	s_waitcnt lgkmcnt(2)
	v_cvt_f32_f16_e32 v75, v14
	v_cvt_f32_f16_sdwa v14, v14 dst_sel:DWORD dst_unused:UNUSED_PAD src0_sel:WORD_1
	v_mfma_f32_16x16x16_f16 v[4:7], v[82:83], v[0:1], v[4:7]
	v_cvt_f32_f16_e32 v0, v23
	v_cvt_f32_f16_sdwa v1, v23 dst_sel:DWORD dst_unused:UNUSED_PAD src0_sel:WORD_1
	v_cvt_f32_f16_e32 v23, v24
	v_mfma_f32_16x16x16_f16 v[18:21], v[38:39], v[2:3], v[18:21]
	v_cvt_f32_f16_sdwa v24, v24 dst_sel:DWORD dst_unused:UNUSED_PAD src0_sel:WORD_1
	s_waitcnt lgkmcnt(1)
	v_cvt_f32_f16_e32 v78, v44
	v_cvt_f32_f16_sdwa v44, v44 dst_sel:DWORD dst_unused:UNUSED_PAD src0_sel:WORD_1
	v_mfma_f32_16x16x16_f16 v[32:35], v[80:81], v[2:3], v[32:35]
	v_mfma_f32_16x16x16_f16 v[36:39], v[76:77], v[2:3], v[40:43]
	s_waitcnt lgkmcnt(0)
	v_cvt_f32_f16_e32 v76, v15
	v_cvt_f32_f16_sdwa v15, v15 dst_sel:DWORD dst_unused:UNUSED_PAD src0_sel:WORD_1
	v_mfma_f32_16x16x16_f16 v[40:43], v[84:85], v[2:3], v[4:7]
	s_nop 2
	v_add_f32_e32 v4, v18, v45
	v_add_f32_e32 v6, v19, v16
	;; [unrolled: 1-line block ×10, first 2 shown]
	v_max3_f32 v14, v70, v14, v15
	v_add_f32_e32 v15, 0x40051340, v7
	v_add_f32_e32 v16, 0x40051340, v18
	;; [unrolled: 1-line block ×4, first 2 shown]
	v_max3_f32 v14, v14, v15, v16
	v_add_f32_e32 v15, 0x40051340, v19
	v_add_f32_e32 v16, 0x40051340, v20
	;; [unrolled: 1-line block ×4, first 2 shown]
	v_max3_f32 v14, v14, v15, v16
	v_add_f32_e32 v15, 0x40051340, v21
	v_add_f32_e32 v16, 0x40051340, v45
	v_add_f32_e32 v74, v38, v75
	v_max3_f32 v14, v14, v15, v16
	v_add_f32_e32 v15, 0x40051340, v67
	v_add_f32_e32 v16, 0x40051340, v73
	;; [unrolled: 1-line block ×4, first 2 shown]
	v_max3_f32 v14, v14, v15, v16
	v_add_f32_e32 v15, 0x40051340, v74
	v_add_f32_e32 v16, 0x40051340, v5
	;; [unrolled: 1-line block ×3, first 2 shown]
	v_max3_f32 v14, v14, v15, v16
	v_add_f32_e32 v15, 0x40051340, v3
	v_add_f32_e32 v16, 0x40051340, v2
	v_max3_f32 v14, v14, v15, v16
	v_add_f32_e32 v15, 0x40051340, v1
	v_add_f32_e32 v16, 0x40051340, v0
	v_max3_f32 v14, v14, v15, v16
	v_cndmask_b32_e32 v15, v68, v71, vcc
	v_lshlrev_b32_e32 v22, 2, v15
	ds_bpermute_b32 v15, v22, v14
	v_cmp_lt_i32_e32 vcc, v72, v69
	s_waitcnt lgkmcnt(0)
	v_max_f32_e32 v15, v15, v15
	v_max_f32_e32 v14, v14, v15
	v_cndmask_b32_e32 v15, v68, v72, vcc
	v_lshlrev_b32_e32 v23, 2, v15
	ds_bpermute_b32 v15, v23, v14
	s_waitcnt lgkmcnt(0)
	v_max_f32_e32 v15, v15, v15
	v_max_f32_e32 v16, v14, v15
	v_sub_f32_e32 v14, v4, v16
	v_mul_f32_e32 v4, 0x3fb8aa3b, v14
	v_fma_f32 v15, v14, s4, -v4
	v_rndne_f32_e32 v24, v4
	v_fmac_f32_e32 v15, 0x32a5705f, v14
	v_sub_f32_e32 v4, v4, v24
	v_add_f32_e32 v4, v4, v15
	v_exp_f32_e32 v4, v4
	v_cvt_i32_f32_e32 v15, v24
	v_cmp_ngt_f32_e32 vcc, s3, v14
	v_sub_f32_e32 v6, v6, v16
	v_sub_f32_e32 v7, v7, v16
	v_ldexp_f32 v4, v4, v15
	v_cndmask_b32_e32 v15, 0, v4, vcc
	v_mul_f32_e32 v4, 0x3fb8aa3b, v6
	v_fma_f32 v24, v6, s4, -v4
	v_rndne_f32_e32 v32, v4
	v_fmac_f32_e32 v24, 0x32a5705f, v6
	v_sub_f32_e32 v4, v4, v32
	v_add_f32_e32 v4, v4, v24
	v_exp_f32_e32 v33, v4
	v_cvt_i32_f32_e32 v32, v32
	v_mov_b32_e32 v4, 0x7f800000
	v_cmp_nlt_f32_e32 vcc, s2, v14
	v_sub_f32_e32 v5, v5, v16
	v_ldexp_f32 v14, v33, v32
	v_cndmask_b32_e32 v24, v4, v15, vcc
	v_mul_f32_e32 v15, 0x3fb8aa3b, v7
	v_fma_f32 v32, v7, s4, -v15
	v_rndne_f32_e32 v33, v15
	v_fmac_f32_e32 v32, 0x32a5705f, v7
	v_sub_f32_e32 v15, v15, v33
	v_add_f32_e32 v15, v15, v32
	v_exp_f32_e32 v15, v15
	v_cvt_i32_f32_e32 v33, v33
	v_cmp_ngt_f32_e32 vcc, s3, v6
	v_sub_f32_e32 v3, v3, v16
	v_sub_f32_e32 v2, v2, v16
	v_cndmask_b32_e32 v14, 0, v14, vcc
	v_cmp_nlt_f32_e32 vcc, s2, v6
	v_ldexp_f32 v6, v15, v33
	v_sub_f32_e32 v1, v1, v16
	v_cndmask_b32_e32 v32, v4, v14, vcc
	v_sub_f32_e32 v14, v18, v16
	v_mul_f32_e32 v15, 0x3fb8aa3b, v14
	v_fma_f32 v18, v14, s4, -v15
	v_rndne_f32_e32 v33, v15
	v_fmac_f32_e32 v18, 0x32a5705f, v14
	v_sub_f32_e32 v15, v15, v33
	v_add_f32_e32 v15, v15, v18
	v_exp_f32_e32 v15, v15
	v_cvt_i32_f32_e32 v18, v33
	v_cmp_ngt_f32_e32 vcc, s3, v7
	s_nop 1
	v_cndmask_b32_e32 v6, 0, v6, vcc
	v_cmp_nlt_f32_e32 vcc, s2, v7
	v_sub_f32_e32 v7, v19, v16
	s_nop 0
	v_cndmask_b32_e32 v33, v4, v6, vcc
	v_ldexp_f32 v6, v15, v18
	v_mul_f32_e32 v15, 0x3fb8aa3b, v7
	v_fma_f32 v18, v7, s4, -v15
	v_rndne_f32_e32 v19, v15
	v_fmac_f32_e32 v18, 0x32a5705f, v7
	v_sub_f32_e32 v15, v15, v19
	v_add_f32_e32 v15, v15, v18
	v_exp_f32_e32 v15, v15
	v_cvt_i32_f32_e32 v18, v19
	v_cmp_ngt_f32_e32 vcc, s3, v14
	s_nop 1
	v_cndmask_b32_e32 v6, 0, v6, vcc
	v_cmp_nlt_f32_e32 vcc, s2, v14
	v_sub_f32_e32 v14, v20, v16
	s_nop 0
	v_cndmask_b32_e32 v34, v4, v6, vcc
	v_ldexp_f32 v6, v15, v18
	;; [unrolled: 16-line block ×7, first 2 shown]
	v_mul_f32_e32 v15, 0x3fb8aa3b, v7
	v_fma_f32 v18, v7, s4, -v15
	v_rndne_f32_e32 v19, v15
	v_fmac_f32_e32 v18, 0x32a5705f, v7
	v_sub_f32_e32 v15, v15, v19
	v_add_f32_e32 v15, v15, v18
	v_exp_f32_e32 v15, v15
	v_cvt_i32_f32_e32 v18, v19
	v_cmp_ngt_f32_e32 vcc, s3, v14
	s_nop 1
	v_cndmask_b32_e32 v6, 0, v6, vcc
	v_cmp_nlt_f32_e32 vcc, s2, v14
	s_nop 1
	v_cndmask_b32_e32 v40, v4, v6, vcc
	v_ldexp_f32 v6, v15, v18
	v_cmp_ngt_f32_e32 vcc, s3, v7
	s_nop 1
	v_cndmask_b32_e32 v6, 0, v6, vcc
	v_cmp_nlt_f32_e32 vcc, s2, v7
	s_nop 1
	v_cndmask_b32_e32 v41, v4, v6, vcc
	v_mul_f32_e32 v6, 0x3fb8aa3b, v5
	v_fma_f32 v7, v5, s4, -v6
	v_rndne_f32_e32 v14, v6
	v_fmac_f32_e32 v7, 0x32a5705f, v5
	v_sub_f32_e32 v6, v6, v14
	v_add_f32_e32 v6, v6, v7
	v_exp_f32_e32 v15, v6
	v_mul_lo_u32 v6, v8, s9
	v_mul_hi_u32 v7, v8, s8
	v_add_u32_e32 v6, v7, v6
	v_mul_lo_u32 v7, v9, s8
	v_add_u32_e32 v7, v6, v7
	v_mul_lo_u32 v6, v8, s8
	v_lshlrev_b64 v[6:7], 2, v[6:7]
	v_lshl_add_u64 v[6:7], s[0:1], 0, v[6:7]
	v_lshl_add_u64 v[8:9], v[28:29], 2, v[6:7]
	;; [unrolled: 1-line block ×5, first 2 shown]
	global_load_dwordx4 v[18:21], v[8:9], off
	global_load_dwordx4 v[72:75], v[6:7], off
	v_mul_f32_e32 v7, 0x3fb8aa3b, v3
	v_cvt_i32_f32_e32 v14, v14
	v_fma_f32 v8, v3, s4, -v7
	v_rndne_f32_e32 v9, v7
	v_fmac_f32_e32 v8, 0x32a5705f, v3
	v_sub_f32_e32 v7, v7, v9
	v_add_f32_e32 v7, v7, v8
	v_exp_f32_e32 v7, v7
	v_cvt_i32_f32_e32 v8, v9
	v_ldexp_f32 v6, v15, v14
	v_cmp_ngt_f32_e32 vcc, s3, v5
	v_sub_f32_e32 v10, v0, v16
	v_mul_f32_e32 v0, 0x3fb8aa3b, v10
	v_cndmask_b32_e32 v6, 0, v6, vcc
	v_cmp_nlt_f32_e32 vcc, s2, v5
	v_ldexp_f32 v5, v7, v8
	s_mov_b32 s0, 0xc1a00000
	v_cndmask_b32_e32 v28, v4, v6, vcc
	v_mul_f32_e32 v6, 0x3fb8aa3b, v2
	v_fma_f32 v7, v2, s4, -v6
	v_rndne_f32_e32 v8, v6
	v_fmac_f32_e32 v7, 0x32a5705f, v2
	v_sub_f32_e32 v6, v6, v8
	v_add_f32_e32 v6, v6, v7
	v_exp_f32_e32 v6, v6
	v_cvt_i32_f32_e32 v7, v8
	v_cmp_ngt_f32_e32 vcc, s3, v3
	s_waitcnt vmcnt(1)
	ds_write_b128 v12, v[18:21]
	s_waitcnt vmcnt(0)
	ds_write_b128 v13, v[72:75]
	v_cndmask_b32_e32 v5, 0, v5, vcc
	v_cmp_nlt_f32_e32 vcc, s2, v3
	v_ldexp_f32 v3, v6, v7
	s_waitcnt lgkmcnt(0)
	v_cndmask_b32_e32 v29, v4, v5, vcc
	v_mul_f32_e32 v5, 0x3fb8aa3b, v1
	v_fma_f32 v6, v1, s4, -v5
	v_rndne_f32_e32 v7, v5
	v_fmac_f32_e32 v6, 0x32a5705f, v1
	v_sub_f32_e32 v5, v5, v7
	v_add_f32_e32 v5, v5, v6
	v_exp_f32_e32 v5, v5
	v_cvt_i32_f32_e32 v6, v7
	v_cmp_ngt_f32_e32 vcc, s3, v2
	s_barrier
	s_nop 0
	v_cndmask_b32_e32 v3, 0, v3, vcc
	v_cmp_nlt_f32_e32 vcc, s2, v2
	v_ldexp_f32 v2, v5, v6
	v_sub_f32_e32 v6, v70, v16
	v_mul_f32_e32 v7, 0x3fb8aa3b, v6
	v_fma_f32 v8, v6, s4, -v7
	v_rndne_f32_e32 v9, v7
	v_fmac_f32_e32 v8, 0x32a5705f, v6
	v_sub_f32_e32 v7, v7, v9
	v_add_f32_e32 v7, v7, v8
	v_exp_f32_e32 v7, v7
	v_cvt_i32_f32_e32 v8, v9
	v_cndmask_b32_e32 v30, v4, v3, vcc
	v_fma_f32 v3, v10, s4, -v0
	v_rndne_f32_e32 v5, v0
	v_cmp_ngt_f32_e32 vcc, s3, v1
	v_fmac_f32_e32 v3, 0x32a5705f, v10
	v_sub_f32_e32 v0, v0, v5
	v_cndmask_b32_e32 v2, 0, v2, vcc
	v_add_f32_e32 v0, v0, v3
	v_cvt_i32_f32_e32 v3, v5
	v_ldexp_f32 v5, v7, v8
	v_cmp_ngt_f32_e32 vcc, s3, v6
	v_exp_f32_e32 v0, v0
	v_add3_u32 v9, 0, v65, v63
	v_cndmask_b32_e32 v5, 0, v5, vcc
	v_cmp_nlt_f32_e32 vcc, s2, v6
	v_add3_u32 v7, 0, v66, v63
	v_ldexp_f32 v14, v0, v3
	v_cndmask_b32_e32 v5, v4, v5, vcc
	v_cmp_le_f32_e32 vcc, s0, v6
	s_mov_b32 s0, 0x5040100
	v_cvt_pk_f16_f32 v21, v41, v28
	v_cndmask_b32_e32 v31, 0, v5, vcc
	v_cvt_f16_f32_e32 v5, v31
	v_cmp_nlt_f32_e32 vcc, s2, v1
	s_mov_b32 s1, 0
	v_mul_u32_u24_e32 v8, 0x10001, v5
	v_add3_u32 v5, 0, v64, v63
	ds_read_u16 v12, v9
	ds_read_u16 v6, v9 offset:32
	ds_read_u16 v15, v9 offset:2304
	;; [unrolled: 1-line block ×7, first 2 shown]
	ds_read_u16 v13, v7
	ds_read_u16 v67, v7 offset:32
	ds_read_u16 v20, v7 offset:2304
	;; [unrolled: 1-line block ×7, first 2 shown]
	v_pk_mul_f16 v1, v103, v8
	v_pk_mul_f16 v3, v102, v8
	s_waitcnt lgkmcnt(7)
	v_perm_b32 v19, v13, v12, s0
	ds_read_u16 v12, v5 offset:144
	ds_read_u16 v13, v5
	ds_read_u16 v73, v5 offset:32
	ds_read_u16 v74, v5 offset:176
	;; [unrolled: 1-line block ×6, first 2 shown]
	s_waitcnt lgkmcnt(6)
	v_perm_b32 v18, v12, v13, s0
	v_cndmask_b32_e32 v42, v4, v2, vcc
	v_cvt_f32_f16_e32 v0, v1
	v_cvt_f32_f16_sdwa v1, v1 dst_sel:DWORD dst_unused:UNUSED_PAD src0_sel:WORD_1
	v_cvt_f32_f16_e32 v2, v3
	v_cvt_f32_f16_sdwa v3, v3 dst_sel:DWORD dst_unused:UNUSED_PAD src0_sel:WORD_1
	v_cvt_pk_f16_f32 v13, v33, v34
	v_cvt_pk_f16_f32 v12, v24, v32
	v_cmp_ngt_f32_e32 vcc, s3, v10
	v_perm_b32 v11, v68, v11, s0
	v_mfma_f32_16x16x16_f16 v[0:3], v[18:19], v[12:13], v[0:3]
	v_perm_b32 v19, v20, v15, s0
	ds_read_u16 v15, v5 offset:2304
	ds_read_u16 v18, v5 offset:2448
	;; [unrolled: 1-line block ×8, first 2 shown]
	s_waitcnt lgkmcnt(6)
	v_perm_b32 v18, v18, v15, s0
	v_cvt_f16_f32_e32 v0, v0
	v_cvt_f16_f32_e32 v1, v1
	;; [unrolled: 1-line block ×4, first 2 shown]
	v_cvt_f32_f16_e32 v0, v0
	v_cvt_f32_f16_e32 v1, v1
	;; [unrolled: 1-line block ×4, first 2 shown]
	v_cndmask_b32_e32 v14, 0, v14, vcc
	v_cmp_nlt_f32_e32 vcc, s2, v10
	v_cvt_pk_f16_f32 v15, v37, v38
	v_cvt_pk_f16_f32 v20, v39, v40
	v_cndmask_b32_e32 v85, v4, v14, vcc
	v_cvt_pk_f16_f32 v14, v35, v36
	ds_read_u16 v4, v9 offset:4608
	ds_read_u16 v10, v9 offset:6912
	;; [unrolled: 1-line block ×16, first 2 shown]
	v_mfma_f32_16x16x16_f16 v[0:3], v[18:19], v[14:15], v[0:3]
	s_waitcnt lgkmcnt(7)
	v_perm_b32 v19, v9, v4, s0
	ds_read_u16 v4, v5 offset:4608
	ds_read_u16 v7, v5 offset:4752
	;; [unrolled: 1-line block ×8, first 2 shown]
	s_waitcnt lgkmcnt(6)
	v_perm_b32 v18, v7, v4, s0
	v_cvt_f16_f32_e32 v0, v0
	v_cvt_f16_f32_e32 v1, v1
	;; [unrolled: 1-line block ×4, first 2 shown]
	v_cvt_f32_f16_e32 v0, v0
	v_cvt_f32_f16_e32 v1, v1
	;; [unrolled: 1-line block ×4, first 2 shown]
	v_pk_mul_f16 v4, v101, v8
	v_perm_b32 v65, v64, v10, s0
	v_mfma_f32_16x16x16_f16 v[0:3], v[18:19], v[20:21], v[0:3]
	ds_read_u16 v7, v5 offset:6912
	ds_read_u16 v10, v5 offset:7056
	;; [unrolled: 1-line block ×8, first 2 shown]
	s_waitcnt lgkmcnt(6)
	v_perm_b32 v64, v10, v7, s0
	v_cvt_pk_f16_f32 v19, v42, v85
	v_cvt_f16_f32_e32 v0, v0
	v_cvt_f16_f32_e32 v1, v1
	;; [unrolled: 1-line block ×4, first 2 shown]
	v_cvt_f32_f16_e32 v0, v0
	v_cvt_f32_f16_e32 v1, v1
	;; [unrolled: 1-line block ×4, first 2 shown]
	v_cvt_pk_f16_f32 v18, v29, v30
	v_pk_mul_f16 v7, v49, v8
	v_perm_b32 v5, v67, v6, s0
	v_mfma_f32_16x16x16_f16 v[0:3], v[64:65], v[18:19], v[0:3]
	v_cvt_f32_f16_e32 v64, v4
	v_cvt_f32_f16_sdwa v65, v4 dst_sel:DWORD dst_unused:UNUSED_PAD src0_sel:WORD_1
	v_perm_b32 v4, v74, v73, s0
	v_cvt_f32_f16_e32 v66, v7
	v_cvt_f32_f16_sdwa v67, v7 dst_sel:DWORD dst_unused:UNUSED_PAD src0_sel:WORD_1
	v_perm_b32 v10, v80, v79, s0
	v_pk_mul_f16 v47, v47, v8
	v_mfma_f32_16x16x16_f16 v[4:7], v[4:5], v[12:13], v[64:67]
	v_pk_mul_f16 v17, v17, v8
	v_cmp_gt_u32_e32 vcc, 16, v58
	s_nop 0
	v_cvt_f32_f16_e32 v66, v47
	v_cvt_f32_f16_sdwa v67, v47 dst_sel:DWORD dst_unused:UNUSED_PAD src0_sel:WORD_1
	s_nop 2
	v_cvt_f16_f32_e32 v4, v4
	v_cvt_f16_f32_e32 v5, v5
	v_cvt_f16_f32_e32 v6, v6
	v_cvt_f16_f32_e32 v7, v7
	v_cvt_f32_f16_e32 v4, v4
	v_cvt_f32_f16_e32 v5, v5
	;; [unrolled: 1-line block ×4, first 2 shown]
	v_perm_b32 v47, v72, v63, s0
	s_waitcnt lgkmcnt(0)
	v_mfma_f32_16x16x16_f16 v[4:7], v[10:11], v[14:15], v[4:7]
	v_perm_b32 v11, v92, v86, s0
	v_perm_b32 v10, v98, v9, s0
	v_pk_mul_f16 v9, v48, v8
	s_barrier
	s_nop 3
	v_cvt_f16_f32_e32 v4, v4
	v_cvt_f16_f32_e32 v5, v5
	;; [unrolled: 1-line block ×4, first 2 shown]
	v_cvt_f32_f16_e32 v4, v4
	v_cvt_f32_f16_e32 v5, v5
	;; [unrolled: 1-line block ×5, first 2 shown]
	v_cvt_f32_f16_sdwa v65, v9 dst_sel:DWORD dst_unused:UNUSED_PAD src0_sel:WORD_1
	v_mfma_f32_16x16x16_f16 v[4:7], v[10:11], v[20:21], v[4:7]
	v_perm_b32 v11, v93, v87, s0
	v_perm_b32 v10, v104, v101, s0
	s_nop 5
	v_cvt_f16_f32_e32 v4, v4
	v_cvt_f16_f32_e32 v5, v5
	;; [unrolled: 1-line block ×4, first 2 shown]
	v_cvt_f32_f16_e32 v4, v4
	v_cvt_f32_f16_e32 v5, v5
	v_cvt_f32_f16_e32 v6, v6
	v_cvt_f32_f16_e32 v7, v7
	s_barrier
	s_nop 0
	v_mfma_f32_16x16x16_f16 v[4:7], v[10:11], v[18:19], v[4:7]
	v_perm_b32 v11, v69, v43, s0
	v_perm_b32 v10, v76, v75, s0
	s_nop 1
	v_mfma_f32_16x16x16_f16 v[64:67], v[10:11], v[12:13], v[64:67]
	s_nop 7
	v_cvt_f16_f32_e32 v10, v65
	v_cvt_f16_f32_e32 v11, v66
	;; [unrolled: 1-line block ×4, first 2 shown]
	v_cvt_f32_f16_e32 v65, v10
	v_cvt_f32_f16_e32 v66, v11
	v_perm_b32 v11, v70, v44, s0
	v_perm_b32 v10, v82, v81, s0
	v_cvt_f32_f16_e32 v64, v9
	v_cvt_f32_f16_e32 v67, v43
	v_add_f32_e32 v9, v24, v32
	v_add_f32_e32 v9, v33, v9
	v_mfma_f32_16x16x16_f16 v[64:67], v[10:11], v[14:15], v[64:67]
	v_add_f32_e32 v9, v34, v9
	v_add_f32_e32 v9, v35, v9
	s_nop 5
	v_cvt_f16_f32_e32 v10, v64
	v_cvt_f16_f32_e32 v11, v65
	v_cvt_f16_f32_e32 v24, v66
	v_cvt_f16_f32_e32 v32, v67
	v_cvt_f32_f16_e32 v64, v10
	v_cvt_f32_f16_e32 v65, v11
	v_perm_b32 v11, v94, v88, s0
	v_perm_b32 v10, v100, v99, s0
	v_cvt_f32_f16_e32 v66, v24
	v_cvt_f32_f16_e32 v67, v32
	s_nop 1
	v_mfma_f32_16x16x16_f16 v[32:35], v[10:11], v[20:21], v[64:67]
	s_nop 7
	v_cvt_f16_f32_e32 v10, v32
	v_cvt_f16_f32_e32 v11, v33
	;; [unrolled: 1-line block ×4, first 2 shown]
	v_cvt_f32_f16_e32 v32, v10
	v_cvt_f32_f16_e32 v33, v11
	v_perm_b32 v11, v95, v89, s0
	v_perm_b32 v10, v106, v105, s0
	v_cvt_f32_f16_e32 v34, v24
	v_cvt_f32_f16_e32 v35, v35
	v_add_f32_e32 v24, v36, v9
	v_pk_mul_f16 v36, v46, v8
	v_perm_b32 v46, v77, v78, s0
	v_mfma_f32_16x16x16_f16 v[8:11], v[10:11], v[18:19], v[32:35]
	s_nop 2
	v_cvt_f32_f16_e32 v32, v36
	v_cvt_f32_f16_sdwa v33, v36 dst_sel:DWORD dst_unused:UNUSED_PAD src0_sel:WORD_1
	v_cvt_f32_f16_e32 v34, v17
	v_cvt_f32_f16_sdwa v35, v17 dst_sel:DWORD dst_unused:UNUSED_PAD src0_sel:WORD_1
	v_add_f32_e32 v17, v37, v24
	v_add_f32_e32 v17, v38, v17
	v_mfma_f32_16x16x16_f16 v[32:35], v[46:47], v[12:13], v[32:35]
	v_add_f32_e32 v17, v39, v17
	v_add_f32_e32 v17, v40, v17
	;; [unrolled: 1-line block ×4, first 2 shown]
	s_nop 3
	v_cvt_f16_f32_e32 v12, v32
	v_cvt_f16_f32_e32 v13, v33
	;; [unrolled: 1-line block ×4, first 2 shown]
	v_cvt_f32_f16_e32 v32, v12
	v_cvt_f32_f16_e32 v33, v13
	v_perm_b32 v13, v71, v45, s0
	v_perm_b32 v12, v83, v84, s0
	v_cvt_f32_f16_e32 v34, v24
	v_cvt_f32_f16_e32 v35, v35
	v_add_f32_e32 v17, v29, v17
	v_add_f32_e32 v17, v30, v17
	v_mfma_f32_16x16x16_f16 v[12:15], v[12:13], v[14:15], v[32:35]
	v_add_f32_e32 v17, v42, v17
	v_add_f32_e32 v17, v85, v17
	s_nop 0
	v_perm_b32 v33, v97, v91, s0
	v_perm_b32 v32, v102, v103, s0
	s_nop 2
	v_cvt_f16_f32_e32 v12, v12
	v_cvt_f16_f32_e32 v13, v13
	;; [unrolled: 1-line block ×4, first 2 shown]
	v_cvt_f32_f16_e32 v12, v12
	v_cvt_f32_f16_e32 v13, v13
	;; [unrolled: 1-line block ×4, first 2 shown]
	v_fmac_f32_e32 v17, v62, v31
	ds_bpermute_b32 v22, v22, v17
	v_mfma_f32_16x16x16_f16 v[12:15], v[32:33], v[20:21], v[12:15]
	v_perm_b32 v21, v96, v90, s0
	v_perm_b32 v20, v107, v108, s0
	s_waitcnt lgkmcnt(0)
	v_add_f32_e32 v17, v17, v22
	s_nop 3
	v_cvt_f16_f32_e32 v12, v12
	v_cvt_f16_f32_e32 v13, v13
	v_cvt_f16_f32_e32 v14, v14
	v_cvt_f16_f32_e32 v15, v15
	v_cvt_f32_f16_e32 v12, v12
	v_cvt_f32_f16_e32 v13, v13
	;; [unrolled: 1-line block ×4, first 2 shown]
	s_nop 1
	v_mfma_f32_16x16x16_f16 v[12:15], v[20:21], v[18:19], v[12:15]
	ds_bpermute_b32 v18, v23, v17
	s_and_saveexec_b64 s[4:5], vcc
	s_cbranch_execz .LBB0_242
; %bb.241:
	v_readlane_b32 s0, v127, 11
	s_add_i32 s0, s0, s10
	s_lshl_b32 s0, s0, 6
	s_lshl_b64 s[2:3], s[0:1], 3
	s_add_u32 s2, s22, s2
	s_addc_u32 s3, s23, s3
	v_or_b32_e32 v24, v61, v58
	v_lshl_add_u64 v[20:21], v[24:25], 3, s[2:3]
	s_waitcnt lgkmcnt(0)
	v_add_f32_e32 v17, v17, v18
	global_store_dwordx2 v[20:21], v[16:17], off
.LBB0_242:
	s_or_b64 exec, exec, s[4:5]
	s_load_dword s0, s[12:13], 0x0
	s_load_dword s2, s[12:13], 0x10
	v_cvt_pk_f16_f32 v2, v2, v3
	v_cvt_pk_f16_f32 v3, v4, v5
	;; [unrolled: 1-line block ×3, first 2 shown]
	v_or_b32_e32 v8, v61, v59
	s_waitcnt lgkmcnt(0)
	s_lshr_b32 s2, s2, 16
	s_cmp_lg_u32 s2, 0
	s_cselect_b64 s[2:3], -1, 0
	v_mul_i32_i24_e32 v8, 0x90, v8
	s_cmp_lg_u64 s[2:3], 0
	v_cvt_pk_f16_f32 v0, v0, v1
	s_movk_i32 s4, 0x90
	v_add3_u32 v8, 0, v60, v8
	s_addc_u32 s0, s0, 0
	v_cvt_pk_f16_f32 v1, v6, v7
	v_cvt_pk_f16_f32 v4, v10, v11
	;; [unrolled: 1-line block ×4, first 2 shown]
	s_lshl_b32 s0, s0, 7
	ds_write2_b32 v8, v0, v2 offset1:1
	ds_write2_b32 v8, v3, v1 offset0:8 offset1:9
	ds_write2_b32 v8, v5, v4 offset0:16 offset1:17
	;; [unrolled: 1-line block ×3, first 2 shown]
	v_mad_u32_u24 v0, v27, s4, v50
	s_lshl_b32 s2, s10, 11
	s_mov_b32 s3, s1
	s_lshl_b64 s[0:1], s[0:1], 3
	s_waitcnt lgkmcnt(0)
	s_barrier
	ds_read_b32 v3, v0
	v_add_u32_e32 v7, 0x80, v0
	s_add_u32 s5, s22, s0
	ds_read2st64_b32 v[0:1], v7 offset0:4 offset1:13
	s_addc_u32 s6, s23, s1
	s_lshl_b64 s[0:1], s[2:3], 3
	v_and_b32_e32 v2, 15, v27
	s_movk_i32 s2, 0x1ff0
	v_and_or_b32 v4, v52, s2, v2
	v_and_or_b32 v5, v54, s2, v2
	;; [unrolled: 1-line block ×3, first 2 shown]
	v_mad_u32_u24 v4, v4, s4, v50
	v_mad_u32_u24 v2, v2, s4, v50
	;; [unrolled: 1-line block ×3, first 2 shown]
	ds_read_b32 v8, v4
	ds_read_b32 v9, v5
	;; [unrolled: 1-line block ×3, first 2 shown]
	s_waitcnt lgkmcnt(4)
	v_cvt_f32_f16_e32 v2, v3
	v_cvt_f32_f16_sdwa v3, v3 dst_sel:DWORD dst_unused:UNUSED_PAD src0_sel:WORD_1
	s_waitcnt lgkmcnt(3)
	v_cvt_f32_f16_e32 v4, v0
	v_cvt_f32_f16_sdwa v5, v0 dst_sel:DWORD dst_unused:UNUSED_PAD src0_sel:WORD_1
	s_add_u32 s0, s5, s0
	v_lshlrev_b32_e32 v6, 3, v26
	s_addc_u32 s1, s6, s1
	v_lshl_or_b32 v11, v27, 8, v6
	v_pk_add_f32 v[2:3], v[2:3], 0 op_sel_hi:[1,0]
	global_store_dwordx2 v11, v[2:3], s[0:1]
	v_lshl_or_b32 v0, v51, 8, v6
	v_pk_add_f32 v[2:3], v[4:5], 0 op_sel_hi:[1,0]
	global_store_dwordx2 v0, v[2:3], s[0:1]
	s_waitcnt lgkmcnt(2)
	v_cvt_f32_f16_e32 v2, v8
	v_cvt_f32_f16_sdwa v3, v8 dst_sel:DWORD dst_unused:UNUSED_PAD src0_sel:WORD_1
	v_lshl_or_b32 v4, v52, 8, v6
	v_cvt_f32_f16_e32 v0, v1
	v_cvt_f32_f16_sdwa v1, v1 dst_sel:DWORD dst_unused:UNUSED_PAD src0_sel:WORD_1
	v_pk_add_f32 v[2:3], v[2:3], 0 op_sel_hi:[1,0]
	global_store_dwordx2 v4, v[2:3], s[0:1]
	ds_read2st64_b32 v[2:3], v7 offset0:22 offset1:31
	v_lshl_or_b32 v4, v53, 8, v6
	v_pk_add_f32 v[0:1], v[0:1], 0 op_sel_hi:[1,0]
	global_store_dwordx2 v4, v[0:1], s[0:1]
	s_waitcnt lgkmcnt(2)
	v_cvt_f32_f16_e32 v0, v9
	v_cvt_f32_f16_sdwa v1, v9 dst_sel:DWORD dst_unused:UNUSED_PAD src0_sel:WORD_1
	s_waitcnt lgkmcnt(0)
	v_cvt_f32_f16_e32 v4, v2
	v_cvt_f32_f16_sdwa v5, v2 dst_sel:DWORD dst_unused:UNUSED_PAD src0_sel:WORD_1
	v_lshl_or_b32 v7, v54, 8, v6
	v_pk_add_f32 v[0:1], v[0:1], 0 op_sel_hi:[1,0]
	global_store_dwordx2 v7, v[0:1], s[0:1]
	v_lshl_or_b32 v2, v55, 8, v6
	v_pk_add_f32 v[0:1], v[4:5], 0 op_sel_hi:[1,0]
	global_store_dwordx2 v2, v[0:1], s[0:1]
	v_cvt_f32_f16_e32 v0, v10
	v_cvt_f32_f16_sdwa v1, v10 dst_sel:DWORD dst_unused:UNUSED_PAD src0_sel:WORD_1
	v_cvt_f32_f16_e32 v2, v3
	v_cvt_f32_f16_sdwa v3, v3 dst_sel:DWORD dst_unused:UNUSED_PAD src0_sel:WORD_1
	v_lshl_or_b32 v4, v56, 8, v6
	v_pk_add_f32 v[0:1], v[0:1], 0 op_sel_hi:[1,0]
	global_store_dwordx2 v4, v[0:1], s[0:1]
	v_lshl_or_b32 v4, v57, 8, v6
	v_pk_add_f32 v[0:1], v[2:3], 0 op_sel_hi:[1,0]
	global_store_dwordx2 v4, v[0:1], s[0:1]
	s_endpgm
	.section	.rodata,"a",@progbits
	.p2align	6, 0x0
	.amdhsa_kernel _ZL18flash_attn_ext_f16ILi64ELi64ELi16ELi4ELb0ELb0EEvPKcS1_S1_S1_S1_PKiPfP15HIP_vector_typeIfLj2EEffffjfiS5_IjLj3EEiiiiiiiiiiiliiliiiiil
		.amdhsa_group_segment_fixed_size 0
		.amdhsa_private_segment_fixed_size 112
		.amdhsa_kernarg_size 464
		.amdhsa_user_sgpr_count 2
		.amdhsa_user_sgpr_dispatch_ptr 0
		.amdhsa_user_sgpr_queue_ptr 0
		.amdhsa_user_sgpr_kernarg_segment_ptr 1
		.amdhsa_user_sgpr_dispatch_id 0
		.amdhsa_user_sgpr_kernarg_preload_length 0
		.amdhsa_user_sgpr_kernarg_preload_offset 0
		.amdhsa_user_sgpr_private_segment_size 0
		.amdhsa_uses_dynamic_stack 0
		.amdhsa_enable_private_segment 1
		.amdhsa_system_sgpr_workgroup_id_x 1
		.amdhsa_system_sgpr_workgroup_id_y 0
		.amdhsa_system_sgpr_workgroup_id_z 0
		.amdhsa_system_sgpr_workgroup_info 0
		.amdhsa_system_vgpr_workitem_id 1
		.amdhsa_next_free_vgpr 128
		.amdhsa_next_free_sgpr 100
		.amdhsa_accum_offset 128
		.amdhsa_reserve_vcc 1
		.amdhsa_float_round_mode_32 0
		.amdhsa_float_round_mode_16_64 0
		.amdhsa_float_denorm_mode_32 3
		.amdhsa_float_denorm_mode_16_64 3
		.amdhsa_dx10_clamp 1
		.amdhsa_ieee_mode 1
		.amdhsa_fp16_overflow 0
		.amdhsa_tg_split 0
		.amdhsa_exception_fp_ieee_invalid_op 0
		.amdhsa_exception_fp_denorm_src 0
		.amdhsa_exception_fp_ieee_div_zero 0
		.amdhsa_exception_fp_ieee_overflow 0
		.amdhsa_exception_fp_ieee_underflow 0
		.amdhsa_exception_fp_ieee_inexact 0
		.amdhsa_exception_int_div_zero 0
	.end_amdhsa_kernel
	.section	.text._ZL18flash_attn_ext_f16ILi64ELi64ELi16ELi4ELb0ELb0EEvPKcS1_S1_S1_S1_PKiPfP15HIP_vector_typeIfLj2EEffffjfiS5_IjLj3EEiiiiiiiiiiiliiliiiiil,"axG",@progbits,_ZL18flash_attn_ext_f16ILi64ELi64ELi16ELi4ELb0ELb0EEvPKcS1_S1_S1_S1_PKiPfP15HIP_vector_typeIfLj2EEffffjfiS5_IjLj3EEiiiiiiiiiiiliiliiiiil,comdat
.Lfunc_end0:
	.size	_ZL18flash_attn_ext_f16ILi64ELi64ELi16ELi4ELb0ELb0EEvPKcS1_S1_S1_S1_PKiPfP15HIP_vector_typeIfLj2EEffffjfiS5_IjLj3EEiiiiiiiiiiiliiliiiiil, .Lfunc_end0-_ZL18flash_attn_ext_f16ILi64ELi64ELi16ELi4ELb0ELb0EEvPKcS1_S1_S1_S1_PKiPfP15HIP_vector_typeIfLj2EEffffjfiS5_IjLj3EEiiiiiiiiiiiliiliiiiil
                                        ; -- End function
	.set _ZL18flash_attn_ext_f16ILi64ELi64ELi16ELi4ELb0ELb0EEvPKcS1_S1_S1_S1_PKiPfP15HIP_vector_typeIfLj2EEffffjfiS5_IjLj3EEiiiiiiiiiiiliiliiiiil.num_vgpr, 128
	.set _ZL18flash_attn_ext_f16ILi64ELi64ELi16ELi4ELb0ELb0EEvPKcS1_S1_S1_S1_PKiPfP15HIP_vector_typeIfLj2EEffffjfiS5_IjLj3EEiiiiiiiiiiiliiliiiiil.num_agpr, 0
	.set _ZL18flash_attn_ext_f16ILi64ELi64ELi16ELi4ELb0ELb0EEvPKcS1_S1_S1_S1_PKiPfP15HIP_vector_typeIfLj2EEffffjfiS5_IjLj3EEiiiiiiiiiiiliiliiiiil.numbered_sgpr, 100
	.set _ZL18flash_attn_ext_f16ILi64ELi64ELi16ELi4ELb0ELb0EEvPKcS1_S1_S1_S1_PKiPfP15HIP_vector_typeIfLj2EEffffjfiS5_IjLj3EEiiiiiiiiiiiliiliiiiil.num_named_barrier, 0
	.set _ZL18flash_attn_ext_f16ILi64ELi64ELi16ELi4ELb0ELb0EEvPKcS1_S1_S1_S1_PKiPfP15HIP_vector_typeIfLj2EEffffjfiS5_IjLj3EEiiiiiiiiiiiliiliiiiil.private_seg_size, 112
	.set _ZL18flash_attn_ext_f16ILi64ELi64ELi16ELi4ELb0ELb0EEvPKcS1_S1_S1_S1_PKiPfP15HIP_vector_typeIfLj2EEffffjfiS5_IjLj3EEiiiiiiiiiiiliiliiiiil.uses_vcc, 1
	.set _ZL18flash_attn_ext_f16ILi64ELi64ELi16ELi4ELb0ELb0EEvPKcS1_S1_S1_S1_PKiPfP15HIP_vector_typeIfLj2EEffffjfiS5_IjLj3EEiiiiiiiiiiiliiliiiiil.uses_flat_scratch, 0
	.set _ZL18flash_attn_ext_f16ILi64ELi64ELi16ELi4ELb0ELb0EEvPKcS1_S1_S1_S1_PKiPfP15HIP_vector_typeIfLj2EEffffjfiS5_IjLj3EEiiiiiiiiiiiliiliiiiil.has_dyn_sized_stack, 0
	.set _ZL18flash_attn_ext_f16ILi64ELi64ELi16ELi4ELb0ELb0EEvPKcS1_S1_S1_S1_PKiPfP15HIP_vector_typeIfLj2EEffffjfiS5_IjLj3EEiiiiiiiiiiiliiliiiiil.has_recursion, 0
	.set _ZL18flash_attn_ext_f16ILi64ELi64ELi16ELi4ELb0ELb0EEvPKcS1_S1_S1_S1_PKiPfP15HIP_vector_typeIfLj2EEffffjfiS5_IjLj3EEiiiiiiiiiiiliiliiiiil.has_indirect_call, 0
	.section	.AMDGPU.csdata,"",@progbits
; Kernel info:
; codeLenInByte = 41036
; TotalNumSgprs: 106
; NumVgprs: 128
; NumAgprs: 0
; TotalNumVgprs: 128
; ScratchSize: 112
; MemoryBound: 0
; FloatMode: 240
; IeeeMode: 1
; LDSByteSize: 0 bytes/workgroup (compile time only)
; SGPRBlocks: 13
; VGPRBlocks: 15
; NumSGPRsForWavesPerEU: 106
; NumVGPRsForWavesPerEU: 128
; AccumOffset: 128
; Occupancy: 4
; WaveLimiterHint : 0
; COMPUTE_PGM_RSRC2:SCRATCH_EN: 1
; COMPUTE_PGM_RSRC2:USER_SGPR: 2
; COMPUTE_PGM_RSRC2:TRAP_HANDLER: 0
; COMPUTE_PGM_RSRC2:TGID_X_EN: 1
; COMPUTE_PGM_RSRC2:TGID_Y_EN: 0
; COMPUTE_PGM_RSRC2:TGID_Z_EN: 0
; COMPUTE_PGM_RSRC2:TIDIG_COMP_CNT: 1
; COMPUTE_PGM_RSRC3_GFX90A:ACCUM_OFFSET: 31
; COMPUTE_PGM_RSRC3_GFX90A:TG_SPLIT: 0
	.text
	.p2align	2                               ; -- Begin function __ockl_printf_append_string_n
	.type	__ockl_printf_append_string_n,@function
__ockl_printf_append_string_n:          ; @__ockl_printf_append_string_n
; %bb.0:
	s_waitcnt vmcnt(0) expcnt(0) lgkmcnt(0)
	s_getpc_b64 s[0:1]
	s_add_u32 s0, s0, __FUNCTION__._ZL18flash_attn_ext_f16ILi64ELi64ELi16ELi4ELb1ELb0EEvPKcS1_S1_S1_S1_PKiPfP15HIP_vector_typeIfLj2EEffffjfiS5_IjLj3EEiiiiiiiiiiiliiliiiiil@rel32@lo+4
	s_addc_u32 s1, s1, __FUNCTION__._ZL18flash_attn_ext_f16ILi64ELi64ELi16ELi4ELb1ELb0EEvPKcS1_S1_S1_S1_PKiPfP15HIP_vector_typeIfLj2EEffffjfiS5_IjLj3EEiiiiiiiiiiiliiliiiiil@rel32@hi+12
	v_mov_b32_e32 v2, v0
	s_mov_b64 s[2:3], 0
	s_cmp_lg_u64 s[0:1], 0
	v_mbcnt_lo_u32_b32 v3, -1, 0
	s_cbranch_scc0 .LBB1_87
; %bb.1:
	s_load_dwordx2 s[4:5], s[8:9], 0x50
	v_and_b32_e32 v0, -3, v2
	s_getpc_b64 s[0:1]
	s_add_u32 s0, s0, __FUNCTION__._ZL18flash_attn_ext_f16ILi64ELi64ELi16ELi4ELb1ELb0EEvPKcS1_S1_S1_S1_PKiPfP15HIP_vector_typeIfLj2EEffffjfiS5_IjLj3EEiiiiiiiiiiiliiliiiiil@rel32@lo+4
	s_addc_u32 s1, s1, __FUNCTION__._ZL18flash_attn_ext_f16ILi64ELi64ELi16ELi4ELb1ELb0EEvPKcS1_S1_S1_S1_PKiPfP15HIP_vector_typeIfLj2EEffffjfiS5_IjLj3EEiiiiiiiiiiiliiliiiiil@rel32@hi+12
	v_and_b32_e32 v26, 2, v2
	s_mov_b32 s16, 0
	v_mov_b32_e32 v29, 0
	v_mbcnt_hi_u32_b32 v30, -1, v3
	v_mov_b64_e32 v[32:33], s[0:1]
	s_movk_i32 s17, 0x1e0
	v_mov_b32_e32 v50, 2
	v_mov_b32_e32 v51, 1
	v_mov_b64_e32 v[6:7], v[0:1]
	s_branch .LBB1_3
.LBB1_2:                                ;   in Loop: Header=BB1_3 Depth=1
	s_or_b64 exec, exec, s[10:11]
	v_sub_co_u32_e32 v4, vcc, v4, v34
	v_lshl_add_u64 v[32:33], v[32:33], 0, v[34:35]
	s_nop 0
	v_subb_co_u32_e32 v5, vcc, v5, v35, vcc
	v_cmp_eq_u64_e32 vcc, 0, v[4:5]
	s_or_b64 s[2:3], vcc, s[2:3]
	s_andn2_b64 exec, exec, s[2:3]
	s_cbranch_execz .LBB1_85
.LBB1_3:                                ; =>This Loop Header: Depth=1
                                        ;     Child Loop BB1_6 Depth 2
                                        ;     Child Loop BB1_14 Depth 2
	;; [unrolled: 1-line block ×11, first 2 shown]
	v_cmp_gt_u64_e32 vcc, 56, v[4:5]
	v_lshl_add_u64 v[12:13], v[32:33], 0, 8
	s_nop 0
	v_cndmask_b32_e32 v35, 0, v5, vcc
	v_cndmask_b32_e32 v34, 56, v4, vcc
	v_cmp_gt_u64_e32 vcc, 8, v[4:5]
	s_and_saveexec_b64 s[0:1], vcc
	s_xor_b64 s[0:1], exec, s[0:1]
	s_cbranch_execz .LBB1_9
; %bb.4:                                ;   in Loop: Header=BB1_3 Depth=1
	v_mov_b64_e32 v[8:9], 0
	v_cmp_ne_u64_e32 vcc, 0, v[4:5]
	s_and_saveexec_b64 s[6:7], vcc
	s_cbranch_execz .LBB1_8
; %bb.5:                                ;   in Loop: Header=BB1_3 Depth=1
	v_lshlrev_b64 v[10:11], 3, v[34:35]
	s_mov_b64 s[10:11], 0
	v_mov_b64_e32 v[8:9], 0
	v_mov_b64_e32 v[12:13], v[32:33]
	s_mov_b64 s[12:13], 0
.LBB1_6:                                ;   Parent Loop BB1_3 Depth=1
                                        ; =>  This Inner Loop Header: Depth=2
	global_load_ubyte v0, v[12:13], off
	v_mov_b32_e32 v15, s16
	v_lshl_add_u64 v[12:13], v[12:13], 0, 1
	s_waitcnt vmcnt(0)
	v_and_b32_e32 v14, 0xffff, v0
	v_lshlrev_b64 v[14:15], s12, v[14:15]
	s_add_u32 s12, s12, 8
	s_addc_u32 s13, s13, 0
	v_cmp_eq_u32_e32 vcc, s12, v10
	v_or_b32_e32 v9, v15, v9
	s_or_b64 s[10:11], vcc, s[10:11]
	v_or_b32_e32 v8, v14, v8
	s_andn2_b64 exec, exec, s[10:11]
	s_cbranch_execnz .LBB1_6
; %bb.7:                                ;   in Loop: Header=BB1_3 Depth=1
	s_or_b64 exec, exec, s[10:11]
.LBB1_8:                                ;   in Loop: Header=BB1_3 Depth=1
	s_or_b64 exec, exec, s[6:7]
	v_mov_b64_e32 v[12:13], v[32:33]
.LBB1_9:                                ;   in Loop: Header=BB1_3 Depth=1
	s_or_saveexec_b64 s[0:1], s[0:1]
	v_mov_b32_e32 v0, 0
	s_xor_b64 exec, exec, s[0:1]
	s_cbranch_execz .LBB1_11
; %bb.10:                               ;   in Loop: Header=BB1_3 Depth=1
	global_load_dwordx2 v[8:9], v[32:33], off
	v_add_u32_e32 v0, -8, v34
.LBB1_11:                               ;   in Loop: Header=BB1_3 Depth=1
	s_or_b64 exec, exec, s[0:1]
	v_cmp_gt_u32_e32 vcc, 8, v0
	v_lshl_add_u64 v[14:15], v[12:13], 0, 8
                                        ; implicit-def: $vgpr10_vgpr11
	s_and_saveexec_b64 s[0:1], vcc
	s_xor_b64 s[0:1], exec, s[0:1]
	s_cbranch_execz .LBB1_17
; %bb.12:                               ;   in Loop: Header=BB1_3 Depth=1
	v_cmp_ne_u32_e32 vcc, 0, v0
	v_mov_b64_e32 v[10:11], 0
	s_and_saveexec_b64 s[6:7], vcc
	s_cbranch_execz .LBB1_16
; %bb.13:                               ;   in Loop: Header=BB1_3 Depth=1
	s_mov_b64 s[10:11], 0
	v_mov_b64_e32 v[10:11], 0
	s_mov_b64 s[12:13], 0
	s_mov_b64 s[14:15], 0
.LBB1_14:                               ;   Parent Loop BB1_3 Depth=1
                                        ; =>  This Inner Loop Header: Depth=2
	v_lshl_add_u64 v[14:15], v[12:13], 0, s[14:15]
	global_load_ubyte v14, v[14:15], off
	s_add_u32 s14, s14, 1
	v_mov_b32_e32 v15, s16
	s_addc_u32 s15, s15, 0
	v_cmp_eq_u32_e32 vcc, s14, v0
	s_waitcnt vmcnt(0)
	v_and_b32_e32 v14, 0xffff, v14
	v_lshlrev_b64 v[14:15], s12, v[14:15]
	s_add_u32 s12, s12, 8
	s_addc_u32 s13, s13, 0
	v_or_b32_e32 v11, v15, v11
	s_or_b64 s[10:11], vcc, s[10:11]
	v_or_b32_e32 v10, v14, v10
	s_andn2_b64 exec, exec, s[10:11]
	s_cbranch_execnz .LBB1_14
; %bb.15:                               ;   in Loop: Header=BB1_3 Depth=1
	s_or_b64 exec, exec, s[10:11]
.LBB1_16:                               ;   in Loop: Header=BB1_3 Depth=1
	s_or_b64 exec, exec, s[6:7]
	v_mov_b64_e32 v[14:15], v[12:13]
                                        ; implicit-def: $vgpr0
.LBB1_17:                               ;   in Loop: Header=BB1_3 Depth=1
	s_or_saveexec_b64 s[0:1], s[0:1]
	v_mov_b32_e32 v18, 0
	s_xor_b64 exec, exec, s[0:1]
	s_cbranch_execz .LBB1_19
; %bb.18:                               ;   in Loop: Header=BB1_3 Depth=1
	global_load_dwordx2 v[10:11], v[12:13], off
	v_add_u32_e32 v18, -8, v0
.LBB1_19:                               ;   in Loop: Header=BB1_3 Depth=1
	s_or_b64 exec, exec, s[0:1]
	v_cmp_gt_u32_e32 vcc, 8, v18
	v_lshl_add_u64 v[16:17], v[14:15], 0, 8
	s_and_saveexec_b64 s[0:1], vcc
	s_xor_b64 s[0:1], exec, s[0:1]
	s_cbranch_execz .LBB1_25
; %bb.20:                               ;   in Loop: Header=BB1_3 Depth=1
	v_cmp_ne_u32_e32 vcc, 0, v18
	v_mov_b64_e32 v[12:13], 0
	s_and_saveexec_b64 s[6:7], vcc
	s_cbranch_execz .LBB1_24
; %bb.21:                               ;   in Loop: Header=BB1_3 Depth=1
	s_mov_b64 s[10:11], 0
	v_mov_b64_e32 v[12:13], 0
	s_mov_b64 s[12:13], 0
	s_mov_b64 s[14:15], 0
.LBB1_22:                               ;   Parent Loop BB1_3 Depth=1
                                        ; =>  This Inner Loop Header: Depth=2
	v_lshl_add_u64 v[16:17], v[14:15], 0, s[14:15]
	global_load_ubyte v0, v[16:17], off
	s_add_u32 s14, s14, 1
	v_mov_b32_e32 v17, s16
	s_addc_u32 s15, s15, 0
	v_cmp_eq_u32_e32 vcc, s14, v18
	s_waitcnt vmcnt(0)
	v_and_b32_e32 v16, 0xffff, v0
	v_lshlrev_b64 v[16:17], s12, v[16:17]
	s_add_u32 s12, s12, 8
	s_addc_u32 s13, s13, 0
	v_or_b32_e32 v13, v17, v13
	s_or_b64 s[10:11], vcc, s[10:11]
	v_or_b32_e32 v12, v16, v12
	s_andn2_b64 exec, exec, s[10:11]
	s_cbranch_execnz .LBB1_22
; %bb.23:                               ;   in Loop: Header=BB1_3 Depth=1
	s_or_b64 exec, exec, s[10:11]
.LBB1_24:                               ;   in Loop: Header=BB1_3 Depth=1
	s_or_b64 exec, exec, s[6:7]
	v_mov_b64_e32 v[16:17], v[14:15]
                                        ; implicit-def: $vgpr18
.LBB1_25:                               ;   in Loop: Header=BB1_3 Depth=1
	s_or_saveexec_b64 s[0:1], s[0:1]
	v_mov_b32_e32 v0, 0
	s_xor_b64 exec, exec, s[0:1]
	s_cbranch_execz .LBB1_27
; %bb.26:                               ;   in Loop: Header=BB1_3 Depth=1
	global_load_dwordx2 v[12:13], v[14:15], off
	v_add_u32_e32 v0, -8, v18
.LBB1_27:                               ;   in Loop: Header=BB1_3 Depth=1
	s_or_b64 exec, exec, s[0:1]
	v_cmp_gt_u32_e32 vcc, 8, v0
	v_lshl_add_u64 v[18:19], v[16:17], 0, 8
                                        ; implicit-def: $vgpr14_vgpr15
	s_and_saveexec_b64 s[0:1], vcc
	s_xor_b64 s[0:1], exec, s[0:1]
	s_cbranch_execz .LBB1_33
; %bb.28:                               ;   in Loop: Header=BB1_3 Depth=1
	v_cmp_ne_u32_e32 vcc, 0, v0
	v_mov_b64_e32 v[14:15], 0
	s_and_saveexec_b64 s[6:7], vcc
	s_cbranch_execz .LBB1_32
; %bb.29:                               ;   in Loop: Header=BB1_3 Depth=1
	s_mov_b64 s[10:11], 0
	v_mov_b64_e32 v[14:15], 0
	s_mov_b64 s[12:13], 0
	s_mov_b64 s[14:15], 0
.LBB1_30:                               ;   Parent Loop BB1_3 Depth=1
                                        ; =>  This Inner Loop Header: Depth=2
	v_lshl_add_u64 v[18:19], v[16:17], 0, s[14:15]
	global_load_ubyte v18, v[18:19], off
	s_add_u32 s14, s14, 1
	v_mov_b32_e32 v19, s16
	s_addc_u32 s15, s15, 0
	v_cmp_eq_u32_e32 vcc, s14, v0
	s_waitcnt vmcnt(0)
	v_and_b32_e32 v18, 0xffff, v18
	v_lshlrev_b64 v[18:19], s12, v[18:19]
	s_add_u32 s12, s12, 8
	s_addc_u32 s13, s13, 0
	v_or_b32_e32 v15, v19, v15
	s_or_b64 s[10:11], vcc, s[10:11]
	v_or_b32_e32 v14, v18, v14
	s_andn2_b64 exec, exec, s[10:11]
	s_cbranch_execnz .LBB1_30
; %bb.31:                               ;   in Loop: Header=BB1_3 Depth=1
	s_or_b64 exec, exec, s[10:11]
.LBB1_32:                               ;   in Loop: Header=BB1_3 Depth=1
	s_or_b64 exec, exec, s[6:7]
	v_mov_b64_e32 v[18:19], v[16:17]
                                        ; implicit-def: $vgpr0
.LBB1_33:                               ;   in Loop: Header=BB1_3 Depth=1
	s_or_saveexec_b64 s[0:1], s[0:1]
	v_mov_b32_e32 v22, 0
	s_xor_b64 exec, exec, s[0:1]
	s_cbranch_execz .LBB1_35
; %bb.34:                               ;   in Loop: Header=BB1_3 Depth=1
	global_load_dwordx2 v[14:15], v[16:17], off
	v_add_u32_e32 v22, -8, v0
.LBB1_35:                               ;   in Loop: Header=BB1_3 Depth=1
	s_or_b64 exec, exec, s[0:1]
	v_cmp_gt_u32_e32 vcc, 8, v22
	v_lshl_add_u64 v[20:21], v[18:19], 0, 8
	s_and_saveexec_b64 s[0:1], vcc
	s_xor_b64 s[0:1], exec, s[0:1]
	s_cbranch_execz .LBB1_41
; %bb.36:                               ;   in Loop: Header=BB1_3 Depth=1
	v_cmp_ne_u32_e32 vcc, 0, v22
	v_mov_b64_e32 v[16:17], 0
	s_and_saveexec_b64 s[6:7], vcc
	s_cbranch_execz .LBB1_40
; %bb.37:                               ;   in Loop: Header=BB1_3 Depth=1
	s_mov_b64 s[10:11], 0
	v_mov_b64_e32 v[16:17], 0
	s_mov_b64 s[12:13], 0
	s_mov_b64 s[14:15], 0
.LBB1_38:                               ;   Parent Loop BB1_3 Depth=1
                                        ; =>  This Inner Loop Header: Depth=2
	v_lshl_add_u64 v[20:21], v[18:19], 0, s[14:15]
	global_load_ubyte v0, v[20:21], off
	s_add_u32 s14, s14, 1
	v_mov_b32_e32 v21, s16
	s_addc_u32 s15, s15, 0
	v_cmp_eq_u32_e32 vcc, s14, v22
	s_waitcnt vmcnt(0)
	v_and_b32_e32 v20, 0xffff, v0
	v_lshlrev_b64 v[20:21], s12, v[20:21]
	s_add_u32 s12, s12, 8
	s_addc_u32 s13, s13, 0
	v_or_b32_e32 v17, v21, v17
	s_or_b64 s[10:11], vcc, s[10:11]
	v_or_b32_e32 v16, v20, v16
	s_andn2_b64 exec, exec, s[10:11]
	s_cbranch_execnz .LBB1_38
; %bb.39:                               ;   in Loop: Header=BB1_3 Depth=1
	s_or_b64 exec, exec, s[10:11]
.LBB1_40:                               ;   in Loop: Header=BB1_3 Depth=1
	s_or_b64 exec, exec, s[6:7]
	v_mov_b64_e32 v[20:21], v[18:19]
                                        ; implicit-def: $vgpr22
.LBB1_41:                               ;   in Loop: Header=BB1_3 Depth=1
	s_or_saveexec_b64 s[0:1], s[0:1]
	v_mov_b32_e32 v0, 0
	s_xor_b64 exec, exec, s[0:1]
	s_cbranch_execz .LBB1_43
; %bb.42:                               ;   in Loop: Header=BB1_3 Depth=1
	global_load_dwordx2 v[16:17], v[18:19], off
	v_add_u32_e32 v0, -8, v22
.LBB1_43:                               ;   in Loop: Header=BB1_3 Depth=1
	s_or_b64 exec, exec, s[0:1]
	v_cmp_gt_u32_e32 vcc, 8, v0
	v_lshl_add_u64 v[22:23], v[20:21], 0, 8
                                        ; implicit-def: $vgpr18_vgpr19
	s_and_saveexec_b64 s[0:1], vcc
	s_xor_b64 s[0:1], exec, s[0:1]
	s_cbranch_execz .LBB1_49
; %bb.44:                               ;   in Loop: Header=BB1_3 Depth=1
	v_cmp_ne_u32_e32 vcc, 0, v0
	v_mov_b64_e32 v[18:19], 0
	s_and_saveexec_b64 s[6:7], vcc
	s_cbranch_execz .LBB1_48
; %bb.45:                               ;   in Loop: Header=BB1_3 Depth=1
	s_mov_b64 s[10:11], 0
	v_mov_b64_e32 v[18:19], 0
	s_mov_b64 s[12:13], 0
	s_mov_b64 s[14:15], 0
.LBB1_46:                               ;   Parent Loop BB1_3 Depth=1
                                        ; =>  This Inner Loop Header: Depth=2
	v_lshl_add_u64 v[22:23], v[20:21], 0, s[14:15]
	global_load_ubyte v22, v[22:23], off
	s_add_u32 s14, s14, 1
	v_mov_b32_e32 v23, s16
	s_addc_u32 s15, s15, 0
	v_cmp_eq_u32_e32 vcc, s14, v0
	s_waitcnt vmcnt(0)
	v_and_b32_e32 v22, 0xffff, v22
	v_lshlrev_b64 v[22:23], s12, v[22:23]
	s_add_u32 s12, s12, 8
	s_addc_u32 s13, s13, 0
	v_or_b32_e32 v19, v23, v19
	s_or_b64 s[10:11], vcc, s[10:11]
	v_or_b32_e32 v18, v22, v18
	s_andn2_b64 exec, exec, s[10:11]
	s_cbranch_execnz .LBB1_46
; %bb.47:                               ;   in Loop: Header=BB1_3 Depth=1
	s_or_b64 exec, exec, s[10:11]
.LBB1_48:                               ;   in Loop: Header=BB1_3 Depth=1
	s_or_b64 exec, exec, s[6:7]
	v_mov_b64_e32 v[22:23], v[20:21]
                                        ; implicit-def: $vgpr0
.LBB1_49:                               ;   in Loop: Header=BB1_3 Depth=1
	s_or_saveexec_b64 s[0:1], s[0:1]
	v_mov_b32_e32 v24, 0
	s_xor_b64 exec, exec, s[0:1]
	s_cbranch_execz .LBB1_51
; %bb.50:                               ;   in Loop: Header=BB1_3 Depth=1
	global_load_dwordx2 v[18:19], v[20:21], off
	v_add_u32_e32 v24, -8, v0
.LBB1_51:                               ;   in Loop: Header=BB1_3 Depth=1
	s_or_b64 exec, exec, s[0:1]
	v_cmp_gt_u32_e32 vcc, 8, v24
	s_and_saveexec_b64 s[0:1], vcc
	s_xor_b64 s[0:1], exec, s[0:1]
	s_cbranch_execz .LBB1_57
; %bb.52:                               ;   in Loop: Header=BB1_3 Depth=1
	v_cmp_ne_u32_e32 vcc, 0, v24
	v_mov_b64_e32 v[20:21], 0
	s_and_saveexec_b64 s[6:7], vcc
	s_cbranch_execz .LBB1_56
; %bb.53:                               ;   in Loop: Header=BB1_3 Depth=1
	s_mov_b64 s[10:11], 0
	v_mov_b64_e32 v[20:21], 0
	s_mov_b64 s[12:13], 0
.LBB1_54:                               ;   Parent Loop BB1_3 Depth=1
                                        ; =>  This Inner Loop Header: Depth=2
	global_load_ubyte v0, v[22:23], off
	v_mov_b32_e32 v37, s16
	v_add_u32_e32 v24, -1, v24
	v_cmp_eq_u32_e32 vcc, 0, v24
	v_lshl_add_u64 v[22:23], v[22:23], 0, 1
	s_waitcnt vmcnt(0)
	v_and_b32_e32 v36, 0xffff, v0
	v_lshlrev_b64 v[36:37], s12, v[36:37]
	s_add_u32 s12, s12, 8
	s_addc_u32 s13, s13, 0
	v_or_b32_e32 v21, v37, v21
	s_or_b64 s[10:11], vcc, s[10:11]
	v_or_b32_e32 v20, v36, v20
	s_andn2_b64 exec, exec, s[10:11]
	s_cbranch_execnz .LBB1_54
; %bb.55:                               ;   in Loop: Header=BB1_3 Depth=1
	s_or_b64 exec, exec, s[10:11]
.LBB1_56:                               ;   in Loop: Header=BB1_3 Depth=1
	s_or_b64 exec, exec, s[6:7]
                                        ; implicit-def: $vgpr22_vgpr23
.LBB1_57:                               ;   in Loop: Header=BB1_3 Depth=1
	s_andn2_saveexec_b64 s[0:1], s[0:1]
	s_cbranch_execz .LBB1_59
; %bb.58:                               ;   in Loop: Header=BB1_3 Depth=1
	global_load_dwordx2 v[20:21], v[22:23], off
.LBB1_59:                               ;   in Loop: Header=BB1_3 Depth=1
	s_or_b64 exec, exec, s[0:1]
	v_readfirstlane_b32 s0, v30
	v_mov_b64_e32 v[36:37], 0
	s_nop 0
	v_cmp_eq_u32_e64 s[0:1], s0, v30
	s_and_saveexec_b64 s[6:7], s[0:1]
	s_cbranch_execz .LBB1_65
; %bb.60:                               ;   in Loop: Header=BB1_3 Depth=1
	s_waitcnt lgkmcnt(0)
	global_load_dwordx2 v[24:25], v29, s[4:5] offset:24 sc0 sc1
	s_waitcnt vmcnt(0)
	buffer_inv sc0 sc1
	global_load_dwordx2 v[22:23], v29, s[4:5] offset:40
	global_load_dwordx2 v[36:37], v29, s[4:5]
	s_waitcnt vmcnt(1)
	v_and_b32_e32 v0, v22, v24
	v_and_b32_e32 v22, v23, v25
	v_mul_lo_u32 v22, v22, 24
	v_mul_hi_u32 v23, v0, 24
	v_add_u32_e32 v23, v23, v22
	v_mul_lo_u32 v22, v0, 24
	s_waitcnt vmcnt(0)
	v_lshl_add_u64 v[22:23], v[36:37], 0, v[22:23]
	global_load_dwordx2 v[22:23], v[22:23], off sc0 sc1
	s_waitcnt vmcnt(0)
	global_atomic_cmpswap_x2 v[36:37], v29, v[22:25], s[4:5] offset:24 sc0 sc1
	s_waitcnt vmcnt(0)
	buffer_inv sc0 sc1
	v_cmp_ne_u64_e32 vcc, v[36:37], v[24:25]
	s_and_saveexec_b64 s[10:11], vcc
	s_cbranch_execz .LBB1_64
; %bb.61:                               ;   in Loop: Header=BB1_3 Depth=1
	s_mov_b64 s[12:13], 0
.LBB1_62:                               ;   Parent Loop BB1_3 Depth=1
                                        ; =>  This Inner Loop Header: Depth=2
	s_sleep 1
	global_load_dwordx2 v[22:23], v29, s[4:5] offset:40
	global_load_dwordx2 v[38:39], v29, s[4:5]
	v_mov_b64_e32 v[24:25], v[36:37]
	s_waitcnt vmcnt(1)
	v_and_b32_e32 v0, v22, v24
	v_and_b32_e32 v27, v23, v25
	s_waitcnt vmcnt(0)
	v_mad_u64_u32 v[22:23], s[14:15], v0, 24, v[38:39]
	v_mov_b32_e32 v0, v23
	v_mad_u64_u32 v[36:37], s[14:15], v27, 24, v[0:1]
	v_mov_b32_e32 v23, v36
	global_load_dwordx2 v[22:23], v[22:23], off sc0 sc1
	s_waitcnt vmcnt(0)
	global_atomic_cmpswap_x2 v[36:37], v29, v[22:25], s[4:5] offset:24 sc0 sc1
	s_waitcnt vmcnt(0)
	buffer_inv sc0 sc1
	v_cmp_eq_u64_e32 vcc, v[36:37], v[24:25]
	s_or_b64 s[12:13], vcc, s[12:13]
	s_andn2_b64 exec, exec, s[12:13]
	s_cbranch_execnz .LBB1_62
; %bb.63:                               ;   in Loop: Header=BB1_3 Depth=1
	s_or_b64 exec, exec, s[12:13]
.LBB1_64:                               ;   in Loop: Header=BB1_3 Depth=1
	s_or_b64 exec, exec, s[10:11]
.LBB1_65:                               ;   in Loop: Header=BB1_3 Depth=1
	s_or_b64 exec, exec, s[6:7]
	s_waitcnt lgkmcnt(0)
	global_load_dwordx2 v[38:39], v29, s[4:5] offset:40
	global_load_dwordx4 v[22:25], v29, s[4:5]
	v_readfirstlane_b32 s7, v37
	v_readfirstlane_b32 s6, v36
	s_mov_b64 s[10:11], exec
	s_waitcnt vmcnt(1)
	v_readfirstlane_b32 s12, v38
	v_readfirstlane_b32 s13, v39
	s_and_b64 s[12:13], s[12:13], s[6:7]
	s_mul_i32 s14, s13, 24
	s_mul_hi_u32 s15, s12, 24
	s_add_i32 s15, s15, s14
	s_mul_i32 s14, s12, 24
	s_waitcnt vmcnt(0)
	v_lshl_add_u64 v[36:37], v[22:23], 0, s[14:15]
	s_and_saveexec_b64 s[14:15], s[0:1]
	s_cbranch_execz .LBB1_67
; %bb.66:                               ;   in Loop: Header=BB1_3 Depth=1
	v_mov_b64_e32 v[48:49], s[10:11]
	global_store_dwordx4 v[36:37], v[48:51], off offset:8
.LBB1_67:                               ;   in Loop: Header=BB1_3 Depth=1
	s_or_b64 exec, exec, s[14:15]
	v_cmp_gt_u64_e32 vcc, 57, v[4:5]
	s_lshl_b64 s[10:11], s[12:13], 12
	v_and_b32_e32 v6, 0xffffff1f, v6
	v_cndmask_b32_e32 v0, 0, v26, vcc
	v_lshl_add_u64 v[24:25], v[24:25], 0, s[10:11]
	v_lshl_add_u32 v27, v34, 2, 28
	v_or_b32_e32 v0, v6, v0
	v_and_or_b32 v6, v27, s17, v0
	v_lshlrev_b32_e32 v28, 6, v30
	v_readfirstlane_b32 s10, v24
	v_readfirstlane_b32 s11, v25
	s_nop 4
	global_store_dwordx4 v28, v[6:9], s[10:11]
	global_store_dwordx4 v28, v[10:13], s[10:11] offset:16
	global_store_dwordx4 v28, v[14:17], s[10:11] offset:32
	;; [unrolled: 1-line block ×3, first 2 shown]
	s_and_saveexec_b64 s[10:11], s[0:1]
	s_cbranch_execz .LBB1_75
; %bb.68:                               ;   in Loop: Header=BB1_3 Depth=1
	global_load_dwordx2 v[14:15], v29, s[4:5] offset:32 sc0 sc1
	global_load_dwordx2 v[6:7], v29, s[4:5] offset:40
	v_mov_b32_e32 v12, s6
	v_mov_b32_e32 v13, s7
	s_waitcnt vmcnt(0)
	v_readfirstlane_b32 s12, v6
	v_readfirstlane_b32 s13, v7
	s_and_b64 s[12:13], s[12:13], s[6:7]
	s_mul_i32 s13, s13, 24
	s_mul_hi_u32 s14, s12, 24
	s_mul_i32 s12, s12, 24
	s_add_i32 s13, s14, s13
	v_lshl_add_u64 v[10:11], v[22:23], 0, s[12:13]
	global_store_dwordx2 v[10:11], v[14:15], off
	buffer_wbl2 sc0 sc1
	s_waitcnt vmcnt(0)
	global_atomic_cmpswap_x2 v[8:9], v29, v[12:15], s[4:5] offset:32 sc0 sc1
	s_waitcnt vmcnt(0)
	v_cmp_ne_u64_e32 vcc, v[8:9], v[14:15]
	s_and_saveexec_b64 s[12:13], vcc
	s_cbranch_execz .LBB1_71
; %bb.69:                               ;   in Loop: Header=BB1_3 Depth=1
	s_mov_b64 s[14:15], 0
.LBB1_70:                               ;   Parent Loop BB1_3 Depth=1
                                        ; =>  This Inner Loop Header: Depth=2
	s_sleep 1
	global_store_dwordx2 v[10:11], v[8:9], off
	v_mov_b32_e32 v6, s6
	v_mov_b32_e32 v7, s7
	buffer_wbl2 sc0 sc1
	s_waitcnt vmcnt(0)
	global_atomic_cmpswap_x2 v[6:7], v29, v[6:9], s[4:5] offset:32 sc0 sc1
	s_waitcnt vmcnt(0)
	v_cmp_eq_u64_e32 vcc, v[6:7], v[8:9]
	s_or_b64 s[14:15], vcc, s[14:15]
	v_mov_b64_e32 v[8:9], v[6:7]
	s_andn2_b64 exec, exec, s[14:15]
	s_cbranch_execnz .LBB1_70
.LBB1_71:                               ;   in Loop: Header=BB1_3 Depth=1
	s_or_b64 exec, exec, s[12:13]
	global_load_dwordx2 v[6:7], v29, s[4:5] offset:16
	s_mov_b64 s[14:15], exec
	v_mbcnt_lo_u32_b32 v0, s14, 0
	v_mbcnt_hi_u32_b32 v0, s15, v0
	v_cmp_eq_u32_e32 vcc, 0, v0
	s_and_saveexec_b64 s[12:13], vcc
	s_cbranch_execz .LBB1_73
; %bb.72:                               ;   in Loop: Header=BB1_3 Depth=1
	s_bcnt1_i32_b64 s14, s[14:15]
	v_mov_b32_e32 v8, s14
	v_mov_b32_e32 v9, v29
	buffer_wbl2 sc0 sc1
	s_waitcnt vmcnt(0)
	global_atomic_add_x2 v[6:7], v[8:9], off offset:8 sc1
.LBB1_73:                               ;   in Loop: Header=BB1_3 Depth=1
	s_or_b64 exec, exec, s[12:13]
	s_waitcnt vmcnt(0)
	global_load_dwordx2 v[8:9], v[6:7], off offset:16
	s_waitcnt vmcnt(0)
	v_cmp_eq_u64_e32 vcc, 0, v[8:9]
	s_cbranch_vccnz .LBB1_75
; %bb.74:                               ;   in Loop: Header=BB1_3 Depth=1
	global_load_dword v6, v[6:7], off offset:24
	v_mov_b32_e32 v7, v29
	s_waitcnt vmcnt(0)
	v_readfirstlane_b32 s12, v6
	s_and_b32 m0, s12, 0xffffff
	buffer_wbl2 sc0 sc1
	global_store_dwordx2 v[8:9], v[6:7], off sc0 sc1
	s_sendmsg sendmsg(MSG_INTERRUPT)
.LBB1_75:                               ;   in Loop: Header=BB1_3 Depth=1
	s_or_b64 exec, exec, s[10:11]
	v_lshl_add_u64 v[6:7], v[24:25], 0, v[28:29]
	s_branch .LBB1_79
.LBB1_76:                               ;   in Loop: Header=BB1_79 Depth=2
	s_or_b64 exec, exec, s[10:11]
	v_readfirstlane_b32 s10, v0
	s_cmp_eq_u32 s10, 0
	s_cbranch_scc1 .LBB1_78
; %bb.77:                               ;   in Loop: Header=BB1_79 Depth=2
	s_sleep 1
	s_cbranch_execnz .LBB1_79
	s_branch .LBB1_81
.LBB1_78:                               ;   in Loop: Header=BB1_3 Depth=1
	s_branch .LBB1_81
.LBB1_79:                               ;   Parent Loop BB1_3 Depth=1
                                        ; =>  This Inner Loop Header: Depth=2
	v_mov_b32_e32 v0, 1
	s_and_saveexec_b64 s[10:11], s[0:1]
	s_cbranch_execz .LBB1_76
; %bb.80:                               ;   in Loop: Header=BB1_79 Depth=2
	global_load_dword v0, v[36:37], off offset:20 sc0 sc1
	s_waitcnt vmcnt(0)
	buffer_inv sc0 sc1
	v_and_b32_e32 v0, 1, v0
	s_branch .LBB1_76
.LBB1_81:                               ;   in Loop: Header=BB1_3 Depth=1
	global_load_dwordx2 v[6:7], v[6:7], off
	s_and_saveexec_b64 s[10:11], s[0:1]
	s_cbranch_execz .LBB1_2
; %bb.82:                               ;   in Loop: Header=BB1_3 Depth=1
	global_load_dwordx2 v[8:9], v29, s[4:5] offset:40
	global_load_dwordx2 v[16:17], v29, s[4:5] offset:24 sc0 sc1
	global_load_dwordx2 v[10:11], v29, s[4:5]
	s_waitcnt vmcnt(2)
	v_readfirstlane_b32 s12, v8
	v_readfirstlane_b32 s13, v9
	s_add_u32 s14, s12, 1
	s_addc_u32 s15, s13, 0
	s_add_u32 s0, s14, s6
	s_addc_u32 s1, s15, s7
	s_cmp_eq_u64 s[0:1], 0
	s_cselect_b32 s1, s15, s1
	s_cselect_b32 s0, s14, s0
	s_and_b64 s[6:7], s[0:1], s[12:13]
	s_mul_i32 s7, s7, 24
	s_mul_hi_u32 s12, s6, 24
	s_mul_i32 s6, s6, 24
	s_add_i32 s7, s12, s7
	s_waitcnt vmcnt(0)
	v_lshl_add_u64 v[12:13], v[10:11], 0, s[6:7]
	v_mov_b32_e32 v14, s0
	global_store_dwordx2 v[12:13], v[16:17], off
	v_mov_b32_e32 v15, s1
	buffer_wbl2 sc0 sc1
	s_waitcnt vmcnt(0)
	global_atomic_cmpswap_x2 v[10:11], v29, v[14:17], s[4:5] offset:24 sc0 sc1
	s_waitcnt vmcnt(0)
	v_cmp_ne_u64_e32 vcc, v[10:11], v[16:17]
	s_and_b64 exec, exec, vcc
	s_cbranch_execz .LBB1_2
; %bb.83:                               ;   in Loop: Header=BB1_3 Depth=1
	s_mov_b64 s[6:7], 0
.LBB1_84:                               ;   Parent Loop BB1_3 Depth=1
                                        ; =>  This Inner Loop Header: Depth=2
	s_sleep 1
	global_store_dwordx2 v[12:13], v[10:11], off
	v_mov_b32_e32 v8, s0
	v_mov_b32_e32 v9, s1
	buffer_wbl2 sc0 sc1
	s_waitcnt vmcnt(0)
	global_atomic_cmpswap_x2 v[8:9], v29, v[8:11], s[4:5] offset:24 sc0 sc1
	s_waitcnt vmcnt(0)
	v_cmp_eq_u64_e32 vcc, v[8:9], v[10:11]
	s_or_b64 s[6:7], vcc, s[6:7]
	v_mov_b64_e32 v[10:11], v[8:9]
	s_andn2_b64 exec, exec, s[6:7]
	s_cbranch_execnz .LBB1_84
	s_branch .LBB1_2
.LBB1_85:
	s_or_b64 exec, exec, s[2:3]
.LBB1_86:
	s_waitcnt vmcnt(0)
	v_mov_b32_e32 v0, v6
	v_mov_b32_e32 v1, v7
	s_waitcnt lgkmcnt(0)
	s_setpc_b64 s[30:31]
.LBB1_87:
                                        ; implicit-def: $vgpr6_vgpr7
	s_cbranch_execz .LBB1_86
; %bb.88:
	s_load_dwordx2 s[2:3], s[8:9], 0x50
	v_mbcnt_hi_u32_b32 v3, -1, v3
	v_mov_b64_e32 v[8:9], 0
	v_readfirstlane_b32 s0, v3
	s_nop 1
	v_cmp_eq_u32_e64 s[0:1], s0, v3
	s_and_saveexec_b64 s[4:5], s[0:1]
	s_cbranch_execz .LBB1_94
; %bb.89:
	v_mov_b32_e32 v0, 0
	s_waitcnt lgkmcnt(0)
	global_load_dwordx2 v[6:7], v0, s[2:3] offset:24 sc0 sc1
	s_waitcnt vmcnt(0)
	buffer_inv sc0 sc1
	global_load_dwordx2 v[4:5], v0, s[2:3] offset:40
	global_load_dwordx2 v[8:9], v0, s[2:3]
	s_waitcnt vmcnt(1)
	v_and_b32_e32 v4, v4, v6
	v_and_b32_e32 v5, v5, v7
	v_mul_lo_u32 v5, v5, 24
	v_mul_hi_u32 v10, v4, 24
	v_add_u32_e32 v5, v10, v5
	v_mul_lo_u32 v4, v4, 24
	s_waitcnt vmcnt(0)
	v_lshl_add_u64 v[4:5], v[8:9], 0, v[4:5]
	global_load_dwordx2 v[4:5], v[4:5], off sc0 sc1
	s_waitcnt vmcnt(0)
	global_atomic_cmpswap_x2 v[8:9], v0, v[4:7], s[2:3] offset:24 sc0 sc1
	s_waitcnt vmcnt(0)
	buffer_inv sc0 sc1
	v_cmp_ne_u64_e32 vcc, v[8:9], v[6:7]
	s_and_saveexec_b64 s[6:7], vcc
	s_cbranch_execz .LBB1_93
; %bb.90:
	s_mov_b64 s[8:9], 0
.LBB1_91:                               ; =>This Inner Loop Header: Depth=1
	s_sleep 1
	global_load_dwordx2 v[4:5], v0, s[2:3] offset:40
	global_load_dwordx2 v[10:11], v0, s[2:3]
	v_mov_b64_e32 v[6:7], v[8:9]
	s_waitcnt vmcnt(1)
	v_and_b32_e32 v4, v4, v6
	v_and_b32_e32 v9, v5, v7
	s_waitcnt vmcnt(0)
	v_mad_u64_u32 v[4:5], s[10:11], v4, 24, v[10:11]
	v_mov_b32_e32 v8, v5
	v_mad_u64_u32 v[8:9], s[10:11], v9, 24, v[8:9]
	v_mov_b32_e32 v5, v8
	global_load_dwordx2 v[4:5], v[4:5], off sc0 sc1
	s_waitcnt vmcnt(0)
	global_atomic_cmpswap_x2 v[8:9], v0, v[4:7], s[2:3] offset:24 sc0 sc1
	s_waitcnt vmcnt(0)
	buffer_inv sc0 sc1
	v_cmp_eq_u64_e32 vcc, v[8:9], v[6:7]
	s_or_b64 s[8:9], vcc, s[8:9]
	s_andn2_b64 exec, exec, s[8:9]
	s_cbranch_execnz .LBB1_91
; %bb.92:
	s_or_b64 exec, exec, s[8:9]
.LBB1_93:
	s_or_b64 exec, exec, s[6:7]
.LBB1_94:
	s_or_b64 exec, exec, s[4:5]
	v_mov_b32_e32 v11, 0
	s_waitcnt lgkmcnt(0)
	global_load_dwordx2 v[12:13], v11, s[2:3] offset:40
	global_load_dwordx4 v[4:7], v11, s[2:3]
	v_readfirstlane_b32 s5, v9
	v_readfirstlane_b32 s4, v8
	s_mov_b64 s[6:7], exec
	s_waitcnt vmcnt(1)
	v_readfirstlane_b32 s8, v12
	v_readfirstlane_b32 s9, v13
	s_and_b64 s[8:9], s[8:9], s[4:5]
	s_mul_i32 s10, s9, 24
	s_mul_hi_u32 s11, s8, 24
	s_add_i32 s11, s11, s10
	s_mul_i32 s10, s8, 24
	s_waitcnt vmcnt(0)
	v_lshl_add_u64 v[8:9], v[4:5], 0, s[10:11]
	s_and_saveexec_b64 s[10:11], s[0:1]
	s_cbranch_execz .LBB1_96
; %bb.95:
	v_mov_b64_e32 v[12:13], s[6:7]
	v_mov_b32_e32 v14, 2
	v_mov_b32_e32 v15, 1
	global_store_dwordx4 v[8:9], v[12:15], off offset:8
.LBB1_96:
	s_or_b64 exec, exec, s[10:11]
	s_lshl_b64 s[6:7], s[8:9], 12
	v_lshl_add_u64 v[6:7], v[6:7], 0, s[6:7]
	s_movk_i32 s6, 0xff1f
	s_mov_b32 s8, 0
	v_and_or_b32 v0, v2, s6, 32
	v_lshlrev_b32_e32 v10, 6, v3
	v_mov_b32_e32 v2, v11
	v_mov_b32_e32 v3, v11
	v_readfirstlane_b32 s6, v6
	v_readfirstlane_b32 s7, v7
	s_mov_b32 s9, s8
	s_mov_b32 s10, s8
	;; [unrolled: 1-line block ×3, first 2 shown]
	s_nop 1
	global_store_dwordx4 v10, v[0:3], s[6:7]
	s_nop 1
	v_mov_b64_e32 v[0:1], s[8:9]
	v_mov_b64_e32 v[2:3], s[10:11]
	global_store_dwordx4 v10, v[0:3], s[6:7] offset:16
	global_store_dwordx4 v10, v[0:3], s[6:7] offset:32
	global_store_dwordx4 v10, v[0:3], s[6:7] offset:48
	s_and_saveexec_b64 s[6:7], s[0:1]
	s_cbranch_execz .LBB1_104
; %bb.97:
	v_mov_b32_e32 v12, 0
	global_load_dwordx2 v[16:17], v12, s[2:3] offset:32 sc0 sc1
	global_load_dwordx2 v[0:1], v12, s[2:3] offset:40
	v_mov_b32_e32 v14, s4
	v_mov_b32_e32 v15, s5
	s_waitcnt vmcnt(0)
	v_and_b32_e32 v0, s4, v0
	v_and_b32_e32 v1, s5, v1
	v_mul_lo_u32 v1, v1, 24
	v_mul_hi_u32 v2, v0, 24
	v_mul_lo_u32 v0, v0, 24
	v_add_u32_e32 v1, v2, v1
	v_lshl_add_u64 v[4:5], v[4:5], 0, v[0:1]
	global_store_dwordx2 v[4:5], v[16:17], off
	buffer_wbl2 sc0 sc1
	s_waitcnt vmcnt(0)
	global_atomic_cmpswap_x2 v[2:3], v12, v[14:17], s[2:3] offset:32 sc0 sc1
	s_waitcnt vmcnt(0)
	v_cmp_ne_u64_e32 vcc, v[2:3], v[16:17]
	s_and_saveexec_b64 s[8:9], vcc
	s_cbranch_execz .LBB1_100
; %bb.98:
	s_mov_b64 s[10:11], 0
.LBB1_99:                               ; =>This Inner Loop Header: Depth=1
	s_sleep 1
	global_store_dwordx2 v[4:5], v[2:3], off
	v_mov_b32_e32 v0, s4
	v_mov_b32_e32 v1, s5
	buffer_wbl2 sc0 sc1
	s_waitcnt vmcnt(0)
	global_atomic_cmpswap_x2 v[0:1], v12, v[0:3], s[2:3] offset:32 sc0 sc1
	s_waitcnt vmcnt(0)
	v_cmp_eq_u64_e32 vcc, v[0:1], v[2:3]
	s_or_b64 s[10:11], vcc, s[10:11]
	v_mov_b64_e32 v[2:3], v[0:1]
	s_andn2_b64 exec, exec, s[10:11]
	s_cbranch_execnz .LBB1_99
.LBB1_100:
	s_or_b64 exec, exec, s[8:9]
	v_mov_b32_e32 v3, 0
	global_load_dwordx2 v[0:1], v3, s[2:3] offset:16
	s_mov_b64 s[8:9], exec
	v_mbcnt_lo_u32_b32 v2, s8, 0
	v_mbcnt_hi_u32_b32 v2, s9, v2
	v_cmp_eq_u32_e32 vcc, 0, v2
	s_and_saveexec_b64 s[10:11], vcc
	s_cbranch_execz .LBB1_102
; %bb.101:
	s_bcnt1_i32_b64 s8, s[8:9]
	v_mov_b32_e32 v2, s8
	buffer_wbl2 sc0 sc1
	s_waitcnt vmcnt(0)
	global_atomic_add_x2 v[0:1], v[2:3], off offset:8 sc1
.LBB1_102:
	s_or_b64 exec, exec, s[10:11]
	s_waitcnt vmcnt(0)
	global_load_dwordx2 v[2:3], v[0:1], off offset:16
	s_waitcnt vmcnt(0)
	v_cmp_eq_u64_e32 vcc, 0, v[2:3]
	s_cbranch_vccnz .LBB1_104
; %bb.103:
	global_load_dword v0, v[0:1], off offset:24
	v_mov_b32_e32 v1, 0
	s_waitcnt vmcnt(0)
	v_readfirstlane_b32 s8, v0
	s_and_b32 m0, s8, 0xffffff
	buffer_wbl2 sc0 sc1
	global_store_dwordx2 v[2:3], v[0:1], off sc0 sc1
	s_sendmsg sendmsg(MSG_INTERRUPT)
.LBB1_104:
	s_or_b64 exec, exec, s[6:7]
	v_lshl_add_u64 v[0:1], v[6:7], 0, v[10:11]
	s_branch .LBB1_108
.LBB1_105:                              ;   in Loop: Header=BB1_108 Depth=1
	s_or_b64 exec, exec, s[6:7]
	v_readfirstlane_b32 s6, v2
	s_cmp_eq_u32 s6, 0
	s_cbranch_scc1 .LBB1_107
; %bb.106:                              ;   in Loop: Header=BB1_108 Depth=1
	s_sleep 1
	s_cbranch_execnz .LBB1_108
	s_branch .LBB1_110
.LBB1_107:
	s_branch .LBB1_110
.LBB1_108:                              ; =>This Inner Loop Header: Depth=1
	v_mov_b32_e32 v2, 1
	s_and_saveexec_b64 s[6:7], s[0:1]
	s_cbranch_execz .LBB1_105
; %bb.109:                              ;   in Loop: Header=BB1_108 Depth=1
	global_load_dword v2, v[8:9], off offset:20 sc0 sc1
	s_waitcnt vmcnt(0)
	buffer_inv sc0 sc1
	v_and_b32_e32 v2, 1, v2
	s_branch .LBB1_105
.LBB1_110:
	global_load_dwordx2 v[6:7], v[0:1], off
	s_and_saveexec_b64 s[6:7], s[0:1]
	s_cbranch_execz .LBB1_113
; %bb.111:
	v_mov_b32_e32 v8, 0
	global_load_dwordx2 v[0:1], v8, s[2:3] offset:40
	global_load_dwordx2 v[12:13], v8, s[2:3] offset:24 sc0 sc1
	global_load_dwordx2 v[2:3], v8, s[2:3]
	s_waitcnt vmcnt(2)
	v_readfirstlane_b32 s8, v0
	v_readfirstlane_b32 s9, v1
	s_add_u32 s10, s8, 1
	s_addc_u32 s11, s9, 0
	s_add_u32 s0, s10, s4
	s_addc_u32 s1, s11, s5
	s_cmp_eq_u64 s[0:1], 0
	s_cselect_b32 s1, s11, s1
	s_cselect_b32 s0, s10, s0
	s_and_b64 s[4:5], s[0:1], s[8:9]
	s_mul_i32 s5, s5, 24
	s_mul_hi_u32 s8, s4, 24
	s_mul_i32 s4, s4, 24
	s_add_i32 s5, s8, s5
	s_waitcnt vmcnt(0)
	v_lshl_add_u64 v[4:5], v[2:3], 0, s[4:5]
	v_mov_b32_e32 v10, s0
	global_store_dwordx2 v[4:5], v[12:13], off
	v_mov_b32_e32 v11, s1
	buffer_wbl2 sc0 sc1
	s_waitcnt vmcnt(0)
	global_atomic_cmpswap_x2 v[2:3], v8, v[10:13], s[2:3] offset:24 sc0 sc1
	s_mov_b64 s[4:5], 0
	s_waitcnt vmcnt(0)
	v_cmp_ne_u64_e32 vcc, v[2:3], v[12:13]
	s_and_b64 exec, exec, vcc
	s_cbranch_execz .LBB1_113
.LBB1_112:                              ; =>This Inner Loop Header: Depth=1
	s_sleep 1
	global_store_dwordx2 v[4:5], v[2:3], off
	v_mov_b32_e32 v0, s0
	v_mov_b32_e32 v1, s1
	buffer_wbl2 sc0 sc1
	s_waitcnt vmcnt(0)
	global_atomic_cmpswap_x2 v[0:1], v8, v[0:3], s[2:3] offset:24 sc0 sc1
	s_waitcnt vmcnt(0)
	v_cmp_eq_u64_e32 vcc, v[0:1], v[2:3]
	s_or_b64 s[4:5], vcc, s[4:5]
	v_mov_b64_e32 v[2:3], v[0:1]
	s_andn2_b64 exec, exec, s[4:5]
	s_cbranch_execnz .LBB1_112
.LBB1_113:
	s_or_b64 exec, exec, s[6:7]
	s_waitcnt vmcnt(0)
	v_mov_b32_e32 v0, v6
	v_mov_b32_e32 v1, v7
	s_waitcnt lgkmcnt(0)
	s_setpc_b64 s[30:31]
.Lfunc_end1:
	.size	__ockl_printf_append_string_n, .Lfunc_end1-__ockl_printf_append_string_n
                                        ; -- End function
	.set .L__ockl_printf_append_string_n.num_vgpr, 52
	.set .L__ockl_printf_append_string_n.num_agpr, 0
	.set .L__ockl_printf_append_string_n.numbered_sgpr, 32
	.set .L__ockl_printf_append_string_n.num_named_barrier, 0
	.set .L__ockl_printf_append_string_n.private_seg_size, 0
	.set .L__ockl_printf_append_string_n.uses_vcc, 1
	.set .L__ockl_printf_append_string_n.uses_flat_scratch, 0
	.set .L__ockl_printf_append_string_n.has_dyn_sized_stack, 0
	.set .L__ockl_printf_append_string_n.has_recursion, 0
	.set .L__ockl_printf_append_string_n.has_indirect_call, 0
	.section	.AMDGPU.csdata,"",@progbits
; Function info:
; codeLenInByte = 3812
; TotalNumSgprs: 38
; NumVgprs: 52
; NumAgprs: 0
; TotalNumVgprs: 52
; ScratchSize: 0
; MemoryBound: 0
	.text
	.p2align	2                               ; -- Begin function __ockl_printf_append_args
	.type	__ockl_printf_append_args,@function
__ockl_printf_append_args:              ; @__ockl_printf_append_args
; %bb.0:
	s_waitcnt vmcnt(0) expcnt(0) lgkmcnt(0)
	s_load_dwordx2 s[2:3], s[8:9], 0x50
	v_mbcnt_lo_u32_b32 v5, -1, 0
	v_mbcnt_hi_u32_b32 v5, -1, v5
	v_mov_b64_e32 v[10:11], 0
	v_readfirstlane_b32 s0, v5
	s_nop 1
	v_cmp_eq_u32_e64 s[0:1], s0, v5
	s_and_saveexec_b64 s[4:5], s[0:1]
	s_cbranch_execz .LBB2_6
; %bb.1:
	v_mov_b32_e32 v6, 0
	s_waitcnt lgkmcnt(0)
	global_load_dwordx2 v[12:13], v6, s[2:3] offset:24 sc0 sc1
	s_waitcnt vmcnt(0)
	buffer_inv sc0 sc1
	global_load_dwordx2 v[8:9], v6, s[2:3] offset:40
	global_load_dwordx2 v[10:11], v6, s[2:3]
	s_waitcnt vmcnt(1)
	v_and_b32_e32 v7, v8, v12
	v_and_b32_e32 v8, v9, v13
	v_mul_lo_u32 v8, v8, 24
	v_mul_hi_u32 v9, v7, 24
	v_add_u32_e32 v9, v9, v8
	v_mul_lo_u32 v8, v7, 24
	s_waitcnt vmcnt(0)
	v_lshl_add_u64 v[8:9], v[10:11], 0, v[8:9]
	global_load_dwordx2 v[10:11], v[8:9], off sc0 sc1
	s_waitcnt vmcnt(0)
	global_atomic_cmpswap_x2 v[10:11], v6, v[10:13], s[2:3] offset:24 sc0 sc1
	s_waitcnt vmcnt(0)
	buffer_inv sc0 sc1
	v_cmp_ne_u64_e32 vcc, v[10:11], v[12:13]
	s_and_saveexec_b64 s[6:7], vcc
	s_cbranch_execz .LBB2_5
; %bb.2:
	s_mov_b64 s[8:9], 0
.LBB2_3:                                ; =>This Inner Loop Header: Depth=1
	s_sleep 1
	global_load_dwordx2 v[8:9], v6, s[2:3] offset:40
	global_load_dwordx2 v[14:15], v6, s[2:3]
	v_mov_b64_e32 v[12:13], v[10:11]
	s_waitcnt vmcnt(1)
	v_and_b32_e32 v8, v8, v12
	v_and_b32_e32 v7, v9, v13
	s_waitcnt vmcnt(0)
	v_mad_u64_u32 v[8:9], s[10:11], v8, 24, v[14:15]
	v_mov_b32_e32 v10, v9
	v_mad_u64_u32 v[10:11], s[10:11], v7, 24, v[10:11]
	v_mov_b32_e32 v9, v10
	global_load_dwordx2 v[10:11], v[8:9], off sc0 sc1
	s_waitcnt vmcnt(0)
	global_atomic_cmpswap_x2 v[10:11], v6, v[10:13], s[2:3] offset:24 sc0 sc1
	s_waitcnt vmcnt(0)
	buffer_inv sc0 sc1
	v_cmp_eq_u64_e32 vcc, v[10:11], v[12:13]
	s_or_b64 s[8:9], vcc, s[8:9]
	s_andn2_b64 exec, exec, s[8:9]
	s_cbranch_execnz .LBB2_3
; %bb.4:
	s_or_b64 exec, exec, s[8:9]
.LBB2_5:
	s_or_b64 exec, exec, s[6:7]
.LBB2_6:
	s_or_b64 exec, exec, s[4:5]
	v_mov_b32_e32 v14, 0
	s_waitcnt lgkmcnt(0)
	global_load_dwordx2 v[12:13], v14, s[2:3] offset:40
	global_load_dwordx4 v[6:9], v14, s[2:3]
	v_readfirstlane_b32 s5, v11
	v_readfirstlane_b32 s4, v10
	s_mov_b64 s[6:7], exec
	s_waitcnt vmcnt(1)
	v_readfirstlane_b32 s8, v12
	v_readfirstlane_b32 s9, v13
	s_and_b64 s[8:9], s[8:9], s[4:5]
	s_mul_i32 s10, s9, 24
	s_mul_hi_u32 s11, s8, 24
	s_add_i32 s11, s11, s10
	s_mul_i32 s10, s8, 24
	s_waitcnt vmcnt(0)
	v_lshl_add_u64 v[10:11], v[6:7], 0, s[10:11]
	s_and_saveexec_b64 s[10:11], s[0:1]
	s_cbranch_execz .LBB2_8
; %bb.7:
	v_mov_b64_e32 v[12:13], s[6:7]
	v_mov_b32_e32 v14, 2
	v_mov_b32_e32 v15, 1
	global_store_dwordx4 v[10:11], v[12:15], off offset:8
.LBB2_8:
	s_or_b64 exec, exec, s[10:11]
	s_lshl_b64 s[6:7], s[8:9], 12
	v_or_b32_e32 v12, 2, v0
	v_cmp_eq_u32_e32 vcc, 0, v4
	v_lshl_add_u64 v[8:9], v[8:9], 0, s[6:7]
	s_mov_b32 s8, 0
	v_cndmask_b32_e32 v0, v12, v0, vcc
	s_movk_i32 s6, 0xff1f
	v_and_or_b32 v0, v0, s6, 32
	v_lshlrev_b32_e32 v4, 6, v5
	v_readfirstlane_b32 s6, v8
	v_readfirstlane_b32 s7, v9
	s_mov_b32 s9, s8
	s_mov_b32 s10, s8
	;; [unrolled: 1-line block ×3, first 2 shown]
	s_nop 1
	global_store_dwordx4 v4, v[0:3], s[6:7]
	s_nop 1
	v_mov_b64_e32 v[0:1], s[8:9]
	v_mov_b64_e32 v[2:3], s[10:11]
	global_store_dwordx4 v4, v[0:3], s[6:7] offset:16
	global_store_dwordx4 v4, v[0:3], s[6:7] offset:32
	global_store_dwordx4 v4, v[0:3], s[6:7] offset:48
	s_and_saveexec_b64 s[6:7], s[0:1]
	s_cbranch_execz .LBB2_16
; %bb.9:
	v_mov_b32_e32 v8, 0
	global_load_dwordx2 v[14:15], v8, s[2:3] offset:32 sc0 sc1
	global_load_dwordx2 v[0:1], v8, s[2:3] offset:40
	v_mov_b32_e32 v12, s4
	v_mov_b32_e32 v13, s5
	s_waitcnt vmcnt(0)
	v_and_b32_e32 v0, s4, v0
	v_and_b32_e32 v1, s5, v1
	v_mul_lo_u32 v1, v1, 24
	v_mul_hi_u32 v2, v0, 24
	v_mul_lo_u32 v0, v0, 24
	v_add_u32_e32 v1, v2, v1
	v_lshl_add_u64 v[4:5], v[6:7], 0, v[0:1]
	global_store_dwordx2 v[4:5], v[14:15], off
	buffer_wbl2 sc0 sc1
	s_waitcnt vmcnt(0)
	global_atomic_cmpswap_x2 v[2:3], v8, v[12:15], s[2:3] offset:32 sc0 sc1
	s_waitcnt vmcnt(0)
	v_cmp_ne_u64_e32 vcc, v[2:3], v[14:15]
	s_and_saveexec_b64 s[8:9], vcc
	s_cbranch_execz .LBB2_12
; %bb.10:
	s_mov_b64 s[10:11], 0
.LBB2_11:                               ; =>This Inner Loop Header: Depth=1
	s_sleep 1
	global_store_dwordx2 v[4:5], v[2:3], off
	v_mov_b32_e32 v0, s4
	v_mov_b32_e32 v1, s5
	buffer_wbl2 sc0 sc1
	s_waitcnt vmcnt(0)
	global_atomic_cmpswap_x2 v[0:1], v8, v[0:3], s[2:3] offset:32 sc0 sc1
	s_waitcnt vmcnt(0)
	v_cmp_eq_u64_e32 vcc, v[0:1], v[2:3]
	s_or_b64 s[10:11], vcc, s[10:11]
	v_mov_b64_e32 v[2:3], v[0:1]
	s_andn2_b64 exec, exec, s[10:11]
	s_cbranch_execnz .LBB2_11
.LBB2_12:
	s_or_b64 exec, exec, s[8:9]
	v_mov_b32_e32 v3, 0
	global_load_dwordx2 v[0:1], v3, s[2:3] offset:16
	s_mov_b64 s[8:9], exec
	v_mbcnt_lo_u32_b32 v2, s8, 0
	v_mbcnt_hi_u32_b32 v2, s9, v2
	v_cmp_eq_u32_e32 vcc, 0, v2
	s_and_saveexec_b64 s[10:11], vcc
	s_cbranch_execz .LBB2_14
; %bb.13:
	s_bcnt1_i32_b64 s8, s[8:9]
	v_mov_b32_e32 v2, s8
	buffer_wbl2 sc0 sc1
	s_waitcnt vmcnt(0)
	global_atomic_add_x2 v[0:1], v[2:3], off offset:8 sc1
.LBB2_14:
	s_or_b64 exec, exec, s[10:11]
	s_waitcnt vmcnt(0)
	global_load_dwordx2 v[2:3], v[0:1], off offset:16
	s_waitcnt vmcnt(0)
	v_cmp_eq_u64_e32 vcc, 0, v[2:3]
	s_cbranch_vccnz .LBB2_16
; %bb.15:
	global_load_dword v0, v[0:1], off offset:24
	v_mov_b32_e32 v1, 0
	s_waitcnt vmcnt(0)
	v_readfirstlane_b32 s8, v0
	s_and_b32 m0, s8, 0xffffff
	buffer_wbl2 sc0 sc1
	global_store_dwordx2 v[2:3], v[0:1], off sc0 sc1
	s_sendmsg sendmsg(MSG_INTERRUPT)
.LBB2_16:
	s_or_b64 exec, exec, s[6:7]
	s_branch .LBB2_20
.LBB2_17:                               ;   in Loop: Header=BB2_20 Depth=1
	s_or_b64 exec, exec, s[6:7]
	v_readfirstlane_b32 s6, v0
	s_cmp_eq_u32 s6, 0
	s_cbranch_scc1 .LBB2_19
; %bb.18:                               ;   in Loop: Header=BB2_20 Depth=1
	s_sleep 1
	s_cbranch_execnz .LBB2_20
	s_branch .LBB2_22
.LBB2_19:
	s_branch .LBB2_22
.LBB2_20:                               ; =>This Inner Loop Header: Depth=1
	v_mov_b32_e32 v0, 1
	s_and_saveexec_b64 s[6:7], s[0:1]
	s_cbranch_execz .LBB2_17
; %bb.21:                               ;   in Loop: Header=BB2_20 Depth=1
	global_load_dword v0, v[10:11], off offset:20 sc0 sc1
	s_waitcnt vmcnt(0)
	buffer_inv sc0 sc1
	v_and_b32_e32 v0, 1, v0
	s_branch .LBB2_17
.LBB2_22:
	s_and_saveexec_b64 s[6:7], s[0:1]
	s_cbranch_execz .LBB2_25
; %bb.23:
	v_mov_b32_e32 v6, 0
	global_load_dwordx2 v[0:1], v6, s[2:3] offset:40
	global_load_dwordx2 v[10:11], v6, s[2:3] offset:24 sc0 sc1
	global_load_dwordx2 v[2:3], v6, s[2:3]
	s_waitcnt vmcnt(2)
	v_readfirstlane_b32 s8, v0
	v_readfirstlane_b32 s9, v1
	s_add_u32 s10, s8, 1
	s_addc_u32 s11, s9, 0
	s_add_u32 s0, s10, s4
	s_addc_u32 s1, s11, s5
	s_cmp_eq_u64 s[0:1], 0
	s_cselect_b32 s1, s11, s1
	s_cselect_b32 s0, s10, s0
	s_and_b64 s[4:5], s[0:1], s[8:9]
	s_mul_i32 s5, s5, 24
	s_mul_hi_u32 s8, s4, 24
	s_mul_i32 s4, s4, 24
	s_add_i32 s5, s8, s5
	s_waitcnt vmcnt(0)
	v_lshl_add_u64 v[4:5], v[2:3], 0, s[4:5]
	v_mov_b32_e32 v8, s0
	global_store_dwordx2 v[4:5], v[10:11], off
	v_mov_b32_e32 v9, s1
	buffer_wbl2 sc0 sc1
	s_waitcnt vmcnt(0)
	global_atomic_cmpswap_x2 v[2:3], v6, v[8:11], s[2:3] offset:24 sc0 sc1
	s_mov_b64 s[4:5], 0
	s_waitcnt vmcnt(0)
	v_cmp_ne_u64_e32 vcc, v[2:3], v[10:11]
	s_and_b64 exec, exec, vcc
	s_cbranch_execz .LBB2_25
.LBB2_24:                               ; =>This Inner Loop Header: Depth=1
	s_sleep 1
	global_store_dwordx2 v[4:5], v[2:3], off
	v_mov_b32_e32 v0, s0
	v_mov_b32_e32 v1, s1
	buffer_wbl2 sc0 sc1
	s_waitcnt vmcnt(0)
	global_atomic_cmpswap_x2 v[0:1], v6, v[0:3], s[2:3] offset:24 sc0 sc1
	s_waitcnt vmcnt(0)
	v_cmp_eq_u64_e32 vcc, v[0:1], v[2:3]
	s_or_b64 s[4:5], vcc, s[4:5]
	v_mov_b64_e32 v[2:3], v[0:1]
	s_andn2_b64 exec, exec, s[4:5]
	s_cbranch_execnz .LBB2_24
.LBB2_25:
	s_or_b64 exec, exec, s[6:7]
	s_waitcnt vmcnt(0) lgkmcnt(0)
	s_setpc_b64 s[30:31]
.Lfunc_end2:
	.size	__ockl_printf_append_args, .Lfunc_end2-__ockl_printf_append_args
                                        ; -- End function
	.set .L__ockl_printf_append_args.num_vgpr, 16
	.set .L__ockl_printf_append_args.num_agpr, 0
	.set .L__ockl_printf_append_args.numbered_sgpr, 32
	.set .L__ockl_printf_append_args.num_named_barrier, 0
	.set .L__ockl_printf_append_args.private_seg_size, 0
	.set .L__ockl_printf_append_args.uses_vcc, 1
	.set .L__ockl_printf_append_args.uses_flat_scratch, 0
	.set .L__ockl_printf_append_args.has_dyn_sized_stack, 0
	.set .L__ockl_printf_append_args.has_recursion, 0
	.set .L__ockl_printf_append_args.has_indirect_call, 0
	.section	.AMDGPU.csdata,"",@progbits
; Function info:
; codeLenInByte = 1216
; TotalNumSgprs: 38
; NumVgprs: 16
; NumAgprs: 0
; TotalNumVgprs: 16
; ScratchSize: 0
; MemoryBound: 0
	.text
	.p2align	2                               ; -- Begin function _ZL14no_device_codePKciS0_iS0_
	.type	_ZL14no_device_codePKciS0_iS0_,@function
_ZL14no_device_codePKciS0_iS0_:         ; @_ZL14no_device_codePKciS0_iS0_
; %bb.0:
	s_waitcnt vmcnt(0) expcnt(0) lgkmcnt(0)
	s_mov_b32 s20, s33
	s_mov_b32 s33, s32
	s_or_saveexec_b64 s[0:1], -1
	scratch_store_dword off, v40, s33       ; 4-byte Folded Spill
	s_mov_b64 exec, s[0:1]
	v_writelane_b32 v40, s30, 0
	s_add_i32 s32, s32, 16
	s_nop 0
	v_writelane_b32 v40, s31, 1
	s_load_dwordx2 s[2:3], s[8:9], 0x50
	v_mbcnt_lo_u32_b32 v1, -1, 0
	v_mbcnt_hi_u32_b32 v1, -1, v1
	v_mov_b64_e32 v[6:7], 0
	v_readfirstlane_b32 s0, v1
	s_nop 1
	v_cmp_eq_u32_e64 s[0:1], s0, v1
	s_and_saveexec_b64 s[4:5], s[0:1]
	s_cbranch_execz .LBB3_6
; %bb.1:
	v_mov_b32_e32 v2, 0
	s_waitcnt lgkmcnt(0)
	global_load_dwordx2 v[8:9], v2, s[2:3] offset:24 sc0 sc1
	s_waitcnt vmcnt(0)
	buffer_inv sc0 sc1
	global_load_dwordx2 v[4:5], v2, s[2:3] offset:40
	global_load_dwordx2 v[6:7], v2, s[2:3]
	s_waitcnt vmcnt(1)
	v_and_b32_e32 v3, v4, v8
	v_and_b32_e32 v4, v5, v9
	v_mul_lo_u32 v4, v4, 24
	v_mul_hi_u32 v5, v3, 24
	v_add_u32_e32 v5, v5, v4
	v_mul_lo_u32 v4, v3, 24
	s_waitcnt vmcnt(0)
	v_lshl_add_u64 v[4:5], v[6:7], 0, v[4:5]
	global_load_dwordx2 v[6:7], v[4:5], off sc0 sc1
	s_waitcnt vmcnt(0)
	global_atomic_cmpswap_x2 v[6:7], v2, v[6:9], s[2:3] offset:24 sc0 sc1
	s_waitcnt vmcnt(0)
	buffer_inv sc0 sc1
	v_cmp_ne_u64_e32 vcc, v[6:7], v[8:9]
	s_and_saveexec_b64 s[6:7], vcc
	s_cbranch_execz .LBB3_5
; %bb.2:
	s_mov_b64 s[10:11], 0
.LBB3_3:                                ; =>This Inner Loop Header: Depth=1
	s_sleep 1
	global_load_dwordx2 v[4:5], v2, s[2:3] offset:40
	global_load_dwordx2 v[10:11], v2, s[2:3]
	v_mov_b64_e32 v[8:9], v[6:7]
	s_waitcnt vmcnt(1)
	v_and_b32_e32 v4, v4, v8
	v_and_b32_e32 v3, v5, v9
	s_waitcnt vmcnt(0)
	v_mad_u64_u32 v[4:5], s[12:13], v4, 24, v[10:11]
	v_mov_b32_e32 v6, v5
	v_mad_u64_u32 v[6:7], s[12:13], v3, 24, v[6:7]
	v_mov_b32_e32 v5, v6
	global_load_dwordx2 v[6:7], v[4:5], off sc0 sc1
	s_waitcnt vmcnt(0)
	global_atomic_cmpswap_x2 v[6:7], v2, v[6:9], s[2:3] offset:24 sc0 sc1
	s_waitcnt vmcnt(0)
	buffer_inv sc0 sc1
	v_cmp_eq_u64_e32 vcc, v[6:7], v[8:9]
	s_or_b64 s[10:11], vcc, s[10:11]
	s_andn2_b64 exec, exec, s[10:11]
	s_cbranch_execnz .LBB3_3
; %bb.4:
	s_or_b64 exec, exec, s[10:11]
.LBB3_5:
	s_or_b64 exec, exec, s[6:7]
.LBB3_6:
	s_or_b64 exec, exec, s[4:5]
	v_mov_b32_e32 v25, 0
	s_waitcnt lgkmcnt(0)
	global_load_dwordx2 v[8:9], v25, s[2:3] offset:40
	global_load_dwordx4 v[2:5], v25, s[2:3]
	v_readfirstlane_b32 s5, v7
	v_readfirstlane_b32 s4, v6
	s_mov_b64 s[6:7], exec
	s_waitcnt vmcnt(1)
	v_readfirstlane_b32 s10, v8
	v_readfirstlane_b32 s11, v9
	s_and_b64 s[10:11], s[10:11], s[4:5]
	s_mul_i32 s12, s11, 24
	s_mul_hi_u32 s13, s10, 24
	s_add_i32 s13, s13, s12
	s_mul_i32 s12, s10, 24
	s_waitcnt vmcnt(0)
	v_lshl_add_u64 v[6:7], v[2:3], 0, s[12:13]
	s_and_saveexec_b64 s[12:13], s[0:1]
	s_cbranch_execz .LBB3_8
; %bb.7:
	v_mov_b64_e32 v[8:9], s[6:7]
	v_mov_b32_e32 v10, 2
	v_mov_b32_e32 v11, 1
	global_store_dwordx4 v[6:7], v[8:11], off offset:8
.LBB3_8:
	s_or_b64 exec, exec, s[12:13]
	s_lshl_b64 s[6:7], s[10:11], 12
	v_lshl_add_u64 v[8:9], v[4:5], 0, s[6:7]
	s_mov_b32 s12, 0
	v_lshlrev_b32_e32 v24, 6, v1
	v_mov_b32_e32 v10, 33
	v_mov_b32_e32 v11, v25
	;; [unrolled: 1-line block ×4, first 2 shown]
	v_readfirstlane_b32 s6, v8
	v_readfirstlane_b32 s7, v9
	s_mov_b32 s13, s12
	s_mov_b32 s14, s12
	;; [unrolled: 1-line block ×3, first 2 shown]
	s_nop 1
	global_store_dwordx4 v24, v[10:13], s[6:7]
	s_nop 1
	v_mov_b64_e32 v[10:11], s[12:13]
	v_mov_b64_e32 v[12:13], s[14:15]
	global_store_dwordx4 v24, v[10:13], s[6:7] offset:16
	global_store_dwordx4 v24, v[10:13], s[6:7] offset:32
	;; [unrolled: 1-line block ×3, first 2 shown]
	s_and_saveexec_b64 s[6:7], s[0:1]
	s_cbranch_execz .LBB3_16
; %bb.9:
	v_mov_b32_e32 v12, 0
	global_load_dwordx2 v[16:17], v12, s[2:3] offset:32 sc0 sc1
	global_load_dwordx2 v[4:5], v12, s[2:3] offset:40
	v_mov_b32_e32 v14, s4
	v_mov_b32_e32 v15, s5
	s_waitcnt vmcnt(0)
	v_and_b32_e32 v4, s4, v4
	v_and_b32_e32 v5, s5, v5
	v_mul_lo_u32 v5, v5, 24
	v_mul_hi_u32 v10, v4, 24
	v_mul_lo_u32 v4, v4, 24
	v_add_u32_e32 v5, v10, v5
	v_lshl_add_u64 v[10:11], v[2:3], 0, v[4:5]
	global_store_dwordx2 v[10:11], v[16:17], off
	buffer_wbl2 sc0 sc1
	s_waitcnt vmcnt(0)
	global_atomic_cmpswap_x2 v[4:5], v12, v[14:17], s[2:3] offset:32 sc0 sc1
	s_waitcnt vmcnt(0)
	v_cmp_ne_u64_e32 vcc, v[4:5], v[16:17]
	s_and_saveexec_b64 s[10:11], vcc
	s_cbranch_execz .LBB3_12
; %bb.10:
	s_mov_b64 s[12:13], 0
.LBB3_11:                               ; =>This Inner Loop Header: Depth=1
	s_sleep 1
	global_store_dwordx2 v[10:11], v[4:5], off
	v_mov_b32_e32 v2, s4
	v_mov_b32_e32 v3, s5
	buffer_wbl2 sc0 sc1
	s_waitcnt vmcnt(0)
	global_atomic_cmpswap_x2 v[2:3], v12, v[2:5], s[2:3] offset:32 sc0 sc1
	s_waitcnt vmcnt(0)
	v_cmp_eq_u64_e32 vcc, v[2:3], v[4:5]
	s_or_b64 s[12:13], vcc, s[12:13]
	v_mov_b64_e32 v[4:5], v[2:3]
	s_andn2_b64 exec, exec, s[12:13]
	s_cbranch_execnz .LBB3_11
.LBB3_12:
	s_or_b64 exec, exec, s[10:11]
	v_mov_b32_e32 v5, 0
	global_load_dwordx2 v[2:3], v5, s[2:3] offset:16
	s_mov_b64 s[10:11], exec
	v_mbcnt_lo_u32_b32 v4, s10, 0
	v_mbcnt_hi_u32_b32 v4, s11, v4
	v_cmp_eq_u32_e32 vcc, 0, v4
	s_and_saveexec_b64 s[12:13], vcc
	s_cbranch_execz .LBB3_14
; %bb.13:
	s_bcnt1_i32_b64 s10, s[10:11]
	v_mov_b32_e32 v4, s10
	buffer_wbl2 sc0 sc1
	s_waitcnt vmcnt(0)
	global_atomic_add_x2 v[2:3], v[4:5], off offset:8 sc1
.LBB3_14:
	s_or_b64 exec, exec, s[12:13]
	s_waitcnt vmcnt(0)
	global_load_dwordx2 v[4:5], v[2:3], off offset:16
	s_waitcnt vmcnt(0)
	v_cmp_eq_u64_e32 vcc, 0, v[4:5]
	s_cbranch_vccnz .LBB3_16
; %bb.15:
	global_load_dword v2, v[2:3], off offset:24
	v_mov_b32_e32 v3, 0
	s_waitcnt vmcnt(0)
	v_readfirstlane_b32 s10, v2
	s_and_b32 m0, s10, 0xffffff
	buffer_wbl2 sc0 sc1
	global_store_dwordx2 v[4:5], v[2:3], off sc0 sc1
	s_sendmsg sendmsg(MSG_INTERRUPT)
.LBB3_16:
	s_or_b64 exec, exec, s[6:7]
	v_lshl_add_u64 v[2:3], v[8:9], 0, v[24:25]
	s_branch .LBB3_20
.LBB3_17:                               ;   in Loop: Header=BB3_20 Depth=1
	s_or_b64 exec, exec, s[6:7]
	v_readfirstlane_b32 s6, v4
	s_cmp_eq_u32 s6, 0
	s_cbranch_scc1 .LBB3_19
; %bb.18:                               ;   in Loop: Header=BB3_20 Depth=1
	s_sleep 1
	s_cbranch_execnz .LBB3_20
	s_branch .LBB3_22
.LBB3_19:
	s_branch .LBB3_22
.LBB3_20:                               ; =>This Inner Loop Header: Depth=1
	v_mov_b32_e32 v4, 1
	s_and_saveexec_b64 s[6:7], s[0:1]
	s_cbranch_execz .LBB3_17
; %bb.21:                               ;   in Loop: Header=BB3_20 Depth=1
	global_load_dword v4, v[6:7], off offset:20 sc0 sc1
	s_waitcnt vmcnt(0)
	buffer_inv sc0 sc1
	v_and_b32_e32 v4, 1, v4
	s_branch .LBB3_17
.LBB3_22:
	global_load_dwordx2 v[6:7], v[2:3], off
	s_and_saveexec_b64 s[6:7], s[0:1]
	s_cbranch_execz .LBB3_25
; %bb.23:
	v_mov_b32_e32 v10, 0
	global_load_dwordx2 v[2:3], v10, s[2:3] offset:40
	global_load_dwordx2 v[14:15], v10, s[2:3] offset:24 sc0 sc1
	global_load_dwordx2 v[4:5], v10, s[2:3]
	s_waitcnt vmcnt(2)
	v_readfirstlane_b32 s10, v2
	v_readfirstlane_b32 s11, v3
	s_add_u32 s12, s10, 1
	s_addc_u32 s13, s11, 0
	s_add_u32 s0, s12, s4
	s_addc_u32 s1, s13, s5
	s_cmp_eq_u64 s[0:1], 0
	s_cselect_b32 s1, s13, s1
	s_cselect_b32 s0, s12, s0
	s_and_b64 s[4:5], s[0:1], s[10:11]
	s_mul_i32 s5, s5, 24
	s_mul_hi_u32 s10, s4, 24
	s_mul_i32 s4, s4, 24
	s_add_i32 s5, s10, s5
	s_waitcnt vmcnt(0)
	v_lshl_add_u64 v[8:9], v[4:5], 0, s[4:5]
	v_mov_b32_e32 v12, s0
	global_store_dwordx2 v[8:9], v[14:15], off
	v_mov_b32_e32 v13, s1
	buffer_wbl2 sc0 sc1
	s_waitcnt vmcnt(0)
	global_atomic_cmpswap_x2 v[4:5], v10, v[12:15], s[2:3] offset:24 sc0 sc1
	s_mov_b64 s[4:5], 0
	s_waitcnt vmcnt(0)
	v_cmp_ne_u64_e32 vcc, v[4:5], v[14:15]
	s_and_b64 exec, exec, vcc
	s_cbranch_execz .LBB3_25
.LBB3_24:                               ; =>This Inner Loop Header: Depth=1
	s_sleep 1
	global_store_dwordx2 v[8:9], v[4:5], off
	v_mov_b32_e32 v2, s0
	v_mov_b32_e32 v3, s1
	buffer_wbl2 sc0 sc1
	s_waitcnt vmcnt(0)
	global_atomic_cmpswap_x2 v[2:3], v10, v[2:5], s[2:3] offset:24 sc0 sc1
	s_waitcnt vmcnt(0)
	v_cmp_eq_u64_e32 vcc, v[2:3], v[4:5]
	s_or_b64 s[4:5], vcc, s[4:5]
	v_mov_b64_e32 v[4:5], v[2:3]
	s_andn2_b64 exec, exec, s[4:5]
	s_cbranch_execnz .LBB3_24
.LBB3_25:
	s_or_b64 exec, exec, s[6:7]
	s_getpc_b64 s[4:5]
	s_add_u32 s4, s4, .str.5@rel32@lo+4
	s_addc_u32 s5, s5, .str.5@rel32@hi+12
	s_cmp_lg_u64 s[4:5], 0
	s_cbranch_scc0 .LBB3_110
; %bb.26:
	s_waitcnt vmcnt(0)
	v_and_b32_e32 v26, 2, v6
	v_mov_b32_e32 v29, 0
	v_and_b32_e32 v2, -3, v6
	v_mov_b32_e32 v3, v7
	s_mov_b64 s[6:7], 0x4d
	v_mov_b32_e32 v34, 2
	v_mov_b32_e32 v35, 1
	s_branch .LBB3_28
.LBB3_27:                               ;   in Loop: Header=BB3_28 Depth=1
	s_or_b64 exec, exec, s[14:15]
	s_sub_u32 s6, s6, s10
	s_subb_u32 s7, s7, s11
	s_add_u32 s4, s4, s10
	s_addc_u32 s5, s5, s11
	s_cmp_lg_u64 s[6:7], 0
	s_cbranch_scc0 .LBB3_111
.LBB3_28:                               ; =>This Loop Header: Depth=1
                                        ;     Child Loop BB3_31 Depth 2
                                        ;     Child Loop BB3_39 Depth 2
	;; [unrolled: 1-line block ×11, first 2 shown]
	v_cmp_lt_u64_e64 s[0:1], s[6:7], 56
	s_and_b64 s[0:1], s[0:1], exec
	s_cselect_b32 s11, s7, 0
	s_cselect_b32 s10, s6, 56
	v_cmp_gt_u64_e64 s[12:13], s[6:7], 7
	s_add_u32 s0, s4, 8
	s_addc_u32 s1, s5, 0
	s_and_b64 vcc, exec, s[12:13]
	s_cbranch_vccnz .LBB3_32
; %bb.29:                               ;   in Loop: Header=BB3_28 Depth=1
	s_cmp_eq_u64 s[6:7], 0
	s_cbranch_scc1 .LBB3_33
; %bb.30:                               ;   in Loop: Header=BB3_28 Depth=1
	s_lshl_b64 s[0:1], s[10:11], 3
	s_mov_b64 s[12:13], 0
	v_mov_b64_e32 v[4:5], 0
	s_mov_b64 s[14:15], s[4:5]
.LBB3_31:                               ;   Parent Loop BB3_28 Depth=1
                                        ; =>  This Inner Loop Header: Depth=2
	global_load_ubyte v8, v29, s[14:15]
	s_waitcnt vmcnt(0)
	v_and_b32_e32 v28, 0xffff, v8
	v_lshlrev_b64 v[8:9], s12, v[28:29]
	s_add_u32 s12, s12, 8
	s_addc_u32 s13, s13, 0
	s_add_u32 s14, s14, 1
	s_addc_u32 s15, s15, 0
	v_or_b32_e32 v4, v8, v4
	s_cmp_lg_u32 s0, s12
	v_or_b32_e32 v5, v9, v5
	s_cbranch_scc1 .LBB3_31
	s_branch .LBB3_34
.LBB3_32:                               ;   in Loop: Header=BB3_28 Depth=1
	s_mov_b32 s16, 0
	s_branch .LBB3_35
.LBB3_33:                               ;   in Loop: Header=BB3_28 Depth=1
	v_mov_b64_e32 v[4:5], 0
.LBB3_34:                               ;   in Loop: Header=BB3_28 Depth=1
	s_mov_b64 s[0:1], s[4:5]
	s_mov_b32 s16, 0
	s_cbranch_execnz .LBB3_36
.LBB3_35:                               ;   in Loop: Header=BB3_28 Depth=1
	global_load_dwordx2 v[4:5], v29, s[4:5]
	s_add_i32 s16, s10, -8
.LBB3_36:                               ;   in Loop: Header=BB3_28 Depth=1
	s_add_u32 s12, s0, 8
	s_addc_u32 s13, s1, 0
	s_cmp_gt_u32 s16, 7
	s_cbranch_scc1 .LBB3_40
; %bb.37:                               ;   in Loop: Header=BB3_28 Depth=1
	s_cmp_eq_u32 s16, 0
	s_cbranch_scc1 .LBB3_41
; %bb.38:                               ;   in Loop: Header=BB3_28 Depth=1
	s_mov_b64 s[12:13], 0
	v_mov_b64_e32 v[8:9], 0
	s_mov_b64 s[14:15], 0
.LBB3_39:                               ;   Parent Loop BB3_28 Depth=1
                                        ; =>  This Inner Loop Header: Depth=2
	s_add_u32 s18, s0, s14
	s_addc_u32 s19, s1, s15
	global_load_ubyte v10, v29, s[18:19]
	s_add_u32 s14, s14, 1
	s_addc_u32 s15, s15, 0
	s_waitcnt vmcnt(0)
	v_and_b32_e32 v28, 0xffff, v10
	v_lshlrev_b64 v[10:11], s12, v[28:29]
	s_add_u32 s12, s12, 8
	s_addc_u32 s13, s13, 0
	v_or_b32_e32 v8, v10, v8
	s_cmp_lg_u32 s16, s14
	v_or_b32_e32 v9, v11, v9
	s_cbranch_scc1 .LBB3_39
	s_branch .LBB3_42
.LBB3_40:                               ;   in Loop: Header=BB3_28 Depth=1
                                        ; implicit-def: $vgpr8_vgpr9
	s_mov_b32 s17, 0
	s_branch .LBB3_43
.LBB3_41:                               ;   in Loop: Header=BB3_28 Depth=1
	v_mov_b64_e32 v[8:9], 0
.LBB3_42:                               ;   in Loop: Header=BB3_28 Depth=1
	s_mov_b64 s[12:13], s[0:1]
	s_mov_b32 s17, 0
	s_cbranch_execnz .LBB3_44
.LBB3_43:                               ;   in Loop: Header=BB3_28 Depth=1
	global_load_dwordx2 v[8:9], v29, s[0:1]
	s_add_i32 s17, s16, -8
.LBB3_44:                               ;   in Loop: Header=BB3_28 Depth=1
	s_add_u32 s0, s12, 8
	s_addc_u32 s1, s13, 0
	s_cmp_gt_u32 s17, 7
	s_cbranch_scc1 .LBB3_48
; %bb.45:                               ;   in Loop: Header=BB3_28 Depth=1
	s_cmp_eq_u32 s17, 0
	s_cbranch_scc1 .LBB3_49
; %bb.46:                               ;   in Loop: Header=BB3_28 Depth=1
	s_mov_b64 s[0:1], 0
	v_mov_b64_e32 v[10:11], 0
	s_mov_b64 s[14:15], 0
.LBB3_47:                               ;   Parent Loop BB3_28 Depth=1
                                        ; =>  This Inner Loop Header: Depth=2
	s_add_u32 s18, s12, s14
	s_addc_u32 s19, s13, s15
	global_load_ubyte v12, v29, s[18:19]
	s_add_u32 s14, s14, 1
	s_addc_u32 s15, s15, 0
	s_waitcnt vmcnt(0)
	v_and_b32_e32 v28, 0xffff, v12
	v_lshlrev_b64 v[12:13], s0, v[28:29]
	s_add_u32 s0, s0, 8
	s_addc_u32 s1, s1, 0
	v_or_b32_e32 v10, v12, v10
	s_cmp_lg_u32 s17, s14
	v_or_b32_e32 v11, v13, v11
	s_cbranch_scc1 .LBB3_47
	s_branch .LBB3_50
.LBB3_48:                               ;   in Loop: Header=BB3_28 Depth=1
	s_mov_b32 s16, 0
	s_branch .LBB3_51
.LBB3_49:                               ;   in Loop: Header=BB3_28 Depth=1
	v_mov_b64_e32 v[10:11], 0
.LBB3_50:                               ;   in Loop: Header=BB3_28 Depth=1
	s_mov_b64 s[0:1], s[12:13]
	s_mov_b32 s16, 0
	s_cbranch_execnz .LBB3_52
.LBB3_51:                               ;   in Loop: Header=BB3_28 Depth=1
	global_load_dwordx2 v[10:11], v29, s[12:13]
	s_add_i32 s16, s17, -8
.LBB3_52:                               ;   in Loop: Header=BB3_28 Depth=1
	s_add_u32 s12, s0, 8
	s_addc_u32 s13, s1, 0
	s_cmp_gt_u32 s16, 7
	s_cbranch_scc1 .LBB3_56
; %bb.53:                               ;   in Loop: Header=BB3_28 Depth=1
	s_cmp_eq_u32 s16, 0
	s_cbranch_scc1 .LBB3_57
; %bb.54:                               ;   in Loop: Header=BB3_28 Depth=1
	s_mov_b64 s[12:13], 0
	v_mov_b64_e32 v[12:13], 0
	s_mov_b64 s[14:15], 0
.LBB3_55:                               ;   Parent Loop BB3_28 Depth=1
                                        ; =>  This Inner Loop Header: Depth=2
	s_add_u32 s18, s0, s14
	s_addc_u32 s19, s1, s15
	global_load_ubyte v14, v29, s[18:19]
	s_add_u32 s14, s14, 1
	s_addc_u32 s15, s15, 0
	s_waitcnt vmcnt(0)
	v_and_b32_e32 v28, 0xffff, v14
	v_lshlrev_b64 v[14:15], s12, v[28:29]
	s_add_u32 s12, s12, 8
	s_addc_u32 s13, s13, 0
	v_or_b32_e32 v12, v14, v12
	s_cmp_lg_u32 s16, s14
	v_or_b32_e32 v13, v15, v13
	s_cbranch_scc1 .LBB3_55
	s_branch .LBB3_58
.LBB3_56:                               ;   in Loop: Header=BB3_28 Depth=1
                                        ; implicit-def: $vgpr12_vgpr13
	s_mov_b32 s17, 0
	s_branch .LBB3_59
.LBB3_57:                               ;   in Loop: Header=BB3_28 Depth=1
	v_mov_b64_e32 v[12:13], 0
.LBB3_58:                               ;   in Loop: Header=BB3_28 Depth=1
	s_mov_b64 s[12:13], s[0:1]
	s_mov_b32 s17, 0
	s_cbranch_execnz .LBB3_60
.LBB3_59:                               ;   in Loop: Header=BB3_28 Depth=1
	global_load_dwordx2 v[12:13], v29, s[0:1]
	s_add_i32 s17, s16, -8
.LBB3_60:                               ;   in Loop: Header=BB3_28 Depth=1
	s_add_u32 s0, s12, 8
	s_addc_u32 s1, s13, 0
	s_cmp_gt_u32 s17, 7
	s_cbranch_scc1 .LBB3_64
; %bb.61:                               ;   in Loop: Header=BB3_28 Depth=1
	s_cmp_eq_u32 s17, 0
	s_cbranch_scc1 .LBB3_65
; %bb.62:                               ;   in Loop: Header=BB3_28 Depth=1
	s_mov_b64 s[0:1], 0
	v_mov_b64_e32 v[14:15], 0
	s_mov_b64 s[14:15], 0
.LBB3_63:                               ;   Parent Loop BB3_28 Depth=1
                                        ; =>  This Inner Loop Header: Depth=2
	s_add_u32 s18, s12, s14
	s_addc_u32 s19, s13, s15
	global_load_ubyte v16, v29, s[18:19]
	s_add_u32 s14, s14, 1
	s_addc_u32 s15, s15, 0
	s_waitcnt vmcnt(0)
	v_and_b32_e32 v28, 0xffff, v16
	v_lshlrev_b64 v[16:17], s0, v[28:29]
	s_add_u32 s0, s0, 8
	s_addc_u32 s1, s1, 0
	v_or_b32_e32 v14, v16, v14
	s_cmp_lg_u32 s17, s14
	v_or_b32_e32 v15, v17, v15
	s_cbranch_scc1 .LBB3_63
	s_branch .LBB3_66
.LBB3_64:                               ;   in Loop: Header=BB3_28 Depth=1
	s_mov_b32 s16, 0
	s_branch .LBB3_67
.LBB3_65:                               ;   in Loop: Header=BB3_28 Depth=1
	v_mov_b64_e32 v[14:15], 0
.LBB3_66:                               ;   in Loop: Header=BB3_28 Depth=1
	s_mov_b64 s[0:1], s[12:13]
	s_mov_b32 s16, 0
	s_cbranch_execnz .LBB3_68
.LBB3_67:                               ;   in Loop: Header=BB3_28 Depth=1
	global_load_dwordx2 v[14:15], v29, s[12:13]
	s_add_i32 s16, s17, -8
.LBB3_68:                               ;   in Loop: Header=BB3_28 Depth=1
	s_add_u32 s12, s0, 8
	s_addc_u32 s13, s1, 0
	s_cmp_gt_u32 s16, 7
	s_cbranch_scc1 .LBB3_72
; %bb.69:                               ;   in Loop: Header=BB3_28 Depth=1
	s_cmp_eq_u32 s16, 0
	s_cbranch_scc1 .LBB3_73
; %bb.70:                               ;   in Loop: Header=BB3_28 Depth=1
	s_mov_b64 s[12:13], 0
	v_mov_b64_e32 v[16:17], 0
	s_mov_b64 s[14:15], 0
.LBB3_71:                               ;   Parent Loop BB3_28 Depth=1
                                        ; =>  This Inner Loop Header: Depth=2
	s_add_u32 s18, s0, s14
	s_addc_u32 s19, s1, s15
	global_load_ubyte v18, v29, s[18:19]
	s_add_u32 s14, s14, 1
	s_addc_u32 s15, s15, 0
	s_waitcnt vmcnt(0)
	v_and_b32_e32 v28, 0xffff, v18
	v_lshlrev_b64 v[18:19], s12, v[28:29]
	s_add_u32 s12, s12, 8
	s_addc_u32 s13, s13, 0
	v_or_b32_e32 v16, v18, v16
	s_cmp_lg_u32 s16, s14
	v_or_b32_e32 v17, v19, v17
	s_cbranch_scc1 .LBB3_71
	s_branch .LBB3_74
.LBB3_72:                               ;   in Loop: Header=BB3_28 Depth=1
                                        ; implicit-def: $vgpr16_vgpr17
	s_mov_b32 s17, 0
	s_branch .LBB3_75
.LBB3_73:                               ;   in Loop: Header=BB3_28 Depth=1
	v_mov_b64_e32 v[16:17], 0
.LBB3_74:                               ;   in Loop: Header=BB3_28 Depth=1
	s_mov_b64 s[12:13], s[0:1]
	s_mov_b32 s17, 0
	s_cbranch_execnz .LBB3_76
.LBB3_75:                               ;   in Loop: Header=BB3_28 Depth=1
	global_load_dwordx2 v[16:17], v29, s[0:1]
	s_add_i32 s17, s16, -8
.LBB3_76:                               ;   in Loop: Header=BB3_28 Depth=1
	s_cmp_gt_u32 s17, 7
	s_cbranch_scc1 .LBB3_80
; %bb.77:                               ;   in Loop: Header=BB3_28 Depth=1
	s_cmp_eq_u32 s17, 0
	s_cbranch_scc1 .LBB3_81
; %bb.78:                               ;   in Loop: Header=BB3_28 Depth=1
	s_mov_b64 s[0:1], 0
	v_mov_b64_e32 v[18:19], 0
	s_mov_b64 s[14:15], s[12:13]
.LBB3_79:                               ;   Parent Loop BB3_28 Depth=1
                                        ; =>  This Inner Loop Header: Depth=2
	global_load_ubyte v20, v29, s[14:15]
	s_add_i32 s17, s17, -1
	s_waitcnt vmcnt(0)
	v_and_b32_e32 v28, 0xffff, v20
	v_lshlrev_b64 v[20:21], s0, v[28:29]
	s_add_u32 s0, s0, 8
	s_addc_u32 s1, s1, 0
	s_add_u32 s14, s14, 1
	s_addc_u32 s15, s15, 0
	v_or_b32_e32 v18, v20, v18
	s_cmp_lg_u32 s17, 0
	v_or_b32_e32 v19, v21, v19
	s_cbranch_scc1 .LBB3_79
	s_branch .LBB3_82
.LBB3_80:                               ;   in Loop: Header=BB3_28 Depth=1
	s_branch .LBB3_83
.LBB3_81:                               ;   in Loop: Header=BB3_28 Depth=1
	v_mov_b64_e32 v[18:19], 0
.LBB3_82:                               ;   in Loop: Header=BB3_28 Depth=1
	s_cbranch_execnz .LBB3_84
.LBB3_83:                               ;   in Loop: Header=BB3_28 Depth=1
	global_load_dwordx2 v[18:19], v29, s[12:13]
.LBB3_84:                               ;   in Loop: Header=BB3_28 Depth=1
	v_readfirstlane_b32 s0, v1
	v_mov_b64_e32 v[30:31], 0
	s_nop 0
	v_cmp_eq_u32_e64 s[0:1], s0, v1
	s_and_saveexec_b64 s[12:13], s[0:1]
	s_cbranch_execz .LBB3_90
; %bb.85:                               ;   in Loop: Header=BB3_28 Depth=1
	global_load_dwordx2 v[22:23], v29, s[2:3] offset:24 sc0 sc1
	s_waitcnt vmcnt(0)
	buffer_inv sc0 sc1
	global_load_dwordx2 v[20:21], v29, s[2:3] offset:40
	global_load_dwordx2 v[30:31], v29, s[2:3]
	s_waitcnt vmcnt(1)
	v_and_b32_e32 v20, v20, v22
	v_and_b32_e32 v21, v21, v23
	v_mul_lo_u32 v21, v21, 24
	v_mul_hi_u32 v25, v20, 24
	v_add_u32_e32 v21, v25, v21
	v_mul_lo_u32 v20, v20, 24
	s_waitcnt vmcnt(0)
	v_lshl_add_u64 v[20:21], v[30:31], 0, v[20:21]
	global_load_dwordx2 v[20:21], v[20:21], off sc0 sc1
	s_waitcnt vmcnt(0)
	global_atomic_cmpswap_x2 v[30:31], v29, v[20:23], s[2:3] offset:24 sc0 sc1
	s_waitcnt vmcnt(0)
	buffer_inv sc0 sc1
	v_cmp_ne_u64_e32 vcc, v[30:31], v[22:23]
	s_and_saveexec_b64 s[14:15], vcc
	s_cbranch_execz .LBB3_89
; %bb.86:                               ;   in Loop: Header=BB3_28 Depth=1
	s_mov_b64 s[16:17], 0
.LBB3_87:                               ;   Parent Loop BB3_28 Depth=1
                                        ; =>  This Inner Loop Header: Depth=2
	s_sleep 1
	global_load_dwordx2 v[20:21], v29, s[2:3] offset:40
	global_load_dwordx2 v[32:33], v29, s[2:3]
	v_mov_b64_e32 v[22:23], v[30:31]
	s_waitcnt vmcnt(1)
	v_and_b32_e32 v20, v20, v22
	v_and_b32_e32 v25, v21, v23
	s_waitcnt vmcnt(0)
	v_mad_u64_u32 v[20:21], s[18:19], v20, 24, v[32:33]
	v_mov_b32_e32 v28, v21
	v_mad_u64_u32 v[30:31], s[18:19], v25, 24, v[28:29]
	v_mov_b32_e32 v21, v30
	global_load_dwordx2 v[20:21], v[20:21], off sc0 sc1
	s_waitcnt vmcnt(0)
	global_atomic_cmpswap_x2 v[30:31], v29, v[20:23], s[2:3] offset:24 sc0 sc1
	s_waitcnt vmcnt(0)
	buffer_inv sc0 sc1
	v_cmp_eq_u64_e32 vcc, v[30:31], v[22:23]
	s_or_b64 s[16:17], vcc, s[16:17]
	s_andn2_b64 exec, exec, s[16:17]
	s_cbranch_execnz .LBB3_87
; %bb.88:                               ;   in Loop: Header=BB3_28 Depth=1
	s_or_b64 exec, exec, s[16:17]
.LBB3_89:                               ;   in Loop: Header=BB3_28 Depth=1
	s_or_b64 exec, exec, s[14:15]
.LBB3_90:                               ;   in Loop: Header=BB3_28 Depth=1
	s_or_b64 exec, exec, s[12:13]
	global_load_dwordx2 v[32:33], v29, s[2:3] offset:40
	global_load_dwordx4 v[20:23], v29, s[2:3]
	v_readfirstlane_b32 s13, v31
	v_readfirstlane_b32 s12, v30
	s_mov_b64 s[14:15], exec
	s_waitcnt vmcnt(1)
	v_readfirstlane_b32 s16, v32
	v_readfirstlane_b32 s17, v33
	s_and_b64 s[16:17], s[16:17], s[12:13]
	s_mul_i32 s18, s17, 24
	s_mul_hi_u32 s19, s16, 24
	s_add_i32 s19, s19, s18
	s_mul_i32 s18, s16, 24
	s_waitcnt vmcnt(0)
	v_lshl_add_u64 v[30:31], v[20:21], 0, s[18:19]
	s_and_saveexec_b64 s[18:19], s[0:1]
	s_cbranch_execz .LBB3_92
; %bb.91:                               ;   in Loop: Header=BB3_28 Depth=1
	v_mov_b64_e32 v[32:33], s[14:15]
	global_store_dwordx4 v[30:31], v[32:35], off offset:8
.LBB3_92:                               ;   in Loop: Header=BB3_28 Depth=1
	s_or_b64 exec, exec, s[18:19]
	s_lshl_b64 s[14:15], s[16:17], 12
	v_lshl_add_u64 v[22:23], v[22:23], 0, s[14:15]
	v_cmp_lt_u64_e64 vcc, s[6:7], 57
	s_lshl_b32 s14, s10, 2
	s_add_i32 s14, s14, 28
	v_cndmask_b32_e32 v25, 0, v26, vcc
	v_and_b32_e32 v2, 0xffffff1f, v2
	s_and_b32 s14, s14, 0x1e0
	v_or_b32_e32 v2, v2, v25
	v_or_b32_e32 v2, s14, v2
	v_readfirstlane_b32 s14, v22
	v_readfirstlane_b32 s15, v23
	s_nop 4
	global_store_dwordx4 v24, v[2:5], s[14:15]
	global_store_dwordx4 v24, v[8:11], s[14:15] offset:16
	global_store_dwordx4 v24, v[12:15], s[14:15] offset:32
	;; [unrolled: 1-line block ×3, first 2 shown]
	s_and_saveexec_b64 s[14:15], s[0:1]
	s_cbranch_execz .LBB3_100
; %bb.93:                               ;   in Loop: Header=BB3_28 Depth=1
	global_load_dwordx2 v[12:13], v29, s[2:3] offset:32 sc0 sc1
	global_load_dwordx2 v[2:3], v29, s[2:3] offset:40
	v_mov_b32_e32 v10, s12
	v_mov_b32_e32 v11, s13
	s_waitcnt vmcnt(0)
	v_readfirstlane_b32 s16, v2
	v_readfirstlane_b32 s17, v3
	s_and_b64 s[16:17], s[16:17], s[12:13]
	s_mul_i32 s17, s17, 24
	s_mul_hi_u32 s18, s16, 24
	s_mul_i32 s16, s16, 24
	s_add_i32 s17, s18, s17
	v_lshl_add_u64 v[8:9], v[20:21], 0, s[16:17]
	global_store_dwordx2 v[8:9], v[12:13], off
	buffer_wbl2 sc0 sc1
	s_waitcnt vmcnt(0)
	global_atomic_cmpswap_x2 v[4:5], v29, v[10:13], s[2:3] offset:32 sc0 sc1
	s_waitcnt vmcnt(0)
	v_cmp_ne_u64_e32 vcc, v[4:5], v[12:13]
	s_and_saveexec_b64 s[16:17], vcc
	s_cbranch_execz .LBB3_96
; %bb.94:                               ;   in Loop: Header=BB3_28 Depth=1
	s_mov_b64 s[18:19], 0
.LBB3_95:                               ;   Parent Loop BB3_28 Depth=1
                                        ; =>  This Inner Loop Header: Depth=2
	s_sleep 1
	global_store_dwordx2 v[8:9], v[4:5], off
	v_mov_b32_e32 v2, s12
	v_mov_b32_e32 v3, s13
	buffer_wbl2 sc0 sc1
	s_waitcnt vmcnt(0)
	global_atomic_cmpswap_x2 v[2:3], v29, v[2:5], s[2:3] offset:32 sc0 sc1
	s_waitcnt vmcnt(0)
	v_cmp_eq_u64_e32 vcc, v[2:3], v[4:5]
	s_or_b64 s[18:19], vcc, s[18:19]
	v_mov_b64_e32 v[4:5], v[2:3]
	s_andn2_b64 exec, exec, s[18:19]
	s_cbranch_execnz .LBB3_95
.LBB3_96:                               ;   in Loop: Header=BB3_28 Depth=1
	s_or_b64 exec, exec, s[16:17]
	global_load_dwordx2 v[2:3], v29, s[2:3] offset:16
	s_mov_b64 s[18:19], exec
	v_mbcnt_lo_u32_b32 v4, s18, 0
	v_mbcnt_hi_u32_b32 v4, s19, v4
	v_cmp_eq_u32_e32 vcc, 0, v4
	s_and_saveexec_b64 s[16:17], vcc
	s_cbranch_execz .LBB3_98
; %bb.97:                               ;   in Loop: Header=BB3_28 Depth=1
	s_bcnt1_i32_b64 s18, s[18:19]
	v_mov_b32_e32 v28, s18
	buffer_wbl2 sc0 sc1
	s_waitcnt vmcnt(0)
	global_atomic_add_x2 v[2:3], v[28:29], off offset:8 sc1
.LBB3_98:                               ;   in Loop: Header=BB3_28 Depth=1
	s_or_b64 exec, exec, s[16:17]
	s_waitcnt vmcnt(0)
	global_load_dwordx2 v[4:5], v[2:3], off offset:16
	s_waitcnt vmcnt(0)
	v_cmp_eq_u64_e32 vcc, 0, v[4:5]
	s_cbranch_vccnz .LBB3_100
; %bb.99:                               ;   in Loop: Header=BB3_28 Depth=1
	global_load_dword v28, v[2:3], off offset:24
	s_waitcnt vmcnt(0)
	v_readfirstlane_b32 s16, v28
	s_and_b32 m0, s16, 0xffffff
	buffer_wbl2 sc0 sc1
	global_store_dwordx2 v[4:5], v[28:29], off sc0 sc1
	s_sendmsg sendmsg(MSG_INTERRUPT)
.LBB3_100:                              ;   in Loop: Header=BB3_28 Depth=1
	s_or_b64 exec, exec, s[14:15]
	v_mov_b32_e32 v25, v29
	v_lshl_add_u64 v[2:3], v[22:23], 0, v[24:25]
	s_branch .LBB3_104
.LBB3_101:                              ;   in Loop: Header=BB3_104 Depth=2
	s_or_b64 exec, exec, s[14:15]
	v_readfirstlane_b32 s14, v4
	s_cmp_eq_u32 s14, 0
	s_cbranch_scc1 .LBB3_103
; %bb.102:                              ;   in Loop: Header=BB3_104 Depth=2
	s_sleep 1
	s_cbranch_execnz .LBB3_104
	s_branch .LBB3_106
.LBB3_103:                              ;   in Loop: Header=BB3_28 Depth=1
	s_branch .LBB3_106
.LBB3_104:                              ;   Parent Loop BB3_28 Depth=1
                                        ; =>  This Inner Loop Header: Depth=2
	v_mov_b32_e32 v4, 1
	s_and_saveexec_b64 s[14:15], s[0:1]
	s_cbranch_execz .LBB3_101
; %bb.105:                              ;   in Loop: Header=BB3_104 Depth=2
	global_load_dword v4, v[30:31], off offset:20 sc0 sc1
	s_waitcnt vmcnt(0)
	buffer_inv sc0 sc1
	v_and_b32_e32 v4, 1, v4
	s_branch .LBB3_101
.LBB3_106:                              ;   in Loop: Header=BB3_28 Depth=1
	global_load_dwordx2 v[2:3], v[2:3], off
	s_and_saveexec_b64 s[14:15], s[0:1]
	s_cbranch_execz .LBB3_27
; %bb.107:                              ;   in Loop: Header=BB3_28 Depth=1
	global_load_dwordx2 v[4:5], v29, s[2:3] offset:40
	global_load_dwordx2 v[12:13], v29, s[2:3] offset:24 sc0 sc1
	global_load_dwordx2 v[8:9], v29, s[2:3]
	s_waitcnt vmcnt(2)
	v_readfirstlane_b32 s16, v4
	v_readfirstlane_b32 s17, v5
	s_add_u32 s18, s16, 1
	s_addc_u32 s19, s17, 0
	s_add_u32 s0, s18, s12
	s_addc_u32 s1, s19, s13
	s_cmp_eq_u64 s[0:1], 0
	s_cselect_b32 s1, s19, s1
	s_cselect_b32 s0, s18, s0
	s_and_b64 s[12:13], s[0:1], s[16:17]
	s_mul_i32 s13, s13, 24
	s_mul_hi_u32 s16, s12, 24
	s_mul_i32 s12, s12, 24
	s_add_i32 s13, s16, s13
	s_waitcnt vmcnt(0)
	v_lshl_add_u64 v[4:5], v[8:9], 0, s[12:13]
	v_mov_b32_e32 v10, s0
	global_store_dwordx2 v[4:5], v[12:13], off
	v_mov_b32_e32 v11, s1
	buffer_wbl2 sc0 sc1
	s_waitcnt vmcnt(0)
	global_atomic_cmpswap_x2 v[10:11], v29, v[10:13], s[2:3] offset:24 sc0 sc1
	s_waitcnt vmcnt(0)
	v_cmp_ne_u64_e32 vcc, v[10:11], v[12:13]
	s_and_b64 exec, exec, vcc
	s_cbranch_execz .LBB3_27
; %bb.108:                              ;   in Loop: Header=BB3_28 Depth=1
	s_mov_b64 s[12:13], 0
.LBB3_109:                              ;   Parent Loop BB3_28 Depth=1
                                        ; =>  This Inner Loop Header: Depth=2
	s_sleep 1
	global_store_dwordx2 v[4:5], v[10:11], off
	v_mov_b32_e32 v8, s0
	v_mov_b32_e32 v9, s1
	buffer_wbl2 sc0 sc1
	s_waitcnt vmcnt(0)
	global_atomic_cmpswap_x2 v[8:9], v29, v[8:11], s[2:3] offset:24 sc0 sc1
	s_waitcnt vmcnt(0)
	v_cmp_eq_u64_e32 vcc, v[8:9], v[10:11]
	s_or_b64 s[12:13], vcc, s[12:13]
	v_mov_b64_e32 v[10:11], v[8:9]
	s_andn2_b64 exec, exec, s[12:13]
	s_cbranch_execnz .LBB3_109
	s_branch .LBB3_27
.LBB3_110:
                                        ; implicit-def: $vgpr2_vgpr3
	s_cbranch_execnz .LBB3_112
	s_branch .LBB3_138
.LBB3_111:
	s_branch .LBB3_138
.LBB3_112:
	v_readfirstlane_b32 s0, v1
	v_mov_b64_e32 v[8:9], 0
	s_nop 0
	v_cmp_eq_u32_e64 s[0:1], s0, v1
	s_and_saveexec_b64 s[4:5], s[0:1]
	s_cbranch_execz .LBB3_118
; %bb.113:
	s_waitcnt vmcnt(0)
	v_mov_b32_e32 v2, 0
	global_load_dwordx2 v[10:11], v2, s[2:3] offset:24 sc0 sc1
	s_waitcnt vmcnt(0)
	buffer_inv sc0 sc1
	global_load_dwordx2 v[4:5], v2, s[2:3] offset:40
	global_load_dwordx2 v[8:9], v2, s[2:3]
	s_waitcnt vmcnt(1)
	v_and_b32_e32 v3, v4, v10
	v_and_b32_e32 v4, v5, v11
	v_mul_lo_u32 v4, v4, 24
	v_mul_hi_u32 v5, v3, 24
	v_add_u32_e32 v5, v5, v4
	v_mul_lo_u32 v4, v3, 24
	s_waitcnt vmcnt(0)
	v_lshl_add_u64 v[4:5], v[8:9], 0, v[4:5]
	global_load_dwordx2 v[8:9], v[4:5], off sc0 sc1
	s_waitcnt vmcnt(0)
	global_atomic_cmpswap_x2 v[8:9], v2, v[8:11], s[2:3] offset:24 sc0 sc1
	s_waitcnt vmcnt(0)
	buffer_inv sc0 sc1
	v_cmp_ne_u64_e32 vcc, v[8:9], v[10:11]
	s_and_saveexec_b64 s[6:7], vcc
	s_cbranch_execz .LBB3_117
; %bb.114:
	s_mov_b64 s[10:11], 0
.LBB3_115:                              ; =>This Inner Loop Header: Depth=1
	s_sleep 1
	global_load_dwordx2 v[4:5], v2, s[2:3] offset:40
	global_load_dwordx2 v[12:13], v2, s[2:3]
	v_mov_b64_e32 v[10:11], v[8:9]
	s_waitcnt vmcnt(1)
	v_and_b32_e32 v4, v4, v10
	v_and_b32_e32 v3, v5, v11
	s_waitcnt vmcnt(0)
	v_mad_u64_u32 v[4:5], s[12:13], v4, 24, v[12:13]
	v_mov_b32_e32 v8, v5
	v_mad_u64_u32 v[8:9], s[12:13], v3, 24, v[8:9]
	v_mov_b32_e32 v5, v8
	global_load_dwordx2 v[8:9], v[4:5], off sc0 sc1
	s_waitcnt vmcnt(0)
	global_atomic_cmpswap_x2 v[8:9], v2, v[8:11], s[2:3] offset:24 sc0 sc1
	s_waitcnt vmcnt(0)
	buffer_inv sc0 sc1
	v_cmp_eq_u64_e32 vcc, v[8:9], v[10:11]
	s_or_b64 s[10:11], vcc, s[10:11]
	s_andn2_b64 exec, exec, s[10:11]
	s_cbranch_execnz .LBB3_115
; %bb.116:
	s_or_b64 exec, exec, s[10:11]
.LBB3_117:
	s_or_b64 exec, exec, s[6:7]
.LBB3_118:
	s_or_b64 exec, exec, s[4:5]
	v_mov_b32_e32 v25, 0
	global_load_dwordx2 v[10:11], v25, s[2:3] offset:40
	global_load_dwordx4 v[2:5], v25, s[2:3]
	v_readfirstlane_b32 s5, v9
	v_readfirstlane_b32 s4, v8
	s_mov_b64 s[6:7], exec
	s_waitcnt vmcnt(1)
	v_readfirstlane_b32 s10, v10
	v_readfirstlane_b32 s11, v11
	s_and_b64 s[10:11], s[10:11], s[4:5]
	s_mul_i32 s12, s11, 24
	s_mul_hi_u32 s13, s10, 24
	s_add_i32 s13, s13, s12
	s_mul_i32 s12, s10, 24
	s_waitcnt vmcnt(0)
	v_lshl_add_u64 v[10:11], v[2:3], 0, s[12:13]
	s_and_saveexec_b64 s[12:13], s[0:1]
	s_cbranch_execz .LBB3_120
; %bb.119:
	v_mov_b64_e32 v[12:13], s[6:7]
	v_mov_b32_e32 v14, 2
	v_mov_b32_e32 v15, 1
	global_store_dwordx4 v[10:11], v[12:15], off offset:8
.LBB3_120:
	s_or_b64 exec, exec, s[12:13]
	s_lshl_b64 s[6:7], s[10:11], 12
	v_lshl_add_u64 v[12:13], v[4:5], 0, s[6:7]
	s_movk_i32 s6, 0xff1f
	s_mov_b32 s12, 0
	v_and_or_b32 v6, v6, s6, 32
	v_mov_b32_e32 v8, v25
	v_mov_b32_e32 v9, v25
	v_readfirstlane_b32 s6, v12
	v_readfirstlane_b32 s7, v13
	s_mov_b32 s13, s12
	s_mov_b32 s14, s12
	;; [unrolled: 1-line block ×3, first 2 shown]
	s_nop 1
	global_store_dwordx4 v24, v[6:9], s[6:7]
	v_mov_b64_e32 v[4:5], s[12:13]
	s_nop 0
	v_mov_b64_e32 v[6:7], s[14:15]
	global_store_dwordx4 v24, v[4:7], s[6:7] offset:16
	global_store_dwordx4 v24, v[4:7], s[6:7] offset:32
	global_store_dwordx4 v24, v[4:7], s[6:7] offset:48
	s_and_saveexec_b64 s[6:7], s[0:1]
	s_cbranch_execz .LBB3_128
; %bb.121:
	v_mov_b32_e32 v8, 0
	global_load_dwordx2 v[16:17], v8, s[2:3] offset:32 sc0 sc1
	global_load_dwordx2 v[4:5], v8, s[2:3] offset:40
	v_mov_b32_e32 v14, s4
	v_mov_b32_e32 v15, s5
	s_waitcnt vmcnt(0)
	v_readfirstlane_b32 s10, v4
	v_readfirstlane_b32 s11, v5
	s_and_b64 s[10:11], s[10:11], s[4:5]
	s_mul_i32 s11, s11, 24
	s_mul_hi_u32 s12, s10, 24
	s_mul_i32 s10, s10, 24
	s_add_i32 s11, s12, s11
	v_lshl_add_u64 v[6:7], v[2:3], 0, s[10:11]
	global_store_dwordx2 v[6:7], v[16:17], off
	buffer_wbl2 sc0 sc1
	s_waitcnt vmcnt(0)
	global_atomic_cmpswap_x2 v[4:5], v8, v[14:17], s[2:3] offset:32 sc0 sc1
	s_waitcnt vmcnt(0)
	v_cmp_ne_u64_e32 vcc, v[4:5], v[16:17]
	s_and_saveexec_b64 s[10:11], vcc
	s_cbranch_execz .LBB3_124
; %bb.122:
	s_mov_b64 s[12:13], 0
.LBB3_123:                              ; =>This Inner Loop Header: Depth=1
	s_sleep 1
	global_store_dwordx2 v[6:7], v[4:5], off
	v_mov_b32_e32 v2, s4
	v_mov_b32_e32 v3, s5
	buffer_wbl2 sc0 sc1
	s_waitcnt vmcnt(0)
	global_atomic_cmpswap_x2 v[2:3], v8, v[2:5], s[2:3] offset:32 sc0 sc1
	s_waitcnt vmcnt(0)
	v_cmp_eq_u64_e32 vcc, v[2:3], v[4:5]
	s_or_b64 s[12:13], vcc, s[12:13]
	v_mov_b64_e32 v[4:5], v[2:3]
	s_andn2_b64 exec, exec, s[12:13]
	s_cbranch_execnz .LBB3_123
.LBB3_124:
	s_or_b64 exec, exec, s[10:11]
	v_mov_b32_e32 v5, 0
	global_load_dwordx2 v[2:3], v5, s[2:3] offset:16
	s_mov_b64 s[10:11], exec
	v_mbcnt_lo_u32_b32 v4, s10, 0
	v_mbcnt_hi_u32_b32 v4, s11, v4
	v_cmp_eq_u32_e32 vcc, 0, v4
	s_and_saveexec_b64 s[12:13], vcc
	s_cbranch_execz .LBB3_126
; %bb.125:
	s_bcnt1_i32_b64 s10, s[10:11]
	v_mov_b32_e32 v4, s10
	buffer_wbl2 sc0 sc1
	s_waitcnt vmcnt(0)
	global_atomic_add_x2 v[2:3], v[4:5], off offset:8 sc1
.LBB3_126:
	s_or_b64 exec, exec, s[12:13]
	s_waitcnt vmcnt(0)
	global_load_dwordx2 v[4:5], v[2:3], off offset:16
	s_waitcnt vmcnt(0)
	v_cmp_eq_u64_e32 vcc, 0, v[4:5]
	s_cbranch_vccnz .LBB3_128
; %bb.127:
	global_load_dword v2, v[2:3], off offset:24
	v_mov_b32_e32 v3, 0
	s_waitcnt vmcnt(0)
	v_readfirstlane_b32 s10, v2
	s_and_b32 m0, s10, 0xffffff
	buffer_wbl2 sc0 sc1
	global_store_dwordx2 v[4:5], v[2:3], off sc0 sc1
	s_sendmsg sendmsg(MSG_INTERRUPT)
.LBB3_128:
	s_or_b64 exec, exec, s[6:7]
	v_lshl_add_u64 v[2:3], v[12:13], 0, v[24:25]
	s_branch .LBB3_132
.LBB3_129:                              ;   in Loop: Header=BB3_132 Depth=1
	s_or_b64 exec, exec, s[6:7]
	v_readfirstlane_b32 s6, v4
	s_cmp_eq_u32 s6, 0
	s_cbranch_scc1 .LBB3_131
; %bb.130:                              ;   in Loop: Header=BB3_132 Depth=1
	s_sleep 1
	s_cbranch_execnz .LBB3_132
	s_branch .LBB3_134
.LBB3_131:
	s_branch .LBB3_134
.LBB3_132:                              ; =>This Inner Loop Header: Depth=1
	v_mov_b32_e32 v4, 1
	s_and_saveexec_b64 s[6:7], s[0:1]
	s_cbranch_execz .LBB3_129
; %bb.133:                              ;   in Loop: Header=BB3_132 Depth=1
	global_load_dword v4, v[10:11], off offset:20 sc0 sc1
	s_waitcnt vmcnt(0)
	buffer_inv sc0 sc1
	v_and_b32_e32 v4, 1, v4
	s_branch .LBB3_129
.LBB3_134:
	global_load_dwordx2 v[2:3], v[2:3], off
	s_and_saveexec_b64 s[6:7], s[0:1]
	s_cbranch_execz .LBB3_137
; %bb.135:
	v_mov_b32_e32 v10, 0
	global_load_dwordx2 v[4:5], v10, s[2:3] offset:40
	global_load_dwordx2 v[14:15], v10, s[2:3] offset:24 sc0 sc1
	global_load_dwordx2 v[6:7], v10, s[2:3]
	s_waitcnt vmcnt(2)
	v_readfirstlane_b32 s10, v4
	v_readfirstlane_b32 s11, v5
	s_add_u32 s12, s10, 1
	s_addc_u32 s13, s11, 0
	s_add_u32 s0, s12, s4
	s_addc_u32 s1, s13, s5
	s_cmp_eq_u64 s[0:1], 0
	s_cselect_b32 s1, s13, s1
	s_cselect_b32 s0, s12, s0
	s_and_b64 s[4:5], s[0:1], s[10:11]
	s_mul_i32 s5, s5, 24
	s_mul_hi_u32 s10, s4, 24
	s_mul_i32 s4, s4, 24
	s_add_i32 s5, s10, s5
	s_waitcnt vmcnt(0)
	v_lshl_add_u64 v[8:9], v[6:7], 0, s[4:5]
	v_mov_b32_e32 v12, s0
	global_store_dwordx2 v[8:9], v[14:15], off
	v_mov_b32_e32 v13, s1
	buffer_wbl2 sc0 sc1
	s_waitcnt vmcnt(0)
	global_atomic_cmpswap_x2 v[6:7], v10, v[12:15], s[2:3] offset:24 sc0 sc1
	s_mov_b64 s[4:5], 0
	s_waitcnt vmcnt(0)
	v_cmp_ne_u64_e32 vcc, v[6:7], v[14:15]
	s_and_b64 exec, exec, vcc
	s_cbranch_execz .LBB3_137
.LBB3_136:                              ; =>This Inner Loop Header: Depth=1
	s_sleep 1
	global_store_dwordx2 v[8:9], v[6:7], off
	v_mov_b32_e32 v4, s0
	v_mov_b32_e32 v5, s1
	buffer_wbl2 sc0 sc1
	s_waitcnt vmcnt(0)
	global_atomic_cmpswap_x2 v[4:5], v10, v[4:7], s[2:3] offset:24 sc0 sc1
	s_waitcnt vmcnt(0)
	v_cmp_eq_u64_e32 vcc, v[4:5], v[6:7]
	s_or_b64 s[4:5], vcc, s[4:5]
	v_mov_b64_e32 v[6:7], v[4:5]
	s_andn2_b64 exec, exec, s[4:5]
	s_cbranch_execnz .LBB3_136
.LBB3_137:
	s_or_b64 exec, exec, s[6:7]
.LBB3_138:
	s_getpc_b64 s[4:5]
	s_add_u32 s4, s4, .str.3@rel32@lo+4
	s_addc_u32 s5, s5, .str.3@rel32@hi+12
	s_cmp_lg_u64 s[4:5], 0
	s_cselect_b64 s[0:1], -1, 0
	s_cmp_eq_u64 s[4:5], 0
	s_mov_b64 s[4:5], 0
	s_cbranch_scc1 .LBB3_142
; %bb.139:
	v_mov_b32_e32 v4, 0
	s_getpc_b64 s[4:5]
	s_add_u32 s4, s4, .str.3@rel32@lo+3
	s_addc_u32 s5, s5, .str.3@rel32@hi+11
.LBB3_140:                              ; =>This Inner Loop Header: Depth=1
	global_load_ubyte v5, v4, s[4:5] offset:1
	s_add_u32 s6, s4, 1
	s_addc_u32 s7, s5, 0
	s_mov_b64 s[4:5], s[6:7]
	s_waitcnt vmcnt(0)
	v_cmp_ne_u32_e32 vcc, 0, v5
	s_cbranch_vccnz .LBB3_140
; %bb.141:
	s_getpc_b64 s[4:5]
	s_add_u32 s4, s4, .str.3@rel32@lo+4
	s_addc_u32 s5, s5, .str.3@rel32@hi+12
	s_sub_u32 s4, s6, s4
	s_subb_u32 s5, s7, s5
	s_add_u32 s4, s4, 1
	s_addc_u32 s5, s5, 0
.LBB3_142:
	s_and_b64 vcc, exec, s[0:1]
	s_cbranch_vccz .LBB3_227
; %bb.143:
	s_waitcnt vmcnt(0)
	v_and_b32_e32 v26, 2, v2
	v_mov_b32_e32 v29, 0
	v_and_b32_e32 v4, -3, v2
	v_mov_b32_e32 v5, v3
	v_mov_b32_e32 v34, 2
	;; [unrolled: 1-line block ×3, first 2 shown]
	s_getpc_b64 s[6:7]
	s_add_u32 s6, s6, .str.3@rel32@lo+4
	s_addc_u32 s7, s7, .str.3@rel32@hi+12
	s_branch .LBB3_145
.LBB3_144:                              ;   in Loop: Header=BB3_145 Depth=1
	s_or_b64 exec, exec, s[14:15]
	s_sub_u32 s4, s4, s10
	s_subb_u32 s5, s5, s11
	s_add_u32 s6, s6, s10
	s_addc_u32 s7, s7, s11
	s_cmp_lg_u64 s[4:5], 0
	s_cbranch_scc0 .LBB3_228
.LBB3_145:                              ; =>This Loop Header: Depth=1
                                        ;     Child Loop BB3_148 Depth 2
                                        ;     Child Loop BB3_156 Depth 2
                                        ;     Child Loop BB3_164 Depth 2
                                        ;     Child Loop BB3_172 Depth 2
                                        ;     Child Loop BB3_180 Depth 2
                                        ;     Child Loop BB3_188 Depth 2
                                        ;     Child Loop BB3_196 Depth 2
                                        ;     Child Loop BB3_204 Depth 2
                                        ;     Child Loop BB3_212 Depth 2
                                        ;     Child Loop BB3_221 Depth 2
                                        ;     Child Loop BB3_226 Depth 2
	v_cmp_lt_u64_e64 s[0:1], s[4:5], 56
	s_and_b64 s[0:1], s[0:1], exec
	s_cselect_b32 s11, s5, 0
	s_cselect_b32 s10, s4, 56
	v_cmp_gt_u64_e64 s[12:13], s[4:5], 7
	s_add_u32 s0, s6, 8
	s_addc_u32 s1, s7, 0
	s_and_b64 vcc, exec, s[12:13]
	s_cbranch_vccnz .LBB3_149
; %bb.146:                              ;   in Loop: Header=BB3_145 Depth=1
	s_cmp_eq_u64 s[4:5], 0
	s_cbranch_scc1 .LBB3_150
; %bb.147:                              ;   in Loop: Header=BB3_145 Depth=1
	s_lshl_b64 s[0:1], s[10:11], 3
	s_mov_b64 s[12:13], 0
	v_mov_b64_e32 v[6:7], 0
	s_mov_b64 s[14:15], s[6:7]
.LBB3_148:                              ;   Parent Loop BB3_145 Depth=1
                                        ; =>  This Inner Loop Header: Depth=2
	global_load_ubyte v8, v29, s[14:15]
	s_waitcnt vmcnt(0)
	v_and_b32_e32 v28, 0xffff, v8
	v_lshlrev_b64 v[8:9], s12, v[28:29]
	s_add_u32 s12, s12, 8
	s_addc_u32 s13, s13, 0
	s_add_u32 s14, s14, 1
	s_addc_u32 s15, s15, 0
	v_or_b32_e32 v6, v8, v6
	s_cmp_lg_u32 s0, s12
	v_or_b32_e32 v7, v9, v7
	s_cbranch_scc1 .LBB3_148
	s_branch .LBB3_151
.LBB3_149:                              ;   in Loop: Header=BB3_145 Depth=1
	s_mov_b32 s16, 0
	s_branch .LBB3_152
.LBB3_150:                              ;   in Loop: Header=BB3_145 Depth=1
	v_mov_b64_e32 v[6:7], 0
.LBB3_151:                              ;   in Loop: Header=BB3_145 Depth=1
	s_mov_b64 s[0:1], s[6:7]
	s_mov_b32 s16, 0
	s_cbranch_execnz .LBB3_153
.LBB3_152:                              ;   in Loop: Header=BB3_145 Depth=1
	global_load_dwordx2 v[6:7], v29, s[6:7]
	s_add_i32 s16, s10, -8
.LBB3_153:                              ;   in Loop: Header=BB3_145 Depth=1
	s_add_u32 s12, s0, 8
	s_addc_u32 s13, s1, 0
	s_cmp_gt_u32 s16, 7
	s_cbranch_scc1 .LBB3_157
; %bb.154:                              ;   in Loop: Header=BB3_145 Depth=1
	s_cmp_eq_u32 s16, 0
	s_cbranch_scc1 .LBB3_158
; %bb.155:                              ;   in Loop: Header=BB3_145 Depth=1
	s_mov_b64 s[12:13], 0
	v_mov_b64_e32 v[8:9], 0
	s_mov_b64 s[14:15], 0
.LBB3_156:                              ;   Parent Loop BB3_145 Depth=1
                                        ; =>  This Inner Loop Header: Depth=2
	s_add_u32 s18, s0, s14
	s_addc_u32 s19, s1, s15
	global_load_ubyte v10, v29, s[18:19]
	s_add_u32 s14, s14, 1
	s_addc_u32 s15, s15, 0
	s_waitcnt vmcnt(0)
	v_and_b32_e32 v28, 0xffff, v10
	v_lshlrev_b64 v[10:11], s12, v[28:29]
	s_add_u32 s12, s12, 8
	s_addc_u32 s13, s13, 0
	v_or_b32_e32 v8, v10, v8
	s_cmp_lg_u32 s16, s14
	v_or_b32_e32 v9, v11, v9
	s_cbranch_scc1 .LBB3_156
	s_branch .LBB3_159
.LBB3_157:                              ;   in Loop: Header=BB3_145 Depth=1
                                        ; implicit-def: $vgpr8_vgpr9
	s_mov_b32 s17, 0
	s_branch .LBB3_160
.LBB3_158:                              ;   in Loop: Header=BB3_145 Depth=1
	v_mov_b64_e32 v[8:9], 0
.LBB3_159:                              ;   in Loop: Header=BB3_145 Depth=1
	s_mov_b64 s[12:13], s[0:1]
	s_mov_b32 s17, 0
	s_cbranch_execnz .LBB3_161
.LBB3_160:                              ;   in Loop: Header=BB3_145 Depth=1
	global_load_dwordx2 v[8:9], v29, s[0:1]
	s_add_i32 s17, s16, -8
.LBB3_161:                              ;   in Loop: Header=BB3_145 Depth=1
	s_add_u32 s0, s12, 8
	s_addc_u32 s1, s13, 0
	s_cmp_gt_u32 s17, 7
	s_cbranch_scc1 .LBB3_165
; %bb.162:                              ;   in Loop: Header=BB3_145 Depth=1
	s_cmp_eq_u32 s17, 0
	s_cbranch_scc1 .LBB3_166
; %bb.163:                              ;   in Loop: Header=BB3_145 Depth=1
	s_mov_b64 s[0:1], 0
	v_mov_b64_e32 v[10:11], 0
	s_mov_b64 s[14:15], 0
.LBB3_164:                              ;   Parent Loop BB3_145 Depth=1
                                        ; =>  This Inner Loop Header: Depth=2
	s_add_u32 s18, s12, s14
	s_addc_u32 s19, s13, s15
	global_load_ubyte v12, v29, s[18:19]
	s_add_u32 s14, s14, 1
	s_addc_u32 s15, s15, 0
	s_waitcnt vmcnt(0)
	v_and_b32_e32 v28, 0xffff, v12
	v_lshlrev_b64 v[12:13], s0, v[28:29]
	s_add_u32 s0, s0, 8
	s_addc_u32 s1, s1, 0
	v_or_b32_e32 v10, v12, v10
	s_cmp_lg_u32 s17, s14
	v_or_b32_e32 v11, v13, v11
	s_cbranch_scc1 .LBB3_164
	s_branch .LBB3_167
.LBB3_165:                              ;   in Loop: Header=BB3_145 Depth=1
	s_mov_b32 s16, 0
	s_branch .LBB3_168
.LBB3_166:                              ;   in Loop: Header=BB3_145 Depth=1
	v_mov_b64_e32 v[10:11], 0
.LBB3_167:                              ;   in Loop: Header=BB3_145 Depth=1
	s_mov_b64 s[0:1], s[12:13]
	s_mov_b32 s16, 0
	s_cbranch_execnz .LBB3_169
.LBB3_168:                              ;   in Loop: Header=BB3_145 Depth=1
	global_load_dwordx2 v[10:11], v29, s[12:13]
	s_add_i32 s16, s17, -8
.LBB3_169:                              ;   in Loop: Header=BB3_145 Depth=1
	s_add_u32 s12, s0, 8
	s_addc_u32 s13, s1, 0
	s_cmp_gt_u32 s16, 7
	s_cbranch_scc1 .LBB3_173
; %bb.170:                              ;   in Loop: Header=BB3_145 Depth=1
	s_cmp_eq_u32 s16, 0
	s_cbranch_scc1 .LBB3_174
; %bb.171:                              ;   in Loop: Header=BB3_145 Depth=1
	s_mov_b64 s[12:13], 0
	v_mov_b64_e32 v[12:13], 0
	s_mov_b64 s[14:15], 0
.LBB3_172:                              ;   Parent Loop BB3_145 Depth=1
                                        ; =>  This Inner Loop Header: Depth=2
	s_add_u32 s18, s0, s14
	s_addc_u32 s19, s1, s15
	global_load_ubyte v14, v29, s[18:19]
	s_add_u32 s14, s14, 1
	s_addc_u32 s15, s15, 0
	s_waitcnt vmcnt(0)
	v_and_b32_e32 v28, 0xffff, v14
	v_lshlrev_b64 v[14:15], s12, v[28:29]
	s_add_u32 s12, s12, 8
	s_addc_u32 s13, s13, 0
	v_or_b32_e32 v12, v14, v12
	s_cmp_lg_u32 s16, s14
	v_or_b32_e32 v13, v15, v13
	s_cbranch_scc1 .LBB3_172
	s_branch .LBB3_175
.LBB3_173:                              ;   in Loop: Header=BB3_145 Depth=1
                                        ; implicit-def: $vgpr12_vgpr13
	s_mov_b32 s17, 0
	s_branch .LBB3_176
.LBB3_174:                              ;   in Loop: Header=BB3_145 Depth=1
	v_mov_b64_e32 v[12:13], 0
.LBB3_175:                              ;   in Loop: Header=BB3_145 Depth=1
	s_mov_b64 s[12:13], s[0:1]
	s_mov_b32 s17, 0
	s_cbranch_execnz .LBB3_177
.LBB3_176:                              ;   in Loop: Header=BB3_145 Depth=1
	global_load_dwordx2 v[12:13], v29, s[0:1]
	s_add_i32 s17, s16, -8
.LBB3_177:                              ;   in Loop: Header=BB3_145 Depth=1
	s_add_u32 s0, s12, 8
	s_addc_u32 s1, s13, 0
	s_cmp_gt_u32 s17, 7
	s_cbranch_scc1 .LBB3_181
; %bb.178:                              ;   in Loop: Header=BB3_145 Depth=1
	s_cmp_eq_u32 s17, 0
	s_cbranch_scc1 .LBB3_182
; %bb.179:                              ;   in Loop: Header=BB3_145 Depth=1
	s_mov_b64 s[0:1], 0
	v_mov_b64_e32 v[14:15], 0
	s_mov_b64 s[14:15], 0
.LBB3_180:                              ;   Parent Loop BB3_145 Depth=1
                                        ; =>  This Inner Loop Header: Depth=2
	s_add_u32 s18, s12, s14
	s_addc_u32 s19, s13, s15
	global_load_ubyte v16, v29, s[18:19]
	s_add_u32 s14, s14, 1
	s_addc_u32 s15, s15, 0
	s_waitcnt vmcnt(0)
	v_and_b32_e32 v28, 0xffff, v16
	v_lshlrev_b64 v[16:17], s0, v[28:29]
	s_add_u32 s0, s0, 8
	s_addc_u32 s1, s1, 0
	v_or_b32_e32 v14, v16, v14
	s_cmp_lg_u32 s17, s14
	v_or_b32_e32 v15, v17, v15
	s_cbranch_scc1 .LBB3_180
	s_branch .LBB3_183
.LBB3_181:                              ;   in Loop: Header=BB3_145 Depth=1
	s_mov_b32 s16, 0
	s_branch .LBB3_184
.LBB3_182:                              ;   in Loop: Header=BB3_145 Depth=1
	v_mov_b64_e32 v[14:15], 0
.LBB3_183:                              ;   in Loop: Header=BB3_145 Depth=1
	s_mov_b64 s[0:1], s[12:13]
	s_mov_b32 s16, 0
	s_cbranch_execnz .LBB3_185
.LBB3_184:                              ;   in Loop: Header=BB3_145 Depth=1
	global_load_dwordx2 v[14:15], v29, s[12:13]
	s_add_i32 s16, s17, -8
.LBB3_185:                              ;   in Loop: Header=BB3_145 Depth=1
	s_add_u32 s12, s0, 8
	s_addc_u32 s13, s1, 0
	s_cmp_gt_u32 s16, 7
	s_cbranch_scc1 .LBB3_189
; %bb.186:                              ;   in Loop: Header=BB3_145 Depth=1
	s_cmp_eq_u32 s16, 0
	s_cbranch_scc1 .LBB3_190
; %bb.187:                              ;   in Loop: Header=BB3_145 Depth=1
	s_mov_b64 s[12:13], 0
	v_mov_b64_e32 v[16:17], 0
	s_mov_b64 s[14:15], 0
.LBB3_188:                              ;   Parent Loop BB3_145 Depth=1
                                        ; =>  This Inner Loop Header: Depth=2
	s_add_u32 s18, s0, s14
	s_addc_u32 s19, s1, s15
	global_load_ubyte v18, v29, s[18:19]
	s_add_u32 s14, s14, 1
	s_addc_u32 s15, s15, 0
	s_waitcnt vmcnt(0)
	v_and_b32_e32 v28, 0xffff, v18
	v_lshlrev_b64 v[18:19], s12, v[28:29]
	s_add_u32 s12, s12, 8
	s_addc_u32 s13, s13, 0
	v_or_b32_e32 v16, v18, v16
	s_cmp_lg_u32 s16, s14
	v_or_b32_e32 v17, v19, v17
	s_cbranch_scc1 .LBB3_188
	s_branch .LBB3_191
.LBB3_189:                              ;   in Loop: Header=BB3_145 Depth=1
                                        ; implicit-def: $vgpr16_vgpr17
	s_mov_b32 s17, 0
	s_branch .LBB3_192
.LBB3_190:                              ;   in Loop: Header=BB3_145 Depth=1
	v_mov_b64_e32 v[16:17], 0
.LBB3_191:                              ;   in Loop: Header=BB3_145 Depth=1
	s_mov_b64 s[12:13], s[0:1]
	s_mov_b32 s17, 0
	s_cbranch_execnz .LBB3_193
.LBB3_192:                              ;   in Loop: Header=BB3_145 Depth=1
	global_load_dwordx2 v[16:17], v29, s[0:1]
	s_add_i32 s17, s16, -8
.LBB3_193:                              ;   in Loop: Header=BB3_145 Depth=1
	s_cmp_gt_u32 s17, 7
	s_cbranch_scc1 .LBB3_197
; %bb.194:                              ;   in Loop: Header=BB3_145 Depth=1
	s_cmp_eq_u32 s17, 0
	s_cbranch_scc1 .LBB3_198
; %bb.195:                              ;   in Loop: Header=BB3_145 Depth=1
	s_mov_b64 s[0:1], 0
	v_mov_b64_e32 v[18:19], 0
	s_mov_b64 s[14:15], s[12:13]
.LBB3_196:                              ;   Parent Loop BB3_145 Depth=1
                                        ; =>  This Inner Loop Header: Depth=2
	global_load_ubyte v20, v29, s[14:15]
	s_add_i32 s17, s17, -1
	s_waitcnt vmcnt(0)
	v_and_b32_e32 v28, 0xffff, v20
	v_lshlrev_b64 v[20:21], s0, v[28:29]
	s_add_u32 s0, s0, 8
	s_addc_u32 s1, s1, 0
	s_add_u32 s14, s14, 1
	s_addc_u32 s15, s15, 0
	v_or_b32_e32 v18, v20, v18
	s_cmp_lg_u32 s17, 0
	v_or_b32_e32 v19, v21, v19
	s_cbranch_scc1 .LBB3_196
	s_branch .LBB3_199
.LBB3_197:                              ;   in Loop: Header=BB3_145 Depth=1
	s_branch .LBB3_200
.LBB3_198:                              ;   in Loop: Header=BB3_145 Depth=1
	v_mov_b64_e32 v[18:19], 0
.LBB3_199:                              ;   in Loop: Header=BB3_145 Depth=1
	s_cbranch_execnz .LBB3_201
.LBB3_200:                              ;   in Loop: Header=BB3_145 Depth=1
	global_load_dwordx2 v[18:19], v29, s[12:13]
.LBB3_201:                              ;   in Loop: Header=BB3_145 Depth=1
	v_readfirstlane_b32 s0, v1
	v_mov_b64_e32 v[30:31], 0
	s_nop 0
	v_cmp_eq_u32_e64 s[0:1], s0, v1
	s_and_saveexec_b64 s[12:13], s[0:1]
	s_cbranch_execz .LBB3_207
; %bb.202:                              ;   in Loop: Header=BB3_145 Depth=1
	global_load_dwordx2 v[22:23], v29, s[2:3] offset:24 sc0 sc1
	s_waitcnt vmcnt(0)
	buffer_inv sc0 sc1
	global_load_dwordx2 v[20:21], v29, s[2:3] offset:40
	global_load_dwordx2 v[30:31], v29, s[2:3]
	s_waitcnt vmcnt(1)
	v_and_b32_e32 v20, v20, v22
	v_and_b32_e32 v21, v21, v23
	v_mul_lo_u32 v21, v21, 24
	v_mul_hi_u32 v25, v20, 24
	v_add_u32_e32 v21, v25, v21
	v_mul_lo_u32 v20, v20, 24
	s_waitcnt vmcnt(0)
	v_lshl_add_u64 v[20:21], v[30:31], 0, v[20:21]
	global_load_dwordx2 v[20:21], v[20:21], off sc0 sc1
	s_waitcnt vmcnt(0)
	global_atomic_cmpswap_x2 v[30:31], v29, v[20:23], s[2:3] offset:24 sc0 sc1
	s_waitcnt vmcnt(0)
	buffer_inv sc0 sc1
	v_cmp_ne_u64_e32 vcc, v[30:31], v[22:23]
	s_and_saveexec_b64 s[14:15], vcc
	s_cbranch_execz .LBB3_206
; %bb.203:                              ;   in Loop: Header=BB3_145 Depth=1
	s_mov_b64 s[16:17], 0
.LBB3_204:                              ;   Parent Loop BB3_145 Depth=1
                                        ; =>  This Inner Loop Header: Depth=2
	s_sleep 1
	global_load_dwordx2 v[20:21], v29, s[2:3] offset:40
	global_load_dwordx2 v[32:33], v29, s[2:3]
	v_mov_b64_e32 v[22:23], v[30:31]
	s_waitcnt vmcnt(1)
	v_and_b32_e32 v20, v20, v22
	v_and_b32_e32 v25, v21, v23
	s_waitcnt vmcnt(0)
	v_mad_u64_u32 v[20:21], s[18:19], v20, 24, v[32:33]
	v_mov_b32_e32 v28, v21
	v_mad_u64_u32 v[30:31], s[18:19], v25, 24, v[28:29]
	v_mov_b32_e32 v21, v30
	global_load_dwordx2 v[20:21], v[20:21], off sc0 sc1
	s_waitcnt vmcnt(0)
	global_atomic_cmpswap_x2 v[30:31], v29, v[20:23], s[2:3] offset:24 sc0 sc1
	s_waitcnt vmcnt(0)
	buffer_inv sc0 sc1
	v_cmp_eq_u64_e32 vcc, v[30:31], v[22:23]
	s_or_b64 s[16:17], vcc, s[16:17]
	s_andn2_b64 exec, exec, s[16:17]
	s_cbranch_execnz .LBB3_204
; %bb.205:                              ;   in Loop: Header=BB3_145 Depth=1
	s_or_b64 exec, exec, s[16:17]
.LBB3_206:                              ;   in Loop: Header=BB3_145 Depth=1
	s_or_b64 exec, exec, s[14:15]
.LBB3_207:                              ;   in Loop: Header=BB3_145 Depth=1
	s_or_b64 exec, exec, s[12:13]
	global_load_dwordx2 v[32:33], v29, s[2:3] offset:40
	global_load_dwordx4 v[20:23], v29, s[2:3]
	v_readfirstlane_b32 s13, v31
	v_readfirstlane_b32 s12, v30
	s_mov_b64 s[14:15], exec
	s_waitcnt vmcnt(1)
	v_readfirstlane_b32 s16, v32
	v_readfirstlane_b32 s17, v33
	s_and_b64 s[16:17], s[16:17], s[12:13]
	s_mul_i32 s18, s17, 24
	s_mul_hi_u32 s19, s16, 24
	s_add_i32 s19, s19, s18
	s_mul_i32 s18, s16, 24
	s_waitcnt vmcnt(0)
	v_lshl_add_u64 v[30:31], v[20:21], 0, s[18:19]
	s_and_saveexec_b64 s[18:19], s[0:1]
	s_cbranch_execz .LBB3_209
; %bb.208:                              ;   in Loop: Header=BB3_145 Depth=1
	v_mov_b64_e32 v[32:33], s[14:15]
	global_store_dwordx4 v[30:31], v[32:35], off offset:8
.LBB3_209:                              ;   in Loop: Header=BB3_145 Depth=1
	s_or_b64 exec, exec, s[18:19]
	s_lshl_b64 s[14:15], s[16:17], 12
	v_lshl_add_u64 v[22:23], v[22:23], 0, s[14:15]
	v_cmp_lt_u64_e64 vcc, s[4:5], 57
	s_lshl_b32 s14, s10, 2
	s_add_i32 s14, s14, 28
	v_cndmask_b32_e32 v25, 0, v26, vcc
	v_and_b32_e32 v4, 0xffffff1f, v4
	s_and_b32 s14, s14, 0x1e0
	v_or_b32_e32 v4, v4, v25
	v_or_b32_e32 v4, s14, v4
	v_readfirstlane_b32 s14, v22
	v_readfirstlane_b32 s15, v23
	s_nop 4
	global_store_dwordx4 v24, v[4:7], s[14:15]
	global_store_dwordx4 v24, v[8:11], s[14:15] offset:16
	global_store_dwordx4 v24, v[12:15], s[14:15] offset:32
	;; [unrolled: 1-line block ×3, first 2 shown]
	s_and_saveexec_b64 s[14:15], s[0:1]
	s_cbranch_execz .LBB3_217
; %bb.210:                              ;   in Loop: Header=BB3_145 Depth=1
	global_load_dwordx2 v[12:13], v29, s[2:3] offset:32 sc0 sc1
	global_load_dwordx2 v[4:5], v29, s[2:3] offset:40
	v_mov_b32_e32 v10, s12
	v_mov_b32_e32 v11, s13
	s_waitcnt vmcnt(0)
	v_readfirstlane_b32 s16, v4
	v_readfirstlane_b32 s17, v5
	s_and_b64 s[16:17], s[16:17], s[12:13]
	s_mul_i32 s17, s17, 24
	s_mul_hi_u32 s18, s16, 24
	s_mul_i32 s16, s16, 24
	s_add_i32 s17, s18, s17
	v_lshl_add_u64 v[8:9], v[20:21], 0, s[16:17]
	global_store_dwordx2 v[8:9], v[12:13], off
	buffer_wbl2 sc0 sc1
	s_waitcnt vmcnt(0)
	global_atomic_cmpswap_x2 v[6:7], v29, v[10:13], s[2:3] offset:32 sc0 sc1
	s_waitcnt vmcnt(0)
	v_cmp_ne_u64_e32 vcc, v[6:7], v[12:13]
	s_and_saveexec_b64 s[16:17], vcc
	s_cbranch_execz .LBB3_213
; %bb.211:                              ;   in Loop: Header=BB3_145 Depth=1
	s_mov_b64 s[18:19], 0
.LBB3_212:                              ;   Parent Loop BB3_145 Depth=1
                                        ; =>  This Inner Loop Header: Depth=2
	s_sleep 1
	global_store_dwordx2 v[8:9], v[6:7], off
	v_mov_b32_e32 v4, s12
	v_mov_b32_e32 v5, s13
	buffer_wbl2 sc0 sc1
	s_waitcnt vmcnt(0)
	global_atomic_cmpswap_x2 v[4:5], v29, v[4:7], s[2:3] offset:32 sc0 sc1
	s_waitcnt vmcnt(0)
	v_cmp_eq_u64_e32 vcc, v[4:5], v[6:7]
	s_or_b64 s[18:19], vcc, s[18:19]
	v_mov_b64_e32 v[6:7], v[4:5]
	s_andn2_b64 exec, exec, s[18:19]
	s_cbranch_execnz .LBB3_212
.LBB3_213:                              ;   in Loop: Header=BB3_145 Depth=1
	s_or_b64 exec, exec, s[16:17]
	global_load_dwordx2 v[4:5], v29, s[2:3] offset:16
	s_mov_b64 s[18:19], exec
	v_mbcnt_lo_u32_b32 v6, s18, 0
	v_mbcnt_hi_u32_b32 v6, s19, v6
	v_cmp_eq_u32_e32 vcc, 0, v6
	s_and_saveexec_b64 s[16:17], vcc
	s_cbranch_execz .LBB3_215
; %bb.214:                              ;   in Loop: Header=BB3_145 Depth=1
	s_bcnt1_i32_b64 s18, s[18:19]
	v_mov_b32_e32 v28, s18
	buffer_wbl2 sc0 sc1
	s_waitcnt vmcnt(0)
	global_atomic_add_x2 v[4:5], v[28:29], off offset:8 sc1
.LBB3_215:                              ;   in Loop: Header=BB3_145 Depth=1
	s_or_b64 exec, exec, s[16:17]
	s_waitcnt vmcnt(0)
	global_load_dwordx2 v[6:7], v[4:5], off offset:16
	s_waitcnt vmcnt(0)
	v_cmp_eq_u64_e32 vcc, 0, v[6:7]
	s_cbranch_vccnz .LBB3_217
; %bb.216:                              ;   in Loop: Header=BB3_145 Depth=1
	global_load_dword v28, v[4:5], off offset:24
	s_waitcnt vmcnt(0)
	v_readfirstlane_b32 s16, v28
	s_and_b32 m0, s16, 0xffffff
	buffer_wbl2 sc0 sc1
	global_store_dwordx2 v[6:7], v[28:29], off sc0 sc1
	s_sendmsg sendmsg(MSG_INTERRUPT)
.LBB3_217:                              ;   in Loop: Header=BB3_145 Depth=1
	s_or_b64 exec, exec, s[14:15]
	v_mov_b32_e32 v25, v29
	v_lshl_add_u64 v[4:5], v[22:23], 0, v[24:25]
	s_branch .LBB3_221
.LBB3_218:                              ;   in Loop: Header=BB3_221 Depth=2
	s_or_b64 exec, exec, s[14:15]
	v_readfirstlane_b32 s14, v6
	s_cmp_eq_u32 s14, 0
	s_cbranch_scc1 .LBB3_220
; %bb.219:                              ;   in Loop: Header=BB3_221 Depth=2
	s_sleep 1
	s_cbranch_execnz .LBB3_221
	s_branch .LBB3_223
.LBB3_220:                              ;   in Loop: Header=BB3_145 Depth=1
	s_branch .LBB3_223
.LBB3_221:                              ;   Parent Loop BB3_145 Depth=1
                                        ; =>  This Inner Loop Header: Depth=2
	v_mov_b32_e32 v6, 1
	s_and_saveexec_b64 s[14:15], s[0:1]
	s_cbranch_execz .LBB3_218
; %bb.222:                              ;   in Loop: Header=BB3_221 Depth=2
	global_load_dword v6, v[30:31], off offset:20 sc0 sc1
	s_waitcnt vmcnt(0)
	buffer_inv sc0 sc1
	v_and_b32_e32 v6, 1, v6
	s_branch .LBB3_218
.LBB3_223:                              ;   in Loop: Header=BB3_145 Depth=1
	global_load_dwordx2 v[4:5], v[4:5], off
	s_and_saveexec_b64 s[14:15], s[0:1]
	s_cbranch_execz .LBB3_144
; %bb.224:                              ;   in Loop: Header=BB3_145 Depth=1
	global_load_dwordx2 v[6:7], v29, s[2:3] offset:40
	global_load_dwordx2 v[14:15], v29, s[2:3] offset:24 sc0 sc1
	global_load_dwordx2 v[8:9], v29, s[2:3]
	s_waitcnt vmcnt(2)
	v_readfirstlane_b32 s16, v6
	v_readfirstlane_b32 s17, v7
	s_add_u32 s18, s16, 1
	s_addc_u32 s19, s17, 0
	s_add_u32 s0, s18, s12
	s_addc_u32 s1, s19, s13
	s_cmp_eq_u64 s[0:1], 0
	s_cselect_b32 s1, s19, s1
	s_cselect_b32 s0, s18, s0
	s_and_b64 s[12:13], s[0:1], s[16:17]
	s_mul_i32 s13, s13, 24
	s_mul_hi_u32 s16, s12, 24
	s_mul_i32 s12, s12, 24
	s_add_i32 s13, s16, s13
	s_waitcnt vmcnt(0)
	v_lshl_add_u64 v[10:11], v[8:9], 0, s[12:13]
	v_mov_b32_e32 v12, s0
	global_store_dwordx2 v[10:11], v[14:15], off
	v_mov_b32_e32 v13, s1
	buffer_wbl2 sc0 sc1
	s_waitcnt vmcnt(0)
	global_atomic_cmpswap_x2 v[8:9], v29, v[12:15], s[2:3] offset:24 sc0 sc1
	s_waitcnt vmcnt(0)
	v_cmp_ne_u64_e32 vcc, v[8:9], v[14:15]
	s_and_b64 exec, exec, vcc
	s_cbranch_execz .LBB3_144
; %bb.225:                              ;   in Loop: Header=BB3_145 Depth=1
	s_mov_b64 s[12:13], 0
.LBB3_226:                              ;   Parent Loop BB3_145 Depth=1
                                        ; =>  This Inner Loop Header: Depth=2
	s_sleep 1
	global_store_dwordx2 v[10:11], v[8:9], off
	v_mov_b32_e32 v6, s0
	v_mov_b32_e32 v7, s1
	buffer_wbl2 sc0 sc1
	s_waitcnt vmcnt(0)
	global_atomic_cmpswap_x2 v[6:7], v29, v[6:9], s[2:3] offset:24 sc0 sc1
	s_waitcnt vmcnt(0)
	v_cmp_eq_u64_e32 vcc, v[6:7], v[8:9]
	s_or_b64 s[12:13], vcc, s[12:13]
	v_mov_b64_e32 v[8:9], v[6:7]
	s_andn2_b64 exec, exec, s[12:13]
	s_cbranch_execnz .LBB3_226
	s_branch .LBB3_144
.LBB3_227:
                                        ; implicit-def: $vgpr4_vgpr5
	s_cbranch_execnz .LBB3_229
	s_branch .LBB3_255
.LBB3_228:
	s_branch .LBB3_255
.LBB3_229:
	v_readfirstlane_b32 s0, v1
	s_waitcnt vmcnt(0)
	v_mov_b64_e32 v[4:5], 0
	v_cmp_eq_u32_e64 s[0:1], s0, v1
	s_and_saveexec_b64 s[4:5], s[0:1]
	s_cbranch_execz .LBB3_235
; %bb.230:
	v_mov_b32_e32 v6, 0
	global_load_dwordx2 v[10:11], v6, s[2:3] offset:24 sc0 sc1
	s_waitcnt vmcnt(0)
	buffer_inv sc0 sc1
	global_load_dwordx2 v[4:5], v6, s[2:3] offset:40
	global_load_dwordx2 v[8:9], v6, s[2:3]
	s_waitcnt vmcnt(1)
	v_and_b32_e32 v4, v4, v10
	v_and_b32_e32 v5, v5, v11
	v_mul_lo_u32 v5, v5, 24
	v_mul_hi_u32 v7, v4, 24
	v_add_u32_e32 v5, v7, v5
	v_mul_lo_u32 v4, v4, 24
	s_waitcnt vmcnt(0)
	v_lshl_add_u64 v[4:5], v[8:9], 0, v[4:5]
	global_load_dwordx2 v[8:9], v[4:5], off sc0 sc1
	s_waitcnt vmcnt(0)
	global_atomic_cmpswap_x2 v[4:5], v6, v[8:11], s[2:3] offset:24 sc0 sc1
	s_waitcnt vmcnt(0)
	buffer_inv sc0 sc1
	v_cmp_ne_u64_e32 vcc, v[4:5], v[10:11]
	s_and_saveexec_b64 s[6:7], vcc
	s_cbranch_execz .LBB3_234
; %bb.231:
	s_mov_b64 s[10:11], 0
.LBB3_232:                              ; =>This Inner Loop Header: Depth=1
	s_sleep 1
	global_load_dwordx2 v[8:9], v6, s[2:3] offset:40
	global_load_dwordx2 v[12:13], v6, s[2:3]
	v_mov_b64_e32 v[10:11], v[4:5]
	s_waitcnt vmcnt(1)
	v_and_b32_e32 v4, v8, v10
	s_waitcnt vmcnt(0)
	v_mad_u64_u32 v[4:5], s[12:13], v4, 24, v[12:13]
	v_and_b32_e32 v7, v9, v11
	v_mov_b32_e32 v8, v5
	v_mad_u64_u32 v[8:9], s[12:13], v7, 24, v[8:9]
	v_mov_b32_e32 v5, v8
	global_load_dwordx2 v[8:9], v[4:5], off sc0 sc1
	s_waitcnt vmcnt(0)
	global_atomic_cmpswap_x2 v[4:5], v6, v[8:11], s[2:3] offset:24 sc0 sc1
	s_waitcnt vmcnt(0)
	buffer_inv sc0 sc1
	v_cmp_eq_u64_e32 vcc, v[4:5], v[10:11]
	s_or_b64 s[10:11], vcc, s[10:11]
	s_andn2_b64 exec, exec, s[10:11]
	s_cbranch_execnz .LBB3_232
; %bb.233:
	s_or_b64 exec, exec, s[10:11]
.LBB3_234:
	s_or_b64 exec, exec, s[6:7]
.LBB3_235:
	s_or_b64 exec, exec, s[4:5]
	v_mov_b32_e32 v25, 0
	global_load_dwordx2 v[10:11], v25, s[2:3] offset:40
	global_load_dwordx4 v[6:9], v25, s[2:3]
	v_readfirstlane_b32 s5, v5
	v_readfirstlane_b32 s4, v4
	s_mov_b64 s[6:7], exec
	s_waitcnt vmcnt(1)
	v_readfirstlane_b32 s10, v10
	v_readfirstlane_b32 s11, v11
	s_and_b64 s[10:11], s[10:11], s[4:5]
	s_mul_i32 s12, s11, 24
	s_mul_hi_u32 s13, s10, 24
	s_add_i32 s13, s13, s12
	s_mul_i32 s12, s10, 24
	s_waitcnt vmcnt(0)
	v_lshl_add_u64 v[10:11], v[6:7], 0, s[12:13]
	s_and_saveexec_b64 s[12:13], s[0:1]
	s_cbranch_execz .LBB3_237
; %bb.236:
	v_mov_b64_e32 v[12:13], s[6:7]
	v_mov_b32_e32 v14, 2
	v_mov_b32_e32 v15, 1
	global_store_dwordx4 v[10:11], v[12:15], off offset:8
.LBB3_237:
	s_or_b64 exec, exec, s[12:13]
	s_lshl_b64 s[6:7], s[10:11], 12
	v_lshl_add_u64 v[8:9], v[8:9], 0, s[6:7]
	s_movk_i32 s6, 0xff1f
	s_mov_b32 s12, 0
	v_and_or_b32 v2, v2, s6, 32
	v_mov_b32_e32 v4, v25
	v_mov_b32_e32 v5, v25
	v_readfirstlane_b32 s6, v8
	v_readfirstlane_b32 s7, v9
	s_mov_b32 s13, s12
	s_mov_b32 s14, s12
	;; [unrolled: 1-line block ×3, first 2 shown]
	s_nop 1
	global_store_dwordx4 v24, v[2:5], s[6:7]
	s_nop 1
	v_mov_b64_e32 v[2:3], s[12:13]
	v_mov_b64_e32 v[4:5], s[14:15]
	global_store_dwordx4 v24, v[2:5], s[6:7] offset:16
	global_store_dwordx4 v24, v[2:5], s[6:7] offset:32
	;; [unrolled: 1-line block ×3, first 2 shown]
	s_and_saveexec_b64 s[6:7], s[0:1]
	s_cbranch_execz .LBB3_245
; %bb.238:
	v_mov_b32_e32 v12, 0
	global_load_dwordx2 v[16:17], v12, s[2:3] offset:32 sc0 sc1
	global_load_dwordx2 v[2:3], v12, s[2:3] offset:40
	v_mov_b32_e32 v14, s4
	v_mov_b32_e32 v15, s5
	s_waitcnt vmcnt(0)
	v_readfirstlane_b32 s10, v2
	v_readfirstlane_b32 s11, v3
	s_and_b64 s[10:11], s[10:11], s[4:5]
	s_mul_i32 s11, s11, 24
	s_mul_hi_u32 s12, s10, 24
	s_mul_i32 s10, s10, 24
	s_add_i32 s11, s12, s11
	v_lshl_add_u64 v[6:7], v[6:7], 0, s[10:11]
	global_store_dwordx2 v[6:7], v[16:17], off
	buffer_wbl2 sc0 sc1
	s_waitcnt vmcnt(0)
	global_atomic_cmpswap_x2 v[4:5], v12, v[14:17], s[2:3] offset:32 sc0 sc1
	s_waitcnt vmcnt(0)
	v_cmp_ne_u64_e32 vcc, v[4:5], v[16:17]
	s_and_saveexec_b64 s[10:11], vcc
	s_cbranch_execz .LBB3_241
; %bb.239:
	s_mov_b64 s[12:13], 0
.LBB3_240:                              ; =>This Inner Loop Header: Depth=1
	s_sleep 1
	global_store_dwordx2 v[6:7], v[4:5], off
	v_mov_b32_e32 v2, s4
	v_mov_b32_e32 v3, s5
	buffer_wbl2 sc0 sc1
	s_waitcnt vmcnt(0)
	global_atomic_cmpswap_x2 v[2:3], v12, v[2:5], s[2:3] offset:32 sc0 sc1
	s_waitcnt vmcnt(0)
	v_cmp_eq_u64_e32 vcc, v[2:3], v[4:5]
	s_or_b64 s[12:13], vcc, s[12:13]
	v_mov_b64_e32 v[4:5], v[2:3]
	s_andn2_b64 exec, exec, s[12:13]
	s_cbranch_execnz .LBB3_240
.LBB3_241:
	s_or_b64 exec, exec, s[10:11]
	v_mov_b32_e32 v5, 0
	global_load_dwordx2 v[2:3], v5, s[2:3] offset:16
	s_mov_b64 s[10:11], exec
	v_mbcnt_lo_u32_b32 v4, s10, 0
	v_mbcnt_hi_u32_b32 v4, s11, v4
	v_cmp_eq_u32_e32 vcc, 0, v4
	s_and_saveexec_b64 s[12:13], vcc
	s_cbranch_execz .LBB3_243
; %bb.242:
	s_bcnt1_i32_b64 s10, s[10:11]
	v_mov_b32_e32 v4, s10
	buffer_wbl2 sc0 sc1
	s_waitcnt vmcnt(0)
	global_atomic_add_x2 v[2:3], v[4:5], off offset:8 sc1
.LBB3_243:
	s_or_b64 exec, exec, s[12:13]
	s_waitcnt vmcnt(0)
	global_load_dwordx2 v[4:5], v[2:3], off offset:16
	s_waitcnt vmcnt(0)
	v_cmp_eq_u64_e32 vcc, 0, v[4:5]
	s_cbranch_vccnz .LBB3_245
; %bb.244:
	global_load_dword v2, v[2:3], off offset:24
	v_mov_b32_e32 v3, 0
	s_waitcnt vmcnt(0)
	v_readfirstlane_b32 s10, v2
	s_and_b32 m0, s10, 0xffffff
	buffer_wbl2 sc0 sc1
	global_store_dwordx2 v[4:5], v[2:3], off sc0 sc1
	s_sendmsg sendmsg(MSG_INTERRUPT)
.LBB3_245:
	s_or_b64 exec, exec, s[6:7]
	v_lshl_add_u64 v[2:3], v[8:9], 0, v[24:25]
	s_branch .LBB3_249
.LBB3_246:                              ;   in Loop: Header=BB3_249 Depth=1
	s_or_b64 exec, exec, s[6:7]
	v_readfirstlane_b32 s6, v4
	s_cmp_eq_u32 s6, 0
	s_cbranch_scc1 .LBB3_248
; %bb.247:                              ;   in Loop: Header=BB3_249 Depth=1
	s_sleep 1
	s_cbranch_execnz .LBB3_249
	s_branch .LBB3_251
.LBB3_248:
	s_branch .LBB3_251
.LBB3_249:                              ; =>This Inner Loop Header: Depth=1
	v_mov_b32_e32 v4, 1
	s_and_saveexec_b64 s[6:7], s[0:1]
	s_cbranch_execz .LBB3_246
; %bb.250:                              ;   in Loop: Header=BB3_249 Depth=1
	global_load_dword v4, v[10:11], off offset:20 sc0 sc1
	s_waitcnt vmcnt(0)
	buffer_inv sc0 sc1
	v_and_b32_e32 v4, 1, v4
	s_branch .LBB3_246
.LBB3_251:
	global_load_dwordx2 v[4:5], v[2:3], off
	s_and_saveexec_b64 s[6:7], s[0:1]
	s_cbranch_execz .LBB3_254
; %bb.252:
	v_mov_b32_e32 v10, 0
	global_load_dwordx2 v[2:3], v10, s[2:3] offset:40
	global_load_dwordx2 v[14:15], v10, s[2:3] offset:24 sc0 sc1
	global_load_dwordx2 v[6:7], v10, s[2:3]
	s_waitcnt vmcnt(2)
	v_readfirstlane_b32 s10, v2
	v_readfirstlane_b32 s11, v3
	s_add_u32 s12, s10, 1
	s_addc_u32 s13, s11, 0
	s_add_u32 s0, s12, s4
	s_addc_u32 s1, s13, s5
	s_cmp_eq_u64 s[0:1], 0
	s_cselect_b32 s1, s13, s1
	s_cselect_b32 s0, s12, s0
	s_and_b64 s[4:5], s[0:1], s[10:11]
	s_mul_i32 s5, s5, 24
	s_mul_hi_u32 s10, s4, 24
	s_mul_i32 s4, s4, 24
	s_add_i32 s5, s10, s5
	s_waitcnt vmcnt(0)
	v_lshl_add_u64 v[2:3], v[6:7], 0, s[4:5]
	v_mov_b32_e32 v12, s0
	global_store_dwordx2 v[2:3], v[14:15], off
	v_mov_b32_e32 v13, s1
	buffer_wbl2 sc0 sc1
	s_waitcnt vmcnt(0)
	global_atomic_cmpswap_x2 v[8:9], v10, v[12:15], s[2:3] offset:24 sc0 sc1
	s_mov_b64 s[4:5], 0
	s_waitcnt vmcnt(0)
	v_cmp_ne_u64_e32 vcc, v[8:9], v[14:15]
	s_and_b64 exec, exec, vcc
	s_cbranch_execz .LBB3_254
.LBB3_253:                              ; =>This Inner Loop Header: Depth=1
	s_sleep 1
	global_store_dwordx2 v[2:3], v[8:9], off
	v_mov_b32_e32 v6, s0
	v_mov_b32_e32 v7, s1
	buffer_wbl2 sc0 sc1
	s_waitcnt vmcnt(0)
	global_atomic_cmpswap_x2 v[6:7], v10, v[6:9], s[2:3] offset:24 sc0 sc1
	s_waitcnt vmcnt(0)
	v_cmp_eq_u64_e32 vcc, v[6:7], v[8:9]
	s_or_b64 s[4:5], vcc, s[4:5]
	v_mov_b64_e32 v[8:9], v[6:7]
	s_andn2_b64 exec, exec, s[4:5]
	s_cbranch_execnz .LBB3_253
.LBB3_254:
	s_or_b64 exec, exec, s[6:7]
.LBB3_255:
	v_readfirstlane_b32 s0, v1
	s_waitcnt vmcnt(0)
	v_mov_b64_e32 v[2:3], 0
	v_cmp_eq_u32_e64 s[0:1], s0, v1
	s_and_saveexec_b64 s[4:5], s[0:1]
	s_cbranch_execz .LBB3_261
; %bb.256:
	v_mov_b32_e32 v1, 0
	global_load_dwordx2 v[8:9], v1, s[2:3] offset:24 sc0 sc1
	s_waitcnt vmcnt(0)
	buffer_inv sc0 sc1
	global_load_dwordx2 v[2:3], v1, s[2:3] offset:40
	global_load_dwordx2 v[6:7], v1, s[2:3]
	s_waitcnt vmcnt(1)
	v_and_b32_e32 v2, v2, v8
	v_and_b32_e32 v3, v3, v9
	v_mul_lo_u32 v3, v3, 24
	v_mul_hi_u32 v10, v2, 24
	v_add_u32_e32 v3, v10, v3
	v_mul_lo_u32 v2, v2, 24
	s_waitcnt vmcnt(0)
	v_lshl_add_u64 v[2:3], v[6:7], 0, v[2:3]
	global_load_dwordx2 v[6:7], v[2:3], off sc0 sc1
	s_waitcnt vmcnt(0)
	global_atomic_cmpswap_x2 v[2:3], v1, v[6:9], s[2:3] offset:24 sc0 sc1
	s_waitcnt vmcnt(0)
	buffer_inv sc0 sc1
	v_cmp_ne_u64_e32 vcc, v[2:3], v[8:9]
	s_and_saveexec_b64 s[6:7], vcc
	s_cbranch_execz .LBB3_260
; %bb.257:
	s_mov_b64 s[10:11], 0
.LBB3_258:                              ; =>This Inner Loop Header: Depth=1
	s_sleep 1
	global_load_dwordx2 v[6:7], v1, s[2:3] offset:40
	global_load_dwordx2 v[10:11], v1, s[2:3]
	v_mov_b64_e32 v[8:9], v[2:3]
	s_waitcnt vmcnt(1)
	v_and_b32_e32 v2, v6, v8
	s_waitcnt vmcnt(0)
	v_mad_u64_u32 v[2:3], s[12:13], v2, 24, v[10:11]
	v_and_b32_e32 v7, v7, v9
	v_mov_b32_e32 v6, v3
	v_mad_u64_u32 v[6:7], s[12:13], v7, 24, v[6:7]
	v_mov_b32_e32 v3, v6
	global_load_dwordx2 v[6:7], v[2:3], off sc0 sc1
	s_waitcnt vmcnt(0)
	global_atomic_cmpswap_x2 v[2:3], v1, v[6:9], s[2:3] offset:24 sc0 sc1
	s_waitcnt vmcnt(0)
	buffer_inv sc0 sc1
	v_cmp_eq_u64_e32 vcc, v[2:3], v[8:9]
	s_or_b64 s[10:11], vcc, s[10:11]
	s_andn2_b64 exec, exec, s[10:11]
	s_cbranch_execnz .LBB3_258
; %bb.259:
	s_or_b64 exec, exec, s[10:11]
.LBB3_260:
	s_or_b64 exec, exec, s[6:7]
.LBB3_261:
	s_or_b64 exec, exec, s[4:5]
	v_mov_b32_e32 v25, 0
	global_load_dwordx2 v[6:7], v25, s[2:3] offset:40
	global_load_dwordx4 v[8:11], v25, s[2:3]
	v_readfirstlane_b32 s5, v3
	v_readfirstlane_b32 s4, v2
	s_mov_b64 s[6:7], exec
	s_waitcnt vmcnt(1)
	v_readfirstlane_b32 s10, v6
	v_readfirstlane_b32 s11, v7
	s_and_b64 s[10:11], s[10:11], s[4:5]
	s_mul_i32 s12, s11, 24
	s_mul_hi_u32 s13, s10, 24
	s_add_i32 s13, s13, s12
	s_mul_i32 s12, s10, 24
	s_waitcnt vmcnt(0)
	v_lshl_add_u64 v[12:13], v[8:9], 0, s[12:13]
	s_and_saveexec_b64 s[12:13], s[0:1]
	s_cbranch_execz .LBB3_263
; %bb.262:
	v_mov_b64_e32 v[14:15], s[6:7]
	v_mov_b32_e32 v16, 2
	v_mov_b32_e32 v17, 1
	global_store_dwordx4 v[12:13], v[14:17], off offset:8
.LBB3_263:
	s_or_b64 exec, exec, s[12:13]
	s_mov_b32 s12, 0
	s_lshl_b64 s[6:7], s[10:11], 12
	s_mov_b32 s13, s12
	v_lshl_add_u64 v[10:11], v[10:11], 0, s[6:7]
	s_movk_i32 s6, 0xff1f
	v_mov_b32_e32 v6, v0
	s_mov_b32 s14, s12
	s_mov_b32 s15, s12
	v_mov_b64_e32 v[0:1], s[12:13]
	v_and_or_b32 v4, v4, s6, 32
	v_mov_b32_e32 v7, v25
	v_readfirstlane_b32 s6, v10
	v_readfirstlane_b32 s7, v11
	v_mov_b64_e32 v[2:3], s[14:15]
	s_nop 3
	global_store_dwordx4 v24, v[4:7], s[6:7]
	global_store_dwordx4 v24, v[0:3], s[6:7] offset:16
	global_store_dwordx4 v24, v[0:3], s[6:7] offset:32
	;; [unrolled: 1-line block ×3, first 2 shown]
	s_and_saveexec_b64 s[6:7], s[0:1]
	s_cbranch_execz .LBB3_271
; %bb.264:
	v_mov_b32_e32 v6, 0
	global_load_dwordx2 v[16:17], v6, s[2:3] offset:32 sc0 sc1
	global_load_dwordx2 v[0:1], v6, s[2:3] offset:40
	v_mov_b32_e32 v14, s4
	v_mov_b32_e32 v15, s5
	s_waitcnt vmcnt(0)
	v_readfirstlane_b32 s10, v0
	v_readfirstlane_b32 s11, v1
	s_and_b64 s[10:11], s[10:11], s[4:5]
	s_mul_i32 s11, s11, 24
	s_mul_hi_u32 s12, s10, 24
	s_mul_i32 s10, s10, 24
	s_add_i32 s11, s12, s11
	v_lshl_add_u64 v[4:5], v[8:9], 0, s[10:11]
	global_store_dwordx2 v[4:5], v[16:17], off
	buffer_wbl2 sc0 sc1
	s_waitcnt vmcnt(0)
	global_atomic_cmpswap_x2 v[2:3], v6, v[14:17], s[2:3] offset:32 sc0 sc1
	s_waitcnt vmcnt(0)
	v_cmp_ne_u64_e32 vcc, v[2:3], v[16:17]
	s_and_saveexec_b64 s[10:11], vcc
	s_cbranch_execz .LBB3_267
; %bb.265:
	s_mov_b64 s[12:13], 0
.LBB3_266:                              ; =>This Inner Loop Header: Depth=1
	s_sleep 1
	global_store_dwordx2 v[4:5], v[2:3], off
	v_mov_b32_e32 v0, s4
	v_mov_b32_e32 v1, s5
	buffer_wbl2 sc0 sc1
	s_waitcnt vmcnt(0)
	global_atomic_cmpswap_x2 v[0:1], v6, v[0:3], s[2:3] offset:32 sc0 sc1
	s_waitcnt vmcnt(0)
	v_cmp_eq_u64_e32 vcc, v[0:1], v[2:3]
	s_or_b64 s[12:13], vcc, s[12:13]
	v_mov_b64_e32 v[2:3], v[0:1]
	s_andn2_b64 exec, exec, s[12:13]
	s_cbranch_execnz .LBB3_266
.LBB3_267:
	s_or_b64 exec, exec, s[10:11]
	v_mov_b32_e32 v3, 0
	global_load_dwordx2 v[0:1], v3, s[2:3] offset:16
	s_mov_b64 s[10:11], exec
	v_mbcnt_lo_u32_b32 v2, s10, 0
	v_mbcnt_hi_u32_b32 v2, s11, v2
	v_cmp_eq_u32_e32 vcc, 0, v2
	s_and_saveexec_b64 s[12:13], vcc
	s_cbranch_execz .LBB3_269
; %bb.268:
	s_bcnt1_i32_b64 s10, s[10:11]
	v_mov_b32_e32 v2, s10
	buffer_wbl2 sc0 sc1
	s_waitcnt vmcnt(0)
	global_atomic_add_x2 v[0:1], v[2:3], off offset:8 sc1
.LBB3_269:
	s_or_b64 exec, exec, s[12:13]
	s_waitcnt vmcnt(0)
	global_load_dwordx2 v[2:3], v[0:1], off offset:16
	s_waitcnt vmcnt(0)
	v_cmp_eq_u64_e32 vcc, 0, v[2:3]
	s_cbranch_vccnz .LBB3_271
; %bb.270:
	global_load_dword v0, v[0:1], off offset:24
	v_mov_b32_e32 v1, 0
	s_waitcnt vmcnt(0)
	v_readfirstlane_b32 s10, v0
	s_and_b32 m0, s10, 0xffffff
	buffer_wbl2 sc0 sc1
	global_store_dwordx2 v[2:3], v[0:1], off sc0 sc1
	s_sendmsg sendmsg(MSG_INTERRUPT)
.LBB3_271:
	s_or_b64 exec, exec, s[6:7]
	v_lshl_add_u64 v[0:1], v[10:11], 0, v[24:25]
	s_branch .LBB3_275
.LBB3_272:                              ;   in Loop: Header=BB3_275 Depth=1
	s_or_b64 exec, exec, s[6:7]
	v_readfirstlane_b32 s6, v2
	s_cmp_eq_u32 s6, 0
	s_cbranch_scc1 .LBB3_274
; %bb.273:                              ;   in Loop: Header=BB3_275 Depth=1
	s_sleep 1
	s_cbranch_execnz .LBB3_275
	s_branch .LBB3_277
.LBB3_274:
	s_branch .LBB3_277
.LBB3_275:                              ; =>This Inner Loop Header: Depth=1
	v_mov_b32_e32 v2, 1
	s_and_saveexec_b64 s[6:7], s[0:1]
	s_cbranch_execz .LBB3_272
; %bb.276:                              ;   in Loop: Header=BB3_275 Depth=1
	global_load_dword v2, v[12:13], off offset:20 sc0 sc1
	s_waitcnt vmcnt(0)
	buffer_inv sc0 sc1
	v_and_b32_e32 v2, 1, v2
	s_branch .LBB3_272
.LBB3_277:
	global_load_dwordx2 v[0:1], v[0:1], off
	s_and_saveexec_b64 s[6:7], s[0:1]
	s_cbranch_execz .LBB3_280
; %bb.278:
	v_mov_b32_e32 v8, 0
	global_load_dwordx2 v[2:3], v8, s[2:3] offset:40
	global_load_dwordx2 v[12:13], v8, s[2:3] offset:24 sc0 sc1
	global_load_dwordx2 v[4:5], v8, s[2:3]
	s_waitcnt vmcnt(2)
	v_readfirstlane_b32 s10, v2
	v_readfirstlane_b32 s11, v3
	s_add_u32 s12, s10, 1
	s_addc_u32 s13, s11, 0
	s_add_u32 s0, s12, s4
	s_addc_u32 s1, s13, s5
	s_cmp_eq_u64 s[0:1], 0
	s_cselect_b32 s1, s13, s1
	s_cselect_b32 s0, s12, s0
	s_and_b64 s[4:5], s[0:1], s[10:11]
	s_mul_i32 s5, s5, 24
	s_mul_hi_u32 s10, s4, 24
	s_mul_i32 s4, s4, 24
	s_add_i32 s5, s10, s5
	s_waitcnt vmcnt(0)
	v_lshl_add_u64 v[6:7], v[4:5], 0, s[4:5]
	v_mov_b32_e32 v10, s0
	global_store_dwordx2 v[6:7], v[12:13], off
	v_mov_b32_e32 v11, s1
	buffer_wbl2 sc0 sc1
	s_waitcnt vmcnt(0)
	global_atomic_cmpswap_x2 v[4:5], v8, v[10:13], s[2:3] offset:24 sc0 sc1
	s_mov_b64 s[4:5], 0
	s_waitcnt vmcnt(0)
	v_cmp_ne_u64_e32 vcc, v[4:5], v[12:13]
	s_and_b64 exec, exec, vcc
	s_cbranch_execz .LBB3_280
.LBB3_279:                              ; =>This Inner Loop Header: Depth=1
	s_sleep 1
	global_store_dwordx2 v[6:7], v[4:5], off
	v_mov_b32_e32 v2, s0
	v_mov_b32_e32 v3, s1
	buffer_wbl2 sc0 sc1
	s_waitcnt vmcnt(0)
	global_atomic_cmpswap_x2 v[2:3], v8, v[2:5], s[2:3] offset:24 sc0 sc1
	s_waitcnt vmcnt(0)
	v_cmp_eq_u64_e32 vcc, v[2:3], v[4:5]
	s_or_b64 s[4:5], vcc, s[4:5]
	v_mov_b64_e32 v[4:5], v[2:3]
	s_andn2_b64 exec, exec, s[4:5]
	s_cbranch_execnz .LBB3_279
.LBB3_280:
	s_or_b64 exec, exec, s[6:7]
	s_getpc_b64 s[0:1]
	s_add_u32 s0, s0, __FUNCTION__._ZL18flash_attn_ext_f16ILi64ELi64ELi16ELi4ELb1ELb0EEvPKcS1_S1_S1_S1_PKiPfP15HIP_vector_typeIfLj2EEffffjfiS5_IjLj3EEiiiiiiiiiiiliiliiiiil@rel32@lo+4
	s_addc_u32 s1, s1, __FUNCTION__._ZL18flash_attn_ext_f16ILi64ELi64ELi16ELi4ELb1ELb0EEvPKcS1_S1_S1_S1_PKiPfP15HIP_vector_typeIfLj2EEffffjfiS5_IjLj3EEiiiiiiiiiiiliiliiiiil@rel32@hi+12
	s_cmp_lg_u64 s[0:1], 0
	s_cselect_b32 s4, 19, 0
	s_getpc_b64 s[2:3]
	s_add_u32 s2, s2, __ockl_printf_append_string_n@rel32@lo+4
	s_addc_u32 s3, s3, __ockl_printf_append_string_n@rel32@hi+12
	v_mov_b32_e32 v2, s0
	v_mov_b32_e32 v3, s1
	;; [unrolled: 1-line block ×4, first 2 shown]
	s_mov_b64 s[18:19], s[8:9]
	s_swappc_b64 s[30:31], s[2:3]
	s_getpc_b64 s[0:1]
	s_add_u32 s0, s0, __ockl_printf_append_args@rel32@lo+4
	s_addc_u32 s1, s1, __ockl_printf_append_args@rel32@hi+12
	s_mov_b64 s[8:9], s[18:19]
	v_mov_b32_e32 v2, 0x514
	v_mov_b32_e32 v3, 0
	;; [unrolled: 1-line block ×3, first 2 shown]
	s_swappc_b64 s[30:31], s[0:1]
	s_trap 2
.Lfunc_end3:
	.size	_ZL14no_device_codePKciS0_iS0_, .Lfunc_end3-_ZL14no_device_codePKciS0_iS0_
                                        ; -- End function
	.set .L_ZL14no_device_codePKciS0_iS0_.num_vgpr, max(41, .L__ockl_printf_append_string_n.num_vgpr, .L__ockl_printf_append_args.num_vgpr)
	.set .L_ZL14no_device_codePKciS0_iS0_.num_agpr, max(0, .L__ockl_printf_append_string_n.num_agpr, .L__ockl_printf_append_args.num_agpr)
	.set .L_ZL14no_device_codePKciS0_iS0_.numbered_sgpr, max(34, .L__ockl_printf_append_string_n.numbered_sgpr, .L__ockl_printf_append_args.numbered_sgpr)
	.set .L_ZL14no_device_codePKciS0_iS0_.num_named_barrier, max(0, .L__ockl_printf_append_string_n.num_named_barrier, .L__ockl_printf_append_args.num_named_barrier)
	.set .L_ZL14no_device_codePKciS0_iS0_.private_seg_size, 16+max(.L__ockl_printf_append_string_n.private_seg_size, .L__ockl_printf_append_args.private_seg_size)
	.set .L_ZL14no_device_codePKciS0_iS0_.uses_vcc, or(1, .L__ockl_printf_append_string_n.uses_vcc, .L__ockl_printf_append_args.uses_vcc)
	.set .L_ZL14no_device_codePKciS0_iS0_.uses_flat_scratch, or(0, .L__ockl_printf_append_string_n.uses_flat_scratch, .L__ockl_printf_append_args.uses_flat_scratch)
	.set .L_ZL14no_device_codePKciS0_iS0_.has_dyn_sized_stack, or(0, .L__ockl_printf_append_string_n.has_dyn_sized_stack, .L__ockl_printf_append_args.has_dyn_sized_stack)
	.set .L_ZL14no_device_codePKciS0_iS0_.has_recursion, or(0, .L__ockl_printf_append_string_n.has_recursion, .L__ockl_printf_append_args.has_recursion)
	.set .L_ZL14no_device_codePKciS0_iS0_.has_indirect_call, or(0, .L__ockl_printf_append_string_n.has_indirect_call, .L__ockl_printf_append_args.has_indirect_call)
	.section	.AMDGPU.csdata,"",@progbits
; Function info:
; codeLenInByte = 9528
; TotalNumSgprs: 40
; NumVgprs: 52
; NumAgprs: 0
; TotalNumVgprs: 52
; ScratchSize: 16
; MemoryBound: 0
	.section	.text._ZL18flash_attn_ext_f16ILi64ELi64ELi16ELi4ELb1ELb0EEvPKcS1_S1_S1_S1_PKiPfP15HIP_vector_typeIfLj2EEffffjfiS5_IjLj3EEiiiiiiiiiiiliiliiiiil,"axG",@progbits,_ZL18flash_attn_ext_f16ILi64ELi64ELi16ELi4ELb1ELb0EEvPKcS1_S1_S1_S1_PKiPfP15HIP_vector_typeIfLj2EEffffjfiS5_IjLj3EEiiiiiiiiiiiliiliiiiil,comdat
	.globl	_ZL18flash_attn_ext_f16ILi64ELi64ELi16ELi4ELb1ELb0EEvPKcS1_S1_S1_S1_PKiPfP15HIP_vector_typeIfLj2EEffffjfiS5_IjLj3EEiiiiiiiiiiiliiliiiiil ; -- Begin function _ZL18flash_attn_ext_f16ILi64ELi64ELi16ELi4ELb1ELb0EEvPKcS1_S1_S1_S1_PKiPfP15HIP_vector_typeIfLj2EEffffjfiS5_IjLj3EEiiiiiiiiiiiliiliiiiil
	.p2align	8
	.type	_ZL18flash_attn_ext_f16ILi64ELi64ELi16ELi4ELb1ELb0EEvPKcS1_S1_S1_S1_PKiPfP15HIP_vector_typeIfLj2EEffffjfiS5_IjLj3EEiiiiiiiiiiiliiliiiiil,@function
_ZL18flash_attn_ext_f16ILi64ELi64ELi16ELi4ELb1ELb0EEvPKcS1_S1_S1_S1_PKiPfP15HIP_vector_typeIfLj2EEffffjfiS5_IjLj3EEiiiiiiiiiiiliiliiiiil: ; @_ZL18flash_attn_ext_f16ILi64ELi64ELi16ELi4ELb1ELb0EEvPKcS1_S1_S1_S1_PKiPfP15HIP_vector_typeIfLj2EEffffjfiS5_IjLj3EEiiiiiiiiiiiliiliiiiil
; %bb.0:
	s_add_u32 s8, s0, 0xd0
	s_addc_u32 s9, s1, 0
	s_getpc_b64 s[0:1]
	s_add_u32 s0, s0, _ZL14no_device_codePKciS0_iS0_@rel32@lo+4
	s_addc_u32 s1, s1, _ZL14no_device_codePKciS0_iS0_@rel32@hi+12
	v_mov_b32_e32 v0, 0x6cc
	s_mov_b32 s32, 0
	s_swappc_b64 s[30:31], s[0:1]
	.section	.rodata,"a",@progbits
	.p2align	6, 0x0
	.amdhsa_kernel _ZL18flash_attn_ext_f16ILi64ELi64ELi16ELi4ELb1ELb0EEvPKcS1_S1_S1_S1_PKiPfP15HIP_vector_typeIfLj2EEffffjfiS5_IjLj3EEiiiiiiiiiiiliiliiiiil
		.amdhsa_group_segment_fixed_size 0
		.amdhsa_private_segment_fixed_size 16
		.amdhsa_kernarg_size 464
		.amdhsa_user_sgpr_count 2
		.amdhsa_user_sgpr_dispatch_ptr 0
		.amdhsa_user_sgpr_queue_ptr 0
		.amdhsa_user_sgpr_kernarg_segment_ptr 1
		.amdhsa_user_sgpr_dispatch_id 0
		.amdhsa_user_sgpr_kernarg_preload_length 0
		.amdhsa_user_sgpr_kernarg_preload_offset 0
		.amdhsa_user_sgpr_private_segment_size 0
		.amdhsa_uses_dynamic_stack 0
		.amdhsa_enable_private_segment 1
		.amdhsa_system_sgpr_workgroup_id_x 1
		.amdhsa_system_sgpr_workgroup_id_y 0
		.amdhsa_system_sgpr_workgroup_id_z 0
		.amdhsa_system_sgpr_workgroup_info 0
		.amdhsa_system_vgpr_workitem_id 0
		.amdhsa_next_free_vgpr 52
		.amdhsa_next_free_sgpr 34
		.amdhsa_accum_offset 52
		.amdhsa_reserve_vcc 1
		.amdhsa_float_round_mode_32 0
		.amdhsa_float_round_mode_16_64 0
		.amdhsa_float_denorm_mode_32 3
		.amdhsa_float_denorm_mode_16_64 3
		.amdhsa_dx10_clamp 1
		.amdhsa_ieee_mode 1
		.amdhsa_fp16_overflow 0
		.amdhsa_tg_split 0
		.amdhsa_exception_fp_ieee_invalid_op 0
		.amdhsa_exception_fp_denorm_src 0
		.amdhsa_exception_fp_ieee_div_zero 0
		.amdhsa_exception_fp_ieee_overflow 0
		.amdhsa_exception_fp_ieee_underflow 0
		.amdhsa_exception_fp_ieee_inexact 0
		.amdhsa_exception_int_div_zero 0
	.end_amdhsa_kernel
	.section	.text._ZL18flash_attn_ext_f16ILi64ELi64ELi16ELi4ELb1ELb0EEvPKcS1_S1_S1_S1_PKiPfP15HIP_vector_typeIfLj2EEffffjfiS5_IjLj3EEiiiiiiiiiiiliiliiiiil,"axG",@progbits,_ZL18flash_attn_ext_f16ILi64ELi64ELi16ELi4ELb1ELb0EEvPKcS1_S1_S1_S1_PKiPfP15HIP_vector_typeIfLj2EEffffjfiS5_IjLj3EEiiiiiiiiiiiliiliiiiil,comdat
.Lfunc_end4:
	.size	_ZL18flash_attn_ext_f16ILi64ELi64ELi16ELi4ELb1ELb0EEvPKcS1_S1_S1_S1_PKiPfP15HIP_vector_typeIfLj2EEffffjfiS5_IjLj3EEiiiiiiiiiiiliiliiiiil, .Lfunc_end4-_ZL18flash_attn_ext_f16ILi64ELi64ELi16ELi4ELb1ELb0EEvPKcS1_S1_S1_S1_PKiPfP15HIP_vector_typeIfLj2EEffffjfiS5_IjLj3EEiiiiiiiiiiiliiliiiiil
                                        ; -- End function
	.set _ZL18flash_attn_ext_f16ILi64ELi64ELi16ELi4ELb1ELb0EEvPKcS1_S1_S1_S1_PKiPfP15HIP_vector_typeIfLj2EEffffjfiS5_IjLj3EEiiiiiiiiiiiliiliiiiil.num_vgpr, max(1, .L_ZL14no_device_codePKciS0_iS0_.num_vgpr)
	.set _ZL18flash_attn_ext_f16ILi64ELi64ELi16ELi4ELb1ELb0EEvPKcS1_S1_S1_S1_PKiPfP15HIP_vector_typeIfLj2EEffffjfiS5_IjLj3EEiiiiiiiiiiiliiliiiiil.num_agpr, max(0, .L_ZL14no_device_codePKciS0_iS0_.num_agpr)
	.set _ZL18flash_attn_ext_f16ILi64ELi64ELi16ELi4ELb1ELb0EEvPKcS1_S1_S1_S1_PKiPfP15HIP_vector_typeIfLj2EEffffjfiS5_IjLj3EEiiiiiiiiiiiliiliiiiil.numbered_sgpr, max(33, .L_ZL14no_device_codePKciS0_iS0_.numbered_sgpr)
	.set _ZL18flash_attn_ext_f16ILi64ELi64ELi16ELi4ELb1ELb0EEvPKcS1_S1_S1_S1_PKiPfP15HIP_vector_typeIfLj2EEffffjfiS5_IjLj3EEiiiiiiiiiiiliiliiiiil.num_named_barrier, max(0, .L_ZL14no_device_codePKciS0_iS0_.num_named_barrier)
	.set _ZL18flash_attn_ext_f16ILi64ELi64ELi16ELi4ELb1ELb0EEvPKcS1_S1_S1_S1_PKiPfP15HIP_vector_typeIfLj2EEffffjfiS5_IjLj3EEiiiiiiiiiiiliiliiiiil.private_seg_size, 0+max(.L_ZL14no_device_codePKciS0_iS0_.private_seg_size)
	.set _ZL18flash_attn_ext_f16ILi64ELi64ELi16ELi4ELb1ELb0EEvPKcS1_S1_S1_S1_PKiPfP15HIP_vector_typeIfLj2EEffffjfiS5_IjLj3EEiiiiiiiiiiiliiliiiiil.uses_vcc, or(1, .L_ZL14no_device_codePKciS0_iS0_.uses_vcc)
	.set _ZL18flash_attn_ext_f16ILi64ELi64ELi16ELi4ELb1ELb0EEvPKcS1_S1_S1_S1_PKiPfP15HIP_vector_typeIfLj2EEffffjfiS5_IjLj3EEiiiiiiiiiiiliiliiiiil.uses_flat_scratch, or(0, .L_ZL14no_device_codePKciS0_iS0_.uses_flat_scratch)
	.set _ZL18flash_attn_ext_f16ILi64ELi64ELi16ELi4ELb1ELb0EEvPKcS1_S1_S1_S1_PKiPfP15HIP_vector_typeIfLj2EEffffjfiS5_IjLj3EEiiiiiiiiiiiliiliiiiil.has_dyn_sized_stack, or(0, .L_ZL14no_device_codePKciS0_iS0_.has_dyn_sized_stack)
	.set _ZL18flash_attn_ext_f16ILi64ELi64ELi16ELi4ELb1ELb0EEvPKcS1_S1_S1_S1_PKiPfP15HIP_vector_typeIfLj2EEffffjfiS5_IjLj3EEiiiiiiiiiiiliiliiiiil.has_recursion, or(0, .L_ZL14no_device_codePKciS0_iS0_.has_recursion)
	.set _ZL18flash_attn_ext_f16ILi64ELi64ELi16ELi4ELb1ELb0EEvPKcS1_S1_S1_S1_PKiPfP15HIP_vector_typeIfLj2EEffffjfiS5_IjLj3EEiiiiiiiiiiiliiliiiiil.has_indirect_call, or(0, .L_ZL14no_device_codePKciS0_iS0_.has_indirect_call)
	.section	.AMDGPU.csdata,"",@progbits
; Kernel info:
; codeLenInByte = 48
; TotalNumSgprs: 40
; NumVgprs: 52
; NumAgprs: 0
; TotalNumVgprs: 52
; ScratchSize: 16
; MemoryBound: 0
; FloatMode: 240
; IeeeMode: 1
; LDSByteSize: 0 bytes/workgroup (compile time only)
; SGPRBlocks: 4
; VGPRBlocks: 6
; NumSGPRsForWavesPerEU: 40
; NumVGPRsForWavesPerEU: 52
; AccumOffset: 52
; Occupancy: 8
; WaveLimiterHint : 1
; COMPUTE_PGM_RSRC2:SCRATCH_EN: 1
; COMPUTE_PGM_RSRC2:USER_SGPR: 2
; COMPUTE_PGM_RSRC2:TRAP_HANDLER: 0
; COMPUTE_PGM_RSRC2:TGID_X_EN: 1
; COMPUTE_PGM_RSRC2:TGID_Y_EN: 0
; COMPUTE_PGM_RSRC2:TGID_Z_EN: 0
; COMPUTE_PGM_RSRC2:TIDIG_COMP_CNT: 0
; COMPUTE_PGM_RSRC3_GFX90A:ACCUM_OFFSET: 12
; COMPUTE_PGM_RSRC3_GFX90A:TG_SPLIT: 0
	.section	.text._ZL25flash_attn_mask_to_KV_maxILi16EEvPK7__half2Piiii,"axG",@progbits,_ZL25flash_attn_mask_to_KV_maxILi16EEvPK7__half2Piiii,comdat
	.globl	_ZL25flash_attn_mask_to_KV_maxILi16EEvPK7__half2Piiii ; -- Begin function _ZL25flash_attn_mask_to_KV_maxILi16EEvPK7__half2Piiii
	.p2align	8
	.type	_ZL25flash_attn_mask_to_KV_maxILi16EEvPK7__half2Piiii,@function
_ZL25flash_attn_mask_to_KV_maxILi16EEvPK7__half2Piiii: ; @_ZL25flash_attn_mask_to_KV_maxILi16EEvPK7__half2Piiii
; %bb.0:
	s_load_dwordx4 s[4:7], s[0:1], 0x0
	v_cmp_gt_u32_e32 vcc, 32, v0
	s_and_saveexec_b64 s[8:9], vcc
; %bb.1:
	v_lshlrev_b32_e32 v1, 2, v0
	v_mov_b32_e32 v2, 1
	ds_write_b32 v1, v2
; %bb.2:
	s_or_b64 exec, exec, s[8:9]
	s_load_dwordx4 s[8:11], s[0:1], 0x10
	s_load_dword s33, s[0:1], 0x20
	v_and_b32_e32 v2, 31, v0
	v_lshlrev_b32_e32 v6, 2, v2
	v_lshrrev_b32_e32 v1, 3, v0
	s_waitcnt lgkmcnt(0)
	s_mul_i32 s1, s2, s9
	s_mul_i32 s0, s10, s3
	s_lshl_b32 s1, s1, 4
	s_add_i32 s0, s0, s1
	s_ashr_i32 s1, s0, 31
	s_lshl_b64 s[0:1], s[0:1], 2
	s_add_u32 s10, s4, s0
	s_addc_u32 s11, s5, s1
	v_cmp_eq_u32_e64 s[0:1], 0, v2
	v_mbcnt_lo_u32_b32 v2, -1, 0
	s_lshl_b32 s8, s8, 8
	s_mov_b64 s[12:13], 0
	v_mov_b32_e32 v3, 0
	s_movk_i32 s74, 0x204
	v_mbcnt_hi_u32_b32 v7, -1, v2
	s_barrier
                                        ; implicit-def: $sgpr4_sgpr5
	s_branch .LBB5_5
.LBB5_3:                                ;   in Loop: Header=BB5_5 Depth=1
	s_or_b64 exec, exec, s[14:15]
	s_waitcnt lgkmcnt(0)
	s_barrier
	ds_read_b32 v10, v6
	s_waitcnt lgkmcnt(0)
	s_barrier
	ds_bpermute_b32 v2, v2, v10
	v_cmp_ne_u32_e32 vcc, 0, v10
	s_waitcnt lgkmcnt(0)
	v_cmp_ne_u32_e64 s[4:5], 0, v2
	s_and_b64 s[4:5], vcc, s[4:5]
	s_nop 0
	v_cndmask_b32_e64 v2, 0, 1, s[4:5]
	ds_bpermute_b32 v2, v4, v2
	s_waitcnt lgkmcnt(0)
	v_cmp_ne_u32_e32 vcc, 0, v2
	s_and_b64 s[4:5], vcc, s[4:5]
	v_cndmask_b32_e64 v2, 0, 1, s[4:5]
	ds_bpermute_b32 v2, v5, v2
	s_waitcnt lgkmcnt(0)
	v_cmp_ne_u32_e32 vcc, 0, v2
	s_and_b64 s[4:5], vcc, s[4:5]
	;; [unrolled: 5-line block ×3, first 2 shown]
	v_cndmask_b32_e64 v2, 0, 1, s[4:5]
	ds_bpermute_b32 v2, v9, v2
	s_xor_b64 s[4:5], s[4:5], -1
	s_waitcnt lgkmcnt(0)
	v_cmp_eq_u32_e32 vcc, 0, v2
	s_or_b64 s[4:5], vcc, s[4:5]
.LBB5_4:                                ;   in Loop: Header=BB5_5 Depth=1
	s_and_b64 s[14:15], exec, s[4:5]
	s_or_b64 s[12:13], s[14:15], s[12:13]
	v_mov_b32_e32 v2, s8
	s_mov_b32 s8, s75
	s_andn2_b64 exec, exec, s[12:13]
	s_cbranch_execz .LBB5_68
.LBB5_5:                                ; =>This Inner Loop Header: Depth=1
	s_add_i32 s75, s8, 0xffffff00
	s_or_b64 s[4:5], s[4:5], exec
	s_cmp_lt_i32 s75, 0
	s_cbranch_scc1 .LBB5_4
; %bb.6:                                ;   in Loop: Header=BB5_5 Depth=1
	s_lshr_b32 s4, s75, 1
	v_add_u32_e32 v2, s4, v0
	v_lshl_add_u64 v[4:5], v[2:3], 2, s[10:11]
	global_load_dword v4, v[4:5], off
	v_mov_b32_e32 v5, 0
	s_waitcnt vmcnt(0)
	v_cmp_class_f16_e64 s[4:5], v4, s74
	v_cmp_class_f16_sdwa s[14:15], v4, s74 src0_sel:WORD_1 src1_sel:DWORD
	s_and_b64 s[14:15], s[4:5], s[14:15]
	s_and_saveexec_b64 s[4:5], s[14:15]
	s_cbranch_execz .LBB5_66
; %bb.7:                                ;   in Loop: Header=BB5_5 Depth=1
	v_add_u32_e32 v4, s9, v2
	v_ashrrev_i32_e32 v5, 31, v4
	v_lshl_add_u64 v[8:9], v[4:5], 2, s[10:11]
	global_load_dword v2, v[8:9], off
	v_mov_b32_e32 v5, 0
	s_waitcnt vmcnt(0)
	v_cmp_class_f16_e64 s[16:17], v2, s74
	s_and_saveexec_b64 s[14:15], s[16:17]
	s_cbranch_execz .LBB5_65
; %bb.8:                                ;   in Loop: Header=BB5_5 Depth=1
	v_cmp_class_f16_sdwa s[18:19], v2, s74 src0_sel:WORD_1 src1_sel:DWORD
	v_mov_b32_e32 v5, 0
	s_and_saveexec_b64 s[16:17], s[18:19]
	s_cbranch_execz .LBB5_64
; %bb.9:                                ;   in Loop: Header=BB5_5 Depth=1
	v_add_u32_e32 v4, s9, v4
	v_ashrrev_i32_e32 v5, 31, v4
	v_lshl_add_u64 v[8:9], v[4:5], 2, s[10:11]
	global_load_dword v2, v[8:9], off
	v_mov_b32_e32 v5, 0
	s_waitcnt vmcnt(0)
	v_cmp_class_f16_e64 s[20:21], v2, s74
	s_and_saveexec_b64 s[18:19], s[20:21]
	s_cbranch_execz .LBB5_63
; %bb.10:                               ;   in Loop: Header=BB5_5 Depth=1
	v_cmp_class_f16_sdwa s[22:23], v2, s74 src0_sel:WORD_1 src1_sel:DWORD
	v_mov_b32_e32 v5, 0
	s_and_saveexec_b64 s[20:21], s[22:23]
	s_cbranch_execz .LBB5_62
; %bb.11:                               ;   in Loop: Header=BB5_5 Depth=1
	v_add_u32_e32 v4, s9, v4
	v_ashrrev_i32_e32 v5, 31, v4
	v_lshl_add_u64 v[8:9], v[4:5], 2, s[10:11]
	global_load_dword v2, v[8:9], off
	v_mov_b32_e32 v5, 0
	s_waitcnt vmcnt(0)
	v_cmp_class_f16_e64 s[24:25], v2, s74
	s_and_saveexec_b64 s[22:23], s[24:25]
	s_cbranch_execz .LBB5_61
; %bb.12:                               ;   in Loop: Header=BB5_5 Depth=1
	v_cmp_class_f16_sdwa s[26:27], v2, s74 src0_sel:WORD_1 src1_sel:DWORD
	v_mov_b32_e32 v5, 0
	s_and_saveexec_b64 s[24:25], s[26:27]
	s_cbranch_execz .LBB5_60
; %bb.13:                               ;   in Loop: Header=BB5_5 Depth=1
	;; [unrolled: 15-line block ×13, first 2 shown]
	v_add_u32_e32 v4, s9, v4
	v_ashrrev_i32_e32 v5, 31, v4
	v_lshl_add_u64 v[4:5], v[4:5], 2, s[10:11]
	global_load_dword v2, v[4:5], off
	v_mov_b32_e32 v5, 0
	s_waitcnt vmcnt(0)
	v_cmp_class_f16_e64 s[76:77], v2, s74
	s_and_saveexec_b64 s[72:73], s[76:77]
; %bb.36:                               ;   in Loop: Header=BB5_5 Depth=1
	v_cmp_class_f16_sdwa s[76:77], v2, s74 src0_sel:WORD_1 src1_sel:DWORD
	s_nop 1
	v_cndmask_b32_e64 v5, 0, 1, s[76:77]
; %bb.37:                               ;   in Loop: Header=BB5_5 Depth=1
	s_or_b64 exec, exec, s[72:73]
.LBB5_38:                               ;   in Loop: Header=BB5_5 Depth=1
	s_or_b64 exec, exec, s[70:71]
.LBB5_39:                               ;   in Loop: Header=BB5_5 Depth=1
	s_or_b64 exec, exec, s[68:69]
.LBB5_40:                               ;   in Loop: Header=BB5_5 Depth=1
	s_or_b64 exec, exec, s[66:67]
.LBB5_41:                               ;   in Loop: Header=BB5_5 Depth=1
	s_or_b64 exec, exec, s[64:65]
.LBB5_42:                               ;   in Loop: Header=BB5_5 Depth=1
	s_or_b64 exec, exec, s[62:63]
.LBB5_43:                               ;   in Loop: Header=BB5_5 Depth=1
	s_or_b64 exec, exec, s[60:61]
.LBB5_44:                               ;   in Loop: Header=BB5_5 Depth=1
	s_or_b64 exec, exec, s[58:59]
.LBB5_45:                               ;   in Loop: Header=BB5_5 Depth=1
	s_or_b64 exec, exec, s[56:57]
.LBB5_46:                               ;   in Loop: Header=BB5_5 Depth=1
	s_or_b64 exec, exec, s[54:55]
.LBB5_47:                               ;   in Loop: Header=BB5_5 Depth=1
	s_or_b64 exec, exec, s[52:53]
.LBB5_48:                               ;   in Loop: Header=BB5_5 Depth=1
	s_or_b64 exec, exec, s[50:51]
.LBB5_49:                               ;   in Loop: Header=BB5_5 Depth=1
	s_or_b64 exec, exec, s[48:49]
.LBB5_50:                               ;   in Loop: Header=BB5_5 Depth=1
	s_or_b64 exec, exec, s[46:47]
.LBB5_51:                               ;   in Loop: Header=BB5_5 Depth=1
	s_or_b64 exec, exec, s[44:45]
.LBB5_52:                               ;   in Loop: Header=BB5_5 Depth=1
	s_or_b64 exec, exec, s[42:43]
.LBB5_53:                               ;   in Loop: Header=BB5_5 Depth=1
	s_or_b64 exec, exec, s[40:41]
.LBB5_54:                               ;   in Loop: Header=BB5_5 Depth=1
	s_or_b64 exec, exec, s[38:39]
.LBB5_55:                               ;   in Loop: Header=BB5_5 Depth=1
	s_or_b64 exec, exec, s[36:37]
.LBB5_56:                               ;   in Loop: Header=BB5_5 Depth=1
	s_or_b64 exec, exec, s[34:35]
.LBB5_57:                               ;   in Loop: Header=BB5_5 Depth=1
	s_or_b64 exec, exec, s[30:31]
.LBB5_58:                               ;   in Loop: Header=BB5_5 Depth=1
	s_or_b64 exec, exec, s[28:29]
.LBB5_59:                               ;   in Loop: Header=BB5_5 Depth=1
	s_or_b64 exec, exec, s[26:27]
.LBB5_60:                               ;   in Loop: Header=BB5_5 Depth=1
	s_or_b64 exec, exec, s[24:25]
.LBB5_61:                               ;   in Loop: Header=BB5_5 Depth=1
	s_or_b64 exec, exec, s[22:23]
.LBB5_62:                               ;   in Loop: Header=BB5_5 Depth=1
	s_or_b64 exec, exec, s[20:21]
.LBB5_63:                               ;   in Loop: Header=BB5_5 Depth=1
	s_or_b64 exec, exec, s[18:19]
.LBB5_64:                               ;   in Loop: Header=BB5_5 Depth=1
	s_or_b64 exec, exec, s[16:17]
.LBB5_65:                               ;   in Loop: Header=BB5_5 Depth=1
	s_or_b64 exec, exec, s[14:15]
.LBB5_66:                               ;   in Loop: Header=BB5_5 Depth=1
	s_or_b64 exec, exec, s[4:5]
	v_and_b32_e32 v2, 0x60, v7
	v_add_u32_e32 v9, 32, v2
	v_xor_b32_e32 v2, 16, v7
	v_cmp_lt_i32_e32 vcc, v2, v9
	v_xor_b32_e32 v11, 1, v7
	s_nop 0
	v_cndmask_b32_e32 v2, v7, v2, vcc
	v_lshlrev_b32_e32 v2, 2, v2
	ds_bpermute_b32 v4, v2, v5
	v_cmp_ne_u32_e32 vcc, 0, v5
	s_waitcnt lgkmcnt(0)
	v_cmp_ne_u32_e64 s[4:5], 0, v4
	v_xor_b32_e32 v4, 8, v7
	s_and_b64 s[4:5], vcc, s[4:5]
	v_cmp_lt_i32_e32 vcc, v4, v9
	v_cndmask_b32_e64 v5, 0, 1, s[4:5]
	s_nop 0
	v_cndmask_b32_e32 v4, v7, v4, vcc
	v_lshlrev_b32_e32 v4, 2, v4
	ds_bpermute_b32 v5, v4, v5
	s_waitcnt lgkmcnt(0)
	v_cmp_ne_u32_e32 vcc, 0, v5
	v_xor_b32_e32 v5, 4, v7
	s_and_b64 s[4:5], vcc, s[4:5]
	v_cmp_lt_i32_e32 vcc, v5, v9
	v_cndmask_b32_e64 v8, 0, 1, s[4:5]
	s_nop 0
	v_cndmask_b32_e32 v5, v7, v5, vcc
	v_lshlrev_b32_e32 v5, 2, v5
	ds_bpermute_b32 v8, v5, v8
	s_waitcnt lgkmcnt(0)
	v_cmp_ne_u32_e32 vcc, 0, v8
	v_xor_b32_e32 v8, 2, v7
	s_and_b64 s[4:5], vcc, s[4:5]
	v_cmp_lt_i32_e32 vcc, v8, v9
	v_cndmask_b32_e64 v10, 0, 1, s[4:5]
	s_nop 0
	v_cndmask_b32_e32 v8, v7, v8, vcc
	v_lshlrev_b32_e32 v8, 2, v8
	ds_bpermute_b32 v10, v8, v10
	s_waitcnt lgkmcnt(0)
	v_cmp_ne_u32_e32 vcc, 0, v10
	s_and_b64 s[4:5], vcc, s[4:5]
	v_cmp_lt_i32_e32 vcc, v11, v9
	v_cndmask_b32_e64 v10, 0, 1, s[4:5]
	s_nop 0
	v_cndmask_b32_e32 v9, v7, v11, vcc
	v_lshlrev_b32_e32 v9, 2, v9
	ds_bpermute_b32 v10, v9, v10
	s_and_saveexec_b64 s[14:15], s[0:1]
	s_cbranch_execz .LBB5_3
; %bb.67:                               ;   in Loop: Header=BB5_5 Depth=1
	s_waitcnt lgkmcnt(0)
	v_cmp_ne_u32_e32 vcc, 0, v10
	s_and_b64 s[4:5], vcc, s[4:5]
	v_cndmask_b32_e64 v10, 0, 1, s[4:5]
	ds_write_b32 v1, v10
	s_branch .LBB5_3
.LBB5_68:
	s_or_b64 exec, exec, s[12:13]
	v_cmp_eq_u32_e32 vcc, 0, v0
	s_and_saveexec_b64 s[0:1], vcc
	s_cbranch_execz .LBB5_70
; %bb.69:
	s_mul_i32 s0, s33, s3
	s_add_i32 s0, s0, s2
	s_ashr_i32 s1, s0, 31
	s_lshl_b64 s[0:1], s[0:1], 2
	s_add_u32 s0, s6, s0
	s_addc_u32 s1, s7, s1
	v_mov_b32_e32 v0, 0
	global_store_dword v0, v2, s[0:1]
.LBB5_70:
	s_endpgm
	.section	.rodata,"a",@progbits
	.p2align	6, 0x0
	.amdhsa_kernel _ZL25flash_attn_mask_to_KV_maxILi16EEvPK7__half2Piiii
		.amdhsa_group_segment_fixed_size 128
		.amdhsa_private_segment_fixed_size 0
		.amdhsa_kernarg_size 288
		.amdhsa_user_sgpr_count 2
		.amdhsa_user_sgpr_dispatch_ptr 0
		.amdhsa_user_sgpr_queue_ptr 0
		.amdhsa_user_sgpr_kernarg_segment_ptr 1
		.amdhsa_user_sgpr_dispatch_id 0
		.amdhsa_user_sgpr_kernarg_preload_length 0
		.amdhsa_user_sgpr_kernarg_preload_offset 0
		.amdhsa_user_sgpr_private_segment_size 0
		.amdhsa_uses_dynamic_stack 0
		.amdhsa_enable_private_segment 0
		.amdhsa_system_sgpr_workgroup_id_x 1
		.amdhsa_system_sgpr_workgroup_id_y 1
		.amdhsa_system_sgpr_workgroup_id_z 0
		.amdhsa_system_sgpr_workgroup_info 0
		.amdhsa_system_vgpr_workitem_id 0
		.amdhsa_next_free_vgpr 12
		.amdhsa_next_free_sgpr 78
		.amdhsa_accum_offset 12
		.amdhsa_reserve_vcc 1
		.amdhsa_float_round_mode_32 0
		.amdhsa_float_round_mode_16_64 0
		.amdhsa_float_denorm_mode_32 3
		.amdhsa_float_denorm_mode_16_64 3
		.amdhsa_dx10_clamp 1
		.amdhsa_ieee_mode 1
		.amdhsa_fp16_overflow 0
		.amdhsa_tg_split 0
		.amdhsa_exception_fp_ieee_invalid_op 0
		.amdhsa_exception_fp_denorm_src 0
		.amdhsa_exception_fp_ieee_div_zero 0
		.amdhsa_exception_fp_ieee_overflow 0
		.amdhsa_exception_fp_ieee_underflow 0
		.amdhsa_exception_fp_ieee_inexact 0
		.amdhsa_exception_int_div_zero 0
	.end_amdhsa_kernel
	.section	.text._ZL25flash_attn_mask_to_KV_maxILi16EEvPK7__half2Piiii,"axG",@progbits,_ZL25flash_attn_mask_to_KV_maxILi16EEvPK7__half2Piiii,comdat
.Lfunc_end5:
	.size	_ZL25flash_attn_mask_to_KV_maxILi16EEvPK7__half2Piiii, .Lfunc_end5-_ZL25flash_attn_mask_to_KV_maxILi16EEvPK7__half2Piiii
                                        ; -- End function
	.set _ZL25flash_attn_mask_to_KV_maxILi16EEvPK7__half2Piiii.num_vgpr, 12
	.set _ZL25flash_attn_mask_to_KV_maxILi16EEvPK7__half2Piiii.num_agpr, 0
	.set _ZL25flash_attn_mask_to_KV_maxILi16EEvPK7__half2Piiii.numbered_sgpr, 78
	.set _ZL25flash_attn_mask_to_KV_maxILi16EEvPK7__half2Piiii.num_named_barrier, 0
	.set _ZL25flash_attn_mask_to_KV_maxILi16EEvPK7__half2Piiii.private_seg_size, 0
	.set _ZL25flash_attn_mask_to_KV_maxILi16EEvPK7__half2Piiii.uses_vcc, 1
	.set _ZL25flash_attn_mask_to_KV_maxILi16EEvPK7__half2Piiii.uses_flat_scratch, 0
	.set _ZL25flash_attn_mask_to_KV_maxILi16EEvPK7__half2Piiii.has_dyn_sized_stack, 0
	.set _ZL25flash_attn_mask_to_KV_maxILi16EEvPK7__half2Piiii.has_recursion, 0
	.set _ZL25flash_attn_mask_to_KV_maxILi16EEvPK7__half2Piiii.has_indirect_call, 0
	.section	.AMDGPU.csdata,"",@progbits
; Kernel info:
; codeLenInByte = 1900
; TotalNumSgprs: 84
; NumVgprs: 12
; NumAgprs: 0
; TotalNumVgprs: 12
; ScratchSize: 0
; MemoryBound: 0
; FloatMode: 240
; IeeeMode: 1
; LDSByteSize: 128 bytes/workgroup (compile time only)
; SGPRBlocks: 10
; VGPRBlocks: 1
; NumSGPRsForWavesPerEU: 84
; NumVGPRsForWavesPerEU: 12
; AccumOffset: 12
; Occupancy: 8
; WaveLimiterHint : 0
; COMPUTE_PGM_RSRC2:SCRATCH_EN: 0
; COMPUTE_PGM_RSRC2:USER_SGPR: 2
; COMPUTE_PGM_RSRC2:TRAP_HANDLER: 0
; COMPUTE_PGM_RSRC2:TGID_X_EN: 1
; COMPUTE_PGM_RSRC2:TGID_Y_EN: 1
; COMPUTE_PGM_RSRC2:TGID_Z_EN: 0
; COMPUTE_PGM_RSRC2:TIDIG_COMP_CNT: 0
; COMPUTE_PGM_RSRC3_GFX90A:ACCUM_OFFSET: 2
; COMPUTE_PGM_RSRC3_GFX90A:TG_SPLIT: 0
	.section	.text._ZL33flash_attn_stream_k_fixup_uniformILi64ELi16ELi4EEvPfPK15HIP_vector_typeIfLj2EEiiiiiiS1_IjLj3EES5_S5_,"axG",@progbits,_ZL33flash_attn_stream_k_fixup_uniformILi64ELi16ELi4EEvPfPK15HIP_vector_typeIfLj2EEiiiiiiS1_IjLj3EES5_S5_,comdat
	.globl	_ZL33flash_attn_stream_k_fixup_uniformILi64ELi16ELi4EEvPfPK15HIP_vector_typeIfLj2EEiiiiiiS1_IjLj3EES5_S5_ ; -- Begin function _ZL33flash_attn_stream_k_fixup_uniformILi64ELi16ELi4EEvPfPK15HIP_vector_typeIfLj2EEiiiiiiS1_IjLj3EES5_S5_
	.p2align	8
	.type	_ZL33flash_attn_stream_k_fixup_uniformILi64ELi16ELi4EEvPfPK15HIP_vector_typeIfLj2EEiiiiiiS1_IjLj3EES5_S5_,@function
_ZL33flash_attn_stream_k_fixup_uniformILi64ELi16ELi4EEvPfPK15HIP_vector_typeIfLj2EEiiiiiiS1_IjLj3EES5_S5_: ; @_ZL33flash_attn_stream_k_fixup_uniformILi64ELi16ELi4EEvPfPK15HIP_vector_typeIfLj2EEiiiiiiS1_IjLj3EES5_S5_
; %bb.0:
	s_load_dwordx8 s[8:15], s[0:1], 0x1c
	s_load_dwordx2 s[6:7], s[0:1], 0x10
	s_load_dwordx4 s[20:23], s[0:1], 0x3c
	s_waitcnt lgkmcnt(0)
	s_mul_hi_u32 s5, s11, s2
	s_add_i32 s5, s2, s5
	s_lshr_b32 s5, s5, s12
	s_mul_i32 s11, s5, s13
	s_sub_i32 s11, s2, s11
	s_mul_hi_u32 s12, s11, s14
	s_add_i32 s12, s11, s12
	s_lshr_b32 s16, s12, s15
	s_mul_i32 s12, s16, s20
	s_sub_i32 s11, s11, s12
	;; [unrolled: 5-line block ×3, first 2 shown]
	s_lshl_b32 s11, s12, 2
	s_lshl_b32 s12, s17, 4
	s_add_i32 s12, s12, s3
	s_cmp_lt_i32 s12, s6
	s_cselect_b64 s[12:13], -1, 0
	s_add_i32 s14, s11, s4
	s_cmp_lt_i32 s14, s9
	s_cselect_b64 s[14:15], -1, 0
	s_and_b64 s[12:13], s[12:13], s[14:15]
	s_andn2_b64 vcc, exec, s[12:13]
	s_cbranch_vccnz .LBB6_6
; %bb.1:
	s_load_dwordx4 s[12:15], s[0:1], 0x0
	s_mul_i32 s0, s5, s6
	s_add_i32 s0, s0, s3
	s_mul_i32 s0, s0, s7
	s_mul_i32 s16, s16, s9
	s_add_i32 s0, s0, s4
	s_add_i32 s0, s0, s16
	s_mul_i32 s1, s7, s17
	s_add_i32 s0, s0, s11
	s_lshl_b32 s1, s1, 10
	s_lshl_b32 s0, s0, 6
	s_add_i32 s1, s1, s0
	v_or_b32_e32 v4, s1, v0
	s_waitcnt lgkmcnt(0)
	v_mov_b32_e32 v2, s12
	v_mov_b32_e32 v3, s13
	v_ashrrev_i32_e32 v5, 31, v4
	v_lshl_add_u64 v[2:3], v[4:5], 2, v[2:3]
	global_load_dword v5, v[2:3], off
	s_mul_i32 s5, s10, s2
	s_lshl_b32 s11, s3, 2
	s_add_i32 s9, s5, s10
	s_add_i32 s0, s11, s4
	s_lshl_b32 s1, s9, 6
	s_add_i32 s0, s0, s1
	s_sub_i32 s0, s0, 64
	s_ashr_i32 s1, s0, 31
	s_lshl_b64 s[0:1], s[0:1], 3
	s_add_u32 s0, s14, s0
	s_addc_u32 s1, s15, s1
	s_load_dword s12, s[0:1], 0x4
	s_add_i32 s6, s9, -2
	s_cmp_lt_i32 s6, s5
	s_cbranch_scc1 .LBB6_4
; %bb.2:
	s_lshl_b32 s6, s8, 8
	s_ashr_i32 s7, s6, 31
	s_lshl_b64 s[6:7], s[6:7], 2
	s_add_u32 s6, s14, s6
	s_addc_u32 s7, s15, s7
	s_add_i32 s2, s2, 1
	s_load_dword s0, s[0:1], 0x0
	s_mul_i32 s1, s10, s2
	s_lshl_b32 s3, s3, 8
	s_lshl_b32 s10, s4, 6
	;; [unrolled: 1-line block ×3, first 2 shown]
	s_add_i32 s3, s10, s3
	s_lshl_b32 s1, s1, 6
	s_add_i32 s3, s3, s2
	s_add_i32 s1, s4, s1
	s_lshl_b32 s2, s8, 6
	s_add_i32 s1, s1, s2
	v_or_b32_e32 v0, s3, v0
	s_add_i32 s1, s1, s11
	s_add_i32 s9, s9, -1
	v_add_u32_e32 v0, 0xffffe000, v0
	s_add_i32 s2, s1, 0xffffff80
	s_waitcnt lgkmcnt(0)
	v_mov_b32_e32 v7, s0
	v_mov_b32_e32 v4, s12
	s_mov_b32 s4, 0x3fb8aa3b
	s_mov_b32 s8, 0xc2ce8ed0
	;; [unrolled: 1-line block ×3, first 2 shown]
	v_mov_b32_e32 v6, 0x7f800000
	s_mov_b32 s11, 0xc1a00000
.LBB6_3:                                ; =>This Inner Loop Header: Depth=1
	v_ashrrev_i32_e32 v1, 31, v0
	v_lshl_add_u64 v[8:9], v[0:1], 2, s[6:7]
	global_load_dword v9, v[8:9], off
	s_ashr_i32 s3, s2, 31
	s_lshl_b64 s[0:1], s[2:3], 3
	s_add_u32 s0, s14, s0
	s_addc_u32 s1, s15, s1
	s_load_dwordx2 s[0:1], s[0:1], 0x0
	v_max_f32_e32 v1, v7, v7
	s_add_i32 s9, s9, -1
	s_sub_i32 s2, s2, 64
	v_add_u32_e32 v0, 0xfffff000, v0
	s_waitcnt lgkmcnt(0)
	v_max_f32_e64 v10, s0, s0
	v_max_f32_e32 v1, v1, v10
	v_sub_f32_e32 v11, s0, v1
	v_sub_f32_e32 v10, v7, v1
	v_mul_f32_e32 v12, 0x3fb8aa3b, v11
	v_mov_b32_e32 v7, v1
	v_mul_f32_e32 v1, 0x3fb8aa3b, v10
	v_fma_f32 v15, v11, s4, -v12
	v_rndne_f32_e32 v16, v12
	v_fma_f32 v13, v10, s4, -v1
	v_rndne_f32_e32 v14, v1
	v_fmac_f32_e32 v15, 0x32a5705f, v11
	v_sub_f32_e32 v12, v12, v16
	v_fmac_f32_e32 v13, 0x32a5705f, v10
	v_sub_f32_e32 v1, v1, v14
	v_add_f32_e32 v12, v12, v15
	v_cvt_i32_f32_e32 v16, v16
	v_add_f32_e32 v1, v1, v13
	v_exp_f32_e32 v12, v12
	v_cvt_i32_f32_e32 v14, v14
	v_exp_f32_e32 v1, v1
	v_cmp_ngt_f32_e32 vcc, s8, v11
	v_ldexp_f32 v12, v12, v16
	v_mov_b32_e32 v8, s1
	v_ldexp_f32 v1, v1, v14
	v_cmp_ngt_f32_e64 s[0:1], s8, v10
	v_cndmask_b32_e32 v12, 0, v12, vcc
	v_cmp_nlt_f32_e32 vcc, s10, v11
	v_cndmask_b32_e64 v1, 0, v1, s[0:1]
	v_cmp_nlt_f32_e64 s[0:1], s10, v10
	v_cndmask_b32_e32 v12, v6, v12, vcc
	v_cmp_le_f32_e32 vcc, s11, v11
	v_cndmask_b32_e64 v1, v6, v1, s[0:1]
	v_cmp_le_f32_e64 s[0:1], s11, v10
	v_cndmask_b32_e32 v12, 0, v12, vcc
	s_cmp_le_i32 s9, s5
	v_cndmask_b32_e64 v10, 0, v1, s[0:1]
	s_waitcnt vmcnt(0)
	v_pk_mul_f32 v[8:9], v[8:9], v[12:13] op_sel_hi:[1,0]
	s_nop 0
	v_pk_fma_f32 v[4:5], v[4:5], v[10:11], v[8:9] op_sel_hi:[1,0,1]
	s_cbranch_scc0 .LBB6_3
	s_branch .LBB6_5
.LBB6_4:
	s_waitcnt lgkmcnt(0)
	v_mov_b32_e32 v4, s12
.LBB6_5:
	s_waitcnt vmcnt(0)
	v_div_scale_f32 v0, s[0:1], v4, v4, v5
	v_rcp_f32_e32 v1, v0
	v_div_scale_f32 v6, vcc, v5, v4, v5
	v_fma_f32 v7, -v0, v1, 1.0
	v_fmac_f32_e32 v1, v7, v1
	v_mul_f32_e32 v7, v6, v1
	v_fma_f32 v8, -v0, v7, v6
	v_fmac_f32_e32 v7, v8, v1
	v_fma_f32 v0, -v0, v7, v6
	v_div_fmas_f32 v0, v0, v1, v7
	v_div_fixup_f32 v0, v0, v4, v5
	global_store_dword v[2:3], v0, off
.LBB6_6:
	s_endpgm
	.section	.rodata,"a",@progbits
	.p2align	6, 0x0
	.amdhsa_kernel _ZL33flash_attn_stream_k_fixup_uniformILi64ELi16ELi4EEvPfPK15HIP_vector_typeIfLj2EEiiiiiiS1_IjLj3EES5_S5_
		.amdhsa_group_segment_fixed_size 0
		.amdhsa_private_segment_fixed_size 0
		.amdhsa_kernarg_size 76
		.amdhsa_user_sgpr_count 2
		.amdhsa_user_sgpr_dispatch_ptr 0
		.amdhsa_user_sgpr_queue_ptr 0
		.amdhsa_user_sgpr_kernarg_segment_ptr 1
		.amdhsa_user_sgpr_dispatch_id 0
		.amdhsa_user_sgpr_kernarg_preload_length 0
		.amdhsa_user_sgpr_kernarg_preload_offset 0
		.amdhsa_user_sgpr_private_segment_size 0
		.amdhsa_uses_dynamic_stack 0
		.amdhsa_enable_private_segment 0
		.amdhsa_system_sgpr_workgroup_id_x 1
		.amdhsa_system_sgpr_workgroup_id_y 1
		.amdhsa_system_sgpr_workgroup_id_z 1
		.amdhsa_system_sgpr_workgroup_info 0
		.amdhsa_system_vgpr_workitem_id 0
		.amdhsa_next_free_vgpr 17
		.amdhsa_next_free_sgpr 24
		.amdhsa_accum_offset 20
		.amdhsa_reserve_vcc 1
		.amdhsa_float_round_mode_32 0
		.amdhsa_float_round_mode_16_64 0
		.amdhsa_float_denorm_mode_32 3
		.amdhsa_float_denorm_mode_16_64 3
		.amdhsa_dx10_clamp 1
		.amdhsa_ieee_mode 1
		.amdhsa_fp16_overflow 0
		.amdhsa_tg_split 0
		.amdhsa_exception_fp_ieee_invalid_op 0
		.amdhsa_exception_fp_denorm_src 0
		.amdhsa_exception_fp_ieee_div_zero 0
		.amdhsa_exception_fp_ieee_overflow 0
		.amdhsa_exception_fp_ieee_underflow 0
		.amdhsa_exception_fp_ieee_inexact 0
		.amdhsa_exception_int_div_zero 0
	.end_amdhsa_kernel
	.section	.text._ZL33flash_attn_stream_k_fixup_uniformILi64ELi16ELi4EEvPfPK15HIP_vector_typeIfLj2EEiiiiiiS1_IjLj3EES5_S5_,"axG",@progbits,_ZL33flash_attn_stream_k_fixup_uniformILi64ELi16ELi4EEvPfPK15HIP_vector_typeIfLj2EEiiiiiiS1_IjLj3EES5_S5_,comdat
.Lfunc_end6:
	.size	_ZL33flash_attn_stream_k_fixup_uniformILi64ELi16ELi4EEvPfPK15HIP_vector_typeIfLj2EEiiiiiiS1_IjLj3EES5_S5_, .Lfunc_end6-_ZL33flash_attn_stream_k_fixup_uniformILi64ELi16ELi4EEvPfPK15HIP_vector_typeIfLj2EEiiiiiiS1_IjLj3EES5_S5_
                                        ; -- End function
	.set _ZL33flash_attn_stream_k_fixup_uniformILi64ELi16ELi4EEvPfPK15HIP_vector_typeIfLj2EEiiiiiiS1_IjLj3EES5_S5_.num_vgpr, 17
	.set _ZL33flash_attn_stream_k_fixup_uniformILi64ELi16ELi4EEvPfPK15HIP_vector_typeIfLj2EEiiiiiiS1_IjLj3EES5_S5_.num_agpr, 0
	.set _ZL33flash_attn_stream_k_fixup_uniformILi64ELi16ELi4EEvPfPK15HIP_vector_typeIfLj2EEiiiiiiS1_IjLj3EES5_S5_.numbered_sgpr, 24
	.set _ZL33flash_attn_stream_k_fixup_uniformILi64ELi16ELi4EEvPfPK15HIP_vector_typeIfLj2EEiiiiiiS1_IjLj3EES5_S5_.num_named_barrier, 0
	.set _ZL33flash_attn_stream_k_fixup_uniformILi64ELi16ELi4EEvPfPK15HIP_vector_typeIfLj2EEiiiiiiS1_IjLj3EES5_S5_.private_seg_size, 0
	.set _ZL33flash_attn_stream_k_fixup_uniformILi64ELi16ELi4EEvPfPK15HIP_vector_typeIfLj2EEiiiiiiS1_IjLj3EES5_S5_.uses_vcc, 1
	.set _ZL33flash_attn_stream_k_fixup_uniformILi64ELi16ELi4EEvPfPK15HIP_vector_typeIfLj2EEiiiiiiS1_IjLj3EES5_S5_.uses_flat_scratch, 0
	.set _ZL33flash_attn_stream_k_fixup_uniformILi64ELi16ELi4EEvPfPK15HIP_vector_typeIfLj2EEiiiiiiS1_IjLj3EES5_S5_.has_dyn_sized_stack, 0
	.set _ZL33flash_attn_stream_k_fixup_uniformILi64ELi16ELi4EEvPfPK15HIP_vector_typeIfLj2EEiiiiiiS1_IjLj3EES5_S5_.has_recursion, 0
	.set _ZL33flash_attn_stream_k_fixup_uniformILi64ELi16ELi4EEvPfPK15HIP_vector_typeIfLj2EEiiiiiiS1_IjLj3EES5_S5_.has_indirect_call, 0
	.section	.AMDGPU.csdata,"",@progbits
; Kernel info:
; codeLenInByte = 840
; TotalNumSgprs: 30
; NumVgprs: 17
; NumAgprs: 0
; TotalNumVgprs: 17
; ScratchSize: 0
; MemoryBound: 0
; FloatMode: 240
; IeeeMode: 1
; LDSByteSize: 0 bytes/workgroup (compile time only)
; SGPRBlocks: 3
; VGPRBlocks: 2
; NumSGPRsForWavesPerEU: 30
; NumVGPRsForWavesPerEU: 17
; AccumOffset: 20
; Occupancy: 8
; WaveLimiterHint : 0
; COMPUTE_PGM_RSRC2:SCRATCH_EN: 0
; COMPUTE_PGM_RSRC2:USER_SGPR: 2
; COMPUTE_PGM_RSRC2:TRAP_HANDLER: 0
; COMPUTE_PGM_RSRC2:TGID_X_EN: 1
; COMPUTE_PGM_RSRC2:TGID_Y_EN: 1
; COMPUTE_PGM_RSRC2:TGID_Z_EN: 1
; COMPUTE_PGM_RSRC2:TIDIG_COMP_CNT: 0
; COMPUTE_PGM_RSRC3_GFX90A:ACCUM_OFFSET: 4
; COMPUTE_PGM_RSRC3_GFX90A:TG_SPLIT: 0
	.section	.text._ZL33flash_attn_stream_k_fixup_generalILi64ELi16ELi4EEvPfPK15HIP_vector_typeIfLj2EEiiiiS1_IjLj3EES5_S5_S5_,"axG",@progbits,_ZL33flash_attn_stream_k_fixup_generalILi64ELi16ELi4EEvPfPK15HIP_vector_typeIfLj2EEiiiiS1_IjLj3EES5_S5_S5_,comdat
	.globl	_ZL33flash_attn_stream_k_fixup_generalILi64ELi16ELi4EEvPfPK15HIP_vector_typeIfLj2EEiiiiS1_IjLj3EES5_S5_S5_ ; -- Begin function _ZL33flash_attn_stream_k_fixup_generalILi64ELi16ELi4EEvPfPK15HIP_vector_typeIfLj2EEiiiiS1_IjLj3EES5_S5_S5_
	.p2align	8
	.type	_ZL33flash_attn_stream_k_fixup_generalILi64ELi16ELi4EEvPfPK15HIP_vector_typeIfLj2EEiiiiS1_IjLj3EES5_S5_S5_,@function
_ZL33flash_attn_stream_k_fixup_generalILi64ELi16ELi4EEvPfPK15HIP_vector_typeIfLj2EEiiiiS1_IjLj3EES5_S5_S5_: ; @_ZL33flash_attn_stream_k_fixup_generalILi64ELi16ELi4EEvPfPK15HIP_vector_typeIfLj2EEiiiiS1_IjLj3EES5_S5_S5_
; %bb.0:
	s_load_dwordx4 s[8:11], s[0:1], 0x10
	s_load_dword s22, s[0:1], 0x50
	s_mov_b32 s12, 0
	s_waitcnt lgkmcnt(0)
	s_mul_hi_i32 s13, s11, s2
	s_cmp_lg_u64 s[12:13], 0
	s_mul_i32 s5, s11, s2
	s_cbranch_scc0 .LBB7_20
; %bb.1:
	s_add_u32 s6, s22, 0
	s_addc_u32 s7, 0, 0
	s_xor_b64 s[6:7], s[6:7], 0
	v_cvt_f32_u32_e32 v1, s6
	v_cvt_f32_u32_e32 v2, s7
	s_sub_u32 s12, 0, s6
	s_subb_u32 s18, 0, s7
	v_fmamk_f32 v1, v2, 0x4f800000, v1
	v_rcp_f32_e32 v1, v1
	s_nop 0
	v_mul_f32_e32 v1, 0x5f7ffffc, v1
	v_mul_f32_e32 v2, 0x2f800000, v1
	v_trunc_f32_e32 v2, v2
	v_fmamk_f32 v1, v2, 0xcf800000, v1
	v_cvt_u32_f32_e32 v2, v2
	v_cvt_u32_f32_e32 v1, v1
	v_readfirstlane_b32 s19, v2
	v_readfirstlane_b32 s14, v1
	s_mul_i32 s15, s12, s19
	s_mul_hi_u32 s21, s12, s14
	s_mul_i32 s20, s18, s14
	s_add_i32 s15, s21, s15
	s_add_i32 s15, s15, s20
	s_mul_i32 s23, s12, s14
	s_mul_i32 s21, s14, s15
	s_mul_hi_u32 s24, s14, s23
	s_mul_hi_u32 s20, s14, s15
	s_add_u32 s21, s24, s21
	s_addc_u32 s20, 0, s20
	s_mul_hi_u32 s25, s19, s23
	s_mul_i32 s23, s19, s23
	s_add_u32 s21, s21, s23
	s_mul_hi_u32 s24, s19, s15
	s_addc_u32 s20, s20, s25
	s_addc_u32 s21, s24, 0
	s_mul_i32 s15, s19, s15
	s_add_u32 s15, s20, s15
	s_addc_u32 s20, 0, s21
	s_add_u32 s21, s14, s15
	s_cselect_b64 s[14:15], -1, 0
	s_cmp_lg_u64 s[14:15], 0
	s_addc_u32 s19, s19, s20
	s_mul_i32 s14, s12, s19
	s_mul_hi_u32 s15, s12, s21
	s_add_i32 s14, s15, s14
	s_mul_i32 s18, s18, s21
	s_add_i32 s14, s14, s18
	s_mul_i32 s12, s12, s21
	s_mul_hi_u32 s18, s19, s12
	s_mul_i32 s20, s19, s12
	s_mul_i32 s24, s21, s14
	s_mul_hi_u32 s12, s21, s12
	s_mul_hi_u32 s23, s21, s14
	s_add_u32 s12, s12, s24
	s_addc_u32 s23, 0, s23
	s_add_u32 s12, s12, s20
	s_mul_hi_u32 s15, s19, s14
	s_addc_u32 s12, s23, s18
	s_addc_u32 s15, s15, 0
	s_mul_i32 s14, s19, s14
	s_add_u32 s12, s12, s14
	s_addc_u32 s18, 0, s15
	s_add_u32 s20, s21, s12
	s_cselect_b64 s[14:15], -1, 0
	s_cmp_lg_u64 s[14:15], 0
	s_addc_u32 s18, s19, s18
	s_ashr_i32 s14, s13, 31
	s_add_u32 s12, s5, s14
	s_mov_b32 s15, s14
	s_addc_u32 s13, s13, s14
	s_xor_b64 s[12:13], s[12:13], s[14:15]
	s_mul_i32 s21, s12, s18
	s_mul_hi_u32 s23, s12, s20
	s_mul_hi_u32 s19, s12, s18
	s_add_u32 s21, s23, s21
	s_addc_u32 s19, 0, s19
	s_mul_hi_u32 s24, s13, s20
	s_mul_i32 s20, s13, s20
	s_add_u32 s20, s21, s20
	s_mul_hi_u32 s23, s13, s18
	s_addc_u32 s19, s19, s24
	s_addc_u32 s20, s23, 0
	s_mul_i32 s18, s13, s18
	s_add_u32 s23, s19, s18
	s_addc_u32 s24, 0, s20
	s_mul_i32 s18, s6, s24
	s_mul_hi_u32 s19, s6, s23
	s_add_i32 s18, s19, s18
	s_mul_i32 s19, s7, s23
	s_add_i32 s25, s18, s19
	s_sub_i32 s20, s13, s25
	s_mul_i32 s18, s6, s23
	s_sub_u32 s12, s12, s18
	s_cselect_b64 s[18:19], -1, 0
	s_cmp_lg_u64 s[18:19], 0
	s_subb_u32 s26, s20, s7
	s_sub_u32 s27, s12, s6
	s_cselect_b64 s[20:21], -1, 0
	s_cmp_lg_u64 s[20:21], 0
	s_subb_u32 s20, s26, 0
	s_cmp_ge_u32 s20, s7
	s_cselect_b32 s21, -1, 0
	s_cmp_ge_u32 s27, s6
	s_cselect_b32 s26, -1, 0
	s_cmp_eq_u32 s20, s7
	s_cselect_b32 s20, s26, s21
	s_add_u32 s21, s23, 1
	s_addc_u32 s26, s24, 0
	s_add_u32 s27, s23, 2
	s_addc_u32 s28, s24, 0
	s_cmp_lg_u32 s20, 0
	s_cselect_b32 s20, s27, s21
	s_cselect_b32 s21, s28, s26
	s_cmp_lg_u64 s[18:19], 0
	s_subb_u32 s13, s13, s25
	s_cmp_ge_u32 s13, s7
	s_cselect_b32 s18, -1, 0
	s_cmp_ge_u32 s12, s6
	s_cselect_b32 s6, -1, 0
	s_cmp_eq_u32 s13, s7
	s_cselect_b32 s6, s6, s18
	s_cmp_lg_u32 s6, 0
	s_cselect_b32 s7, s21, s24
	s_cselect_b32 s6, s20, s23
	s_xor_b64 s[12:13], s[14:15], 0
	s_xor_b64 s[6:7], s[6:7], s[12:13]
	s_sub_u32 s6, s6, s12
	s_load_dwordx4 s[12:15], s[0:1], 0x44
	s_cbranch_execnz .LBB7_3
.LBB7_2:
	v_cvt_f32_u32_e32 v1, s22
	s_sub_i32 s6, 0, s22
	v_rcp_iflag_f32_e32 v1, v1
	s_nop 0
	v_mul_f32_e32 v1, 0x4f7ffffe, v1
	v_cvt_u32_f32_e32 v1, v1
	s_nop 0
	v_readfirstlane_b32 s7, v1
	s_mul_i32 s6, s6, s7
	s_mul_hi_u32 s6, s7, s6
	s_add_i32 s7, s7, s6
	s_mul_hi_u32 s6, s5, s7
	s_waitcnt lgkmcnt(0)
	s_mul_i32 s15, s6, s22
	s_sub_i32 s5, s5, s15
	s_add_i32 s7, s6, 1
	s_sub_i32 s15, s5, s22
	s_cmp_ge_u32 s5, s22
	s_cselect_b32 s6, s7, s6
	s_cselect_b32 s5, s15, s5
	s_add_i32 s7, s6, 1
	s_cmp_ge_u32 s5, s22
	s_cselect_b32 s6, s7, s6
.LBB7_3:
	s_add_i32 s5, s2, 1
	s_mul_hi_i32 s21, s11, s5
	s_mov_b32 s20, 0
	s_cmp_lg_u64 s[20:21], 0
	s_mul_i32 s5, s11, s5
	s_cbranch_scc0 .LBB7_21
; %bb.4:
	s_add_u32 s16, s22, 0
	s_addc_u32 s17, 0, 0
	s_xor_b64 s[18:19], s[16:17], 0
	v_cvt_f32_u32_e32 v1, s18
	v_cvt_f32_u32_e32 v2, s19
	s_sub_u32 s7, 0, s18
	s_waitcnt lgkmcnt(0)
	s_subb_u32 s15, 0, s19
	v_fmamk_f32 v1, v2, 0x4f800000, v1
	v_rcp_f32_e32 v1, v1
	s_nop 0
	v_mul_f32_e32 v1, 0x5f7ffffc, v1
	v_mul_f32_e32 v2, 0x2f800000, v1
	v_trunc_f32_e32 v2, v2
	v_fmamk_f32 v1, v2, 0xcf800000, v1
	v_cvt_u32_f32_e32 v2, v2
	v_cvt_u32_f32_e32 v1, v1
	v_readfirstlane_b32 s20, v2
	v_readfirstlane_b32 s23, v1
	s_mul_i32 s24, s7, s20
	s_mul_hi_u32 s26, s7, s23
	s_mul_i32 s25, s15, s23
	s_add_i32 s24, s26, s24
	s_add_i32 s24, s24, s25
	s_mul_i32 s27, s7, s23
	s_mul_i32 s26, s23, s24
	s_mul_hi_u32 s28, s23, s27
	s_mul_hi_u32 s25, s23, s24
	s_add_u32 s26, s28, s26
	s_addc_u32 s25, 0, s25
	s_mul_hi_u32 s29, s20, s27
	s_mul_i32 s27, s20, s27
	s_add_u32 s26, s26, s27
	s_mul_hi_u32 s28, s20, s24
	s_addc_u32 s25, s25, s29
	s_addc_u32 s26, s28, 0
	s_mul_i32 s24, s20, s24
	s_add_u32 s24, s25, s24
	s_addc_u32 s26, 0, s26
	s_add_u32 s23, s23, s24
	s_cselect_b64 s[24:25], -1, 0
	s_cmp_lg_u64 s[24:25], 0
	s_addc_u32 s20, s20, s26
	s_mul_i32 s24, s7, s20
	s_mul_hi_u32 s25, s7, s23
	s_add_i32 s24, s25, s24
	s_mul_i32 s15, s15, s23
	s_add_i32 s24, s24, s15
	s_mul_i32 s7, s7, s23
	s_mul_hi_u32 s25, s20, s7
	s_mul_i32 s26, s20, s7
	s_mul_i32 s28, s23, s24
	s_mul_hi_u32 s7, s23, s7
	s_mul_hi_u32 s27, s23, s24
	s_add_u32 s7, s7, s28
	s_addc_u32 s27, 0, s27
	s_add_u32 s7, s7, s26
	s_mul_hi_u32 s15, s20, s24
	s_addc_u32 s7, s27, s25
	s_addc_u32 s15, s15, 0
	s_mul_i32 s24, s20, s24
	s_add_u32 s7, s7, s24
	s_addc_u32 s15, 0, s15
	s_add_u32 s7, s23, s7
	s_cselect_b64 s[24:25], -1, 0
	s_cmp_lg_u64 s[24:25], 0
	s_addc_u32 s15, s20, s15
	s_ashr_i32 s24, s21, 31
	s_add_u32 s20, s5, s24
	s_mov_b32 s25, s24
	s_addc_u32 s21, s21, s24
	s_xor_b64 s[20:21], s[20:21], s[24:25]
	s_mul_i32 s26, s20, s15
	s_mul_hi_u32 s27, s20, s7
	s_mul_hi_u32 s23, s20, s15
	s_add_u32 s26, s27, s26
	s_addc_u32 s23, 0, s23
	s_mul_hi_u32 s28, s21, s7
	s_mul_i32 s7, s21, s7
	s_add_u32 s7, s26, s7
	s_mul_hi_u32 s27, s21, s15
	s_addc_u32 s7, s23, s28
	s_addc_u32 s23, s27, 0
	s_mul_i32 s15, s21, s15
	s_add_u32 s7, s7, s15
	s_addc_u32 s15, 0, s23
	s_mul_i32 s23, s18, s15
	s_mul_hi_u32 s26, s18, s7
	s_add_i32 s23, s26, s23
	s_mul_i32 s26, s19, s7
	s_add_i32 s23, s23, s26
	s_sub_i32 s28, s21, s23
	s_mul_i32 s26, s18, s7
	s_sub_u32 s20, s20, s26
	s_cselect_b64 s[26:27], -1, 0
	s_cmp_lg_u64 s[26:27], 0
	s_subb_u32 s30, s28, s19
	s_sub_u32 s31, s20, s18
	s_cselect_b64 s[28:29], -1, 0
	s_cmp_lg_u64 s[28:29], 0
	s_subb_u32 s28, s30, 0
	s_cmp_ge_u32 s28, s19
	s_cselect_b32 s29, -1, 0
	s_cmp_ge_u32 s31, s18
	s_cselect_b32 s30, -1, 0
	s_cmp_eq_u32 s28, s19
	s_cselect_b32 s28, s30, s29
	s_add_u32 s29, s7, 1
	s_addc_u32 s30, s15, 0
	s_add_u32 s31, s7, 2
	s_addc_u32 s33, s15, 0
	s_cmp_lg_u32 s28, 0
	s_cselect_b32 s28, s31, s29
	s_cselect_b32 s29, s33, s30
	s_cmp_lg_u64 s[26:27], 0
	s_subb_u32 s21, s21, s23
	s_cmp_ge_u32 s21, s19
	s_cselect_b32 s23, -1, 0
	s_cmp_ge_u32 s20, s18
	s_cselect_b32 s18, -1, 0
	s_cmp_eq_u32 s21, s19
	s_cselect_b32 s18, s18, s23
	s_cmp_lg_u32 s18, 0
	s_cselect_b32 s19, s29, s15
	s_cselect_b32 s18, s28, s7
	s_xor_b64 s[20:21], s[24:25], 0
	s_xor_b64 s[18:19], s[18:19], s[20:21]
	s_sub_u32 s18, s18, s20
	s_cbranch_execnz .LBB7_6
.LBB7_5:
	v_cvt_f32_u32_e32 v1, s22
	s_sub_i32 s7, 0, s22
	v_rcp_iflag_f32_e32 v1, v1
	s_nop 0
	v_mul_f32_e32 v1, 0x4f7ffffe, v1
	v_cvt_u32_f32_e32 v1, v1
	s_waitcnt lgkmcnt(0)
	v_readfirstlane_b32 s15, v1
	s_mul_i32 s7, s7, s15
	s_mul_hi_u32 s7, s15, s7
	s_add_i32 s15, s15, s7
	s_mul_hi_u32 s7, s5, s15
	s_mul_i32 s16, s7, s22
	s_sub_i32 s5, s5, s16
	s_add_i32 s15, s7, 1
	s_sub_i32 s16, s5, s22
	s_cmp_ge_u32 s5, s22
	s_cselect_b32 s7, s15, s7
	s_cselect_b32 s5, s16, s5
	s_add_i32 s15, s7, 1
	s_cmp_ge_u32 s5, s22
	s_cselect_b32 s18, s15, s7
.LBB7_6:
	s_cmp_eq_u32 s6, s18
	s_waitcnt lgkmcnt(0)
	s_mul_hi_u32 s5, s6, s12
	s_cselect_b64 s[16:17], -1, 0
	s_add_i32 s5, s5, s6
	s_lshr_b32 s7, s5, s13
	s_mul_i32 s5, s7, s14
	s_cmp_eq_u32 s5, s6
	s_mul_hi_u32 s5, s18, s12
	s_cselect_b64 s[20:21], -1, 0
	s_add_i32 s5, s5, s18
	s_lshr_b32 s5, s5, s13
	s_cmp_eq_u32 s7, s5
	s_mul_i32 s5, s5, s14
	s_cselect_b64 s[24:25], -1, 0
	s_cmp_lg_u32 s5, s18
	s_cselect_b64 s[18:19], -1, 0
	s_and_b64 s[18:19], s[24:25], s[18:19]
	s_or_b64 s[16:17], s[16:17], s[20:21]
	s_or_b64 s[16:17], s[16:17], s[18:19]
	s_and_b64 vcc, exec, s[16:17]
	s_cbranch_vccnz .LBB7_23
; %bb.7:
	s_load_dwordx8 s[24:31], s[0:1], 0x20
	s_load_dword s15, s[0:1], 0x40
	s_waitcnt lgkmcnt(0)
	s_mul_hi_u32 s5, s6, s24
	s_add_i32 s5, s5, s6
	s_lshr_b32 s5, s5, s25
	s_mul_i32 s16, s5, s26
	s_sub_i32 s16, s6, s16
	s_mul_hi_u32 s17, s16, s27
	s_add_i32 s17, s16, s17
	s_lshr_b32 s20, s17, s28
	s_mul_i32 s17, s20, s29
	s_sub_i32 s16, s16, s17
	;; [unrolled: 5-line block ×3, first 2 shown]
	s_mul_hi_u32 s16, s15, s12
	s_add_i32 s15, s15, s16
	s_lshr_b32 s23, s15, s13
	s_lshl_b32 s15, s23, 4
	s_lshl_b32 s21, s17, 2
	s_add_i32 s15, s15, s3
	s_cmp_lt_i32 s15, s8
	s_cselect_b64 s[16:17], -1, 0
	s_add_i32 s15, s21, s4
	s_cmp_lt_i32 s15, s10
	s_cselect_b64 s[18:19], -1, 0
	s_and_b64 s[16:17], s[16:17], s[18:19]
	s_andn2_b64 vcc, exec, s[16:17]
	s_cbranch_vccnz .LBB7_23
; %bb.8:
	s_load_dwordx4 s[16:19], s[0:1], 0x0
	s_mov_b32 s0, 0
	s_lshl_b32 s15, s3, 2
	s_lshl_b32 s24, s22, 8
	s_mov_b32 s25, s0
	s_add_i32 s15, s15, s4
	s_waitcnt lgkmcnt(0)
	v_mov_b32_e32 v2, s16
	v_mov_b32_e32 v3, s17
	s_lshl_b64 s[16:17], s[24:25], 2
	s_add_u32 s16, s18, s16
	s_mul_i32 s1, s5, s8
	s_addc_u32 s17, s19, s17
	s_add_i32 s1, s1, s3
	s_mul_i32 s1, s1, s9
	s_mul_i32 s20, s20, s10
	s_add_i32 s1, s1, s4
	s_add_i32 s1, s1, s20
	s_mul_i32 s5, s9, s23
	s_add_i32 s1, s1, s21
	s_lshl_b32 s5, s5, 10
	s_lshl_b32 s1, s1, 6
	s_add_i32 s5, s5, s1
	v_or_b32_e32 v4, s5, v0
	v_ashrrev_i32_e32 v5, 31, v4
	v_lshl_add_u64 v[2:3], v[4:5], 2, v[2:3]
	global_load_dword v1, v[2:3], off
	v_cvt_f32_u32_e32 v4, s22
	s_lshl_b32 s1, s2, 6
	s_add_i32 s4, s15, s1
	s_ashr_i32 s5, s4, 31
	s_lshl_b64 s[4:5], s[4:5], 3
	v_rcp_iflag_f32_e32 v4, v4
	s_add_u32 s4, s18, s4
	s_addc_u32 s5, s19, s5
	s_load_dwordx2 s[4:5], s[4:5], 0x0
	v_mul_f32_e32 v4, 0x4f7ffffe, v4
	v_cvt_u32_f32_e32 v7, v4
	s_add_i32 s24, s2, -1
	v_lshl_or_b32 v6, s15, 6, v0
	s_waitcnt lgkmcnt(0)
	v_mov_b32_e32 v0, s5
	v_mov_b32_e32 v9, s4
	s_mov_b32 s10, 0x3fb8aa3b
	s_mov_b32 s20, 0xc2ce8ed0
	;; [unrolled: 1-line block ×4, first 2 shown]
	v_mov_b32_e32 v8, 0x7f800000
	s_mul_hi_i32 s1, s24, s11
	s_cmp_lg_u64 s[0:1], 0
	s_mul_i32 s8, s24, s11
	s_cbranch_scc0 .LBB7_19
.LBB7_9:
	s_add_u32 s2, s22, 0
	s_addc_u32 s3, 0, 0
	s_xor_b64 s[2:3], s[2:3], 0
	v_cvt_f32_u32_e32 v4, s2
	v_cvt_f32_u32_e32 v5, s3
	s_sub_u32 s9, 0, s2
	s_subb_u32 s25, 0, s3
	v_fmac_f32_e32 v4, 0x4f800000, v5
	v_rcp_f32_e32 v4, v4
	s_nop 0
	v_mul_f32_e32 v4, 0x5f7ffffc, v4
	v_mul_f32_e32 v5, 0x2f800000, v4
	v_trunc_f32_e32 v5, v5
	v_fmac_f32_e32 v4, 0xcf800000, v5
	v_cvt_u32_f32_e32 v5, v5
	v_cvt_u32_f32_e32 v4, v4
	v_readfirstlane_b32 s26, v5
	v_readfirstlane_b32 s4, v4
	s_mul_i32 s5, s9, s26
	s_mul_hi_u32 s28, s9, s4
	s_mul_i32 s27, s25, s4
	s_add_i32 s5, s28, s5
	s_mul_i32 s29, s9, s4
	s_add_i32 s5, s5, s27
	s_mul_i32 s28, s4, s5
	s_mul_hi_u32 s30, s4, s29
	s_mul_hi_u32 s27, s4, s5
	s_add_u32 s28, s30, s28
	s_addc_u32 s27, 0, s27
	s_mul_hi_u32 s31, s26, s29
	s_mul_i32 s29, s26, s29
	s_add_u32 s28, s28, s29
	s_mul_hi_u32 s30, s26, s5
	s_addc_u32 s27, s27, s31
	s_addc_u32 s28, s30, 0
	s_mul_i32 s5, s26, s5
	s_add_u32 s5, s27, s5
	s_addc_u32 s27, 0, s28
	s_add_u32 s28, s4, s5
	s_cselect_b64 s[4:5], -1, 0
	s_cmp_lg_u64 s[4:5], 0
	s_addc_u32 s26, s26, s27
	s_mul_i32 s4, s9, s26
	s_mul_hi_u32 s5, s9, s28
	s_add_i32 s4, s5, s4
	s_mul_i32 s25, s25, s28
	s_add_i32 s4, s4, s25
	s_mul_i32 s9, s9, s28
	s_mul_hi_u32 s25, s26, s9
	s_mul_i32 s27, s26, s9
	s_mul_i32 s30, s28, s4
	s_mul_hi_u32 s9, s28, s9
	s_mul_hi_u32 s29, s28, s4
	s_add_u32 s9, s9, s30
	s_addc_u32 s29, 0, s29
	s_add_u32 s9, s9, s27
	s_mul_hi_u32 s5, s26, s4
	s_addc_u32 s9, s29, s25
	s_addc_u32 s5, s5, 0
	s_mul_i32 s4, s26, s4
	s_add_u32 s4, s9, s4
	s_addc_u32 s9, 0, s5
	s_add_u32 s25, s28, s4
	s_cselect_b64 s[4:5], -1, 0
	s_cmp_lg_u64 s[4:5], 0
	s_addc_u32 s9, s26, s9
	s_ashr_i32 s4, s1, 31
	s_add_u32 s26, s8, s4
	s_mov_b32 s5, s4
	s_addc_u32 s27, s1, s4
	s_xor_b64 s[26:27], s[26:27], s[4:5]
	s_mul_i32 s28, s26, s9
	s_mul_hi_u32 s29, s26, s25
	s_mul_hi_u32 s1, s26, s9
	s_add_u32 s28, s29, s28
	s_addc_u32 s1, 0, s1
	s_mul_hi_u32 s30, s27, s25
	s_mul_i32 s25, s27, s25
	s_add_u32 s25, s28, s25
	s_mul_hi_u32 s29, s27, s9
	s_addc_u32 s1, s1, s30
	s_addc_u32 s25, s29, 0
	s_mul_i32 s9, s27, s9
	s_add_u32 s1, s1, s9
	s_addc_u32 s9, 0, s25
	s_mul_i32 s25, s2, s9
	s_mul_hi_u32 s28, s2, s1
	s_add_i32 s25, s28, s25
	s_mul_i32 s28, s3, s1
	s_add_i32 s25, s25, s28
	s_sub_i32 s30, s27, s25
	s_mul_i32 s28, s2, s1
	s_sub_u32 s26, s26, s28
	s_cselect_b64 s[28:29], -1, 0
	s_cmp_lg_u64 s[28:29], 0
	s_subb_u32 s33, s30, s3
	s_sub_u32 s34, s26, s2
	s_cselect_b64 s[30:31], -1, 0
	s_cmp_lg_u64 s[30:31], 0
	s_subb_u32 s30, s33, 0
	s_cmp_ge_u32 s30, s3
	s_cselect_b32 s31, -1, 0
	s_cmp_ge_u32 s34, s2
	s_cselect_b32 s33, -1, 0
	s_cmp_eq_u32 s30, s3
	s_cselect_b32 s30, s33, s31
	s_add_u32 s31, s1, 1
	s_addc_u32 s33, s9, 0
	s_add_u32 s34, s1, 2
	s_addc_u32 s35, s9, 0
	s_cmp_lg_u32 s30, 0
	s_cselect_b32 s30, s34, s31
	s_cselect_b32 s31, s35, s33
	s_cmp_lg_u64 s[28:29], 0
	s_subb_u32 s25, s27, s25
	s_cmp_ge_u32 s25, s3
	s_cselect_b32 s27, -1, 0
	s_cmp_ge_u32 s26, s2
	s_cselect_b32 s2, -1, 0
	s_cmp_eq_u32 s25, s3
	s_cselect_b32 s2, s2, s27
	s_cmp_lg_u32 s2, 0
	s_cselect_b32 s3, s31, s9
	s_cselect_b32 s2, s30, s1
	s_xor_b64 s[4:5], s[4:5], 0
	s_xor_b64 s[2:3], s[2:3], s[4:5]
	s_sub_u32 s4, s2, s4
	s_cbranch_execnz .LBB7_11
.LBB7_10:
	s_sub_i32 s1, 0, s22
	v_readfirstlane_b32 s2, v7
	s_mul_i32 s1, s1, s2
	s_mul_hi_u32 s1, s2, s1
	s_add_i32 s2, s2, s1
	s_mul_hi_u32 s1, s8, s2
	s_mul_i32 s3, s1, s22
	s_sub_i32 s3, s8, s3
	s_add_i32 s2, s1, 1
	s_sub_i32 s4, s3, s22
	s_cmp_ge_u32 s3, s22
	s_cselect_b32 s1, s2, s1
	s_cselect_b32 s3, s4, s3
	s_add_i32 s2, s1, 1
	s_cmp_ge_u32 s3, s22
	s_cselect_b32 s4, s2, s1
.LBB7_11:
	s_cmp_lg_u32 s6, s4
	s_cbranch_scc0 .LBB7_15
; %bb.12:
	s_add_i32 s1, s24, s22
	s_lshl_b32 s1, s1, 6
	s_add_i32 s2, s1, s15
	s_mov_b32 s3, s0
	s_lshl_b64 s[2:3], s[2:3], 3
	s_add_u32 s8, s18, s2
	s_mul_hi_u32 s1, s4, s12
	s_addc_u32 s9, s19, s3
	s_add_i32 s1, s1, s4
	s_lshr_b32 s1, s1, s13
	s_mul_i32 s2, s1, s14
	s_cmp_eq_u32 s2, s4
	s_cselect_b64 s[2:3], -1, 0
	s_cmp_lt_u32 s1, s7
	s_cselect_b64 s[26:27], -1, 0
	s_or_b64 s[26:27], s[26:27], s[2:3]
	s_mov_b64 s[2:3], -1
	s_and_b64 vcc, exec, s[26:27]
	s_mov_b32 s1, s24
	s_mov_b32 s25, s6
	s_cbranch_vccnz .LBB7_14
; %bb.13:
	s_add_i32 s1, s24, -1
	s_mov_b64 s[2:3], 0
	s_mov_b32 s25, s4
.LBB7_14:
	v_lshl_add_u32 v4, s24, 12, v6
	v_ashrrev_i32_e32 v5, 31, v4
	v_lshl_add_u64 v[4:5], v[4:5], 2, s[16:17]
	global_load_dword v5, v[4:5], off
	s_load_dwordx2 s[4:5], s[8:9], 0x0
	v_max_f32_e32 v4, v9, v9
	s_waitcnt lgkmcnt(0)
	v_max_f32_e64 v10, s4, s4
	v_max_f32_e32 v10, v4, v10
	v_sub_f32_e32 v11, v9, v10
	v_sub_f32_e32 v13, s4, v10
	v_mul_f32_e32 v4, 0x3fb8aa3b, v11
	v_mul_f32_e32 v12, 0x3fb8aa3b, v13
	v_fma_f32 v14, v11, s10, -v4
	v_rndne_f32_e32 v15, v4
	v_fma_f32 v16, v13, s10, -v12
	v_rndne_f32_e32 v17, v12
	v_fmac_f32_e32 v14, 0x32a5705f, v11
	v_sub_f32_e32 v4, v4, v15
	v_fmac_f32_e32 v16, 0x32a5705f, v13
	v_sub_f32_e32 v12, v12, v17
	v_add_f32_e32 v4, v4, v14
	v_cvt_i32_f32_e32 v15, v15
	v_add_f32_e32 v12, v12, v16
	v_exp_f32_e32 v14, v4
	v_cvt_i32_f32_e32 v17, v17
	v_exp_f32_e32 v12, v12
	v_cmp_ngt_f32_e32 vcc, s20, v11
	v_ldexp_f32 v14, v14, v15
	v_mov_b32_e32 v4, s5
	v_ldexp_f32 v12, v12, v17
	v_cndmask_b32_e32 v14, 0, v14, vcc
	v_cmp_ngt_f32_e32 vcc, s20, v13
	s_nop 1
	v_cndmask_b32_e32 v12, 0, v12, vcc
	v_cmp_nlt_f32_e32 vcc, s21, v11
	s_nop 1
	v_cndmask_b32_e32 v14, v8, v14, vcc
	v_cmp_nlt_f32_e32 vcc, s21, v13
	s_nop 1
	v_cndmask_b32_e32 v15, v8, v12, vcc
	v_cmp_le_f32_e32 vcc, s23, v11
	s_nop 1
	v_cndmask_b32_e32 v12, 0, v14, vcc
	v_cmp_le_f32_e32 vcc, s23, v13
	s_nop 1
	v_cndmask_b32_e32 v14, 0, v15, vcc
	s_waitcnt vmcnt(0)
	v_pk_mul_f32 v[4:5], v[4:5], v[14:15] op_sel_hi:[1,0]
	s_nop 0
	v_pk_fma_f32 v[4:5], v[0:1], v[12:13], v[4:5] op_sel_hi:[1,0,1]
	s_cbranch_execz .LBB7_16
	s_branch .LBB7_17
.LBB7_15:
                                        ; implicit-def: $vgpr4_vgpr5
                                        ; implicit-def: $sgpr2_sgpr3
                                        ; implicit-def: $vgpr10
                                        ; implicit-def: $sgpr1
                                        ; implicit-def: $sgpr25
.LBB7_16:
	s_add_i32 s1, s24, -1
	s_mov_b64 s[2:3], 0
	s_mov_b32 s25, s6
	v_mov_b32_e32 v10, v9
	s_waitcnt vmcnt(0)
	v_mov_b64_e32 v[4:5], v[0:1]
.LBB7_17:
	s_andn2_b64 vcc, exec, s[2:3]
	s_cbranch_vccz .LBB7_22
; %bb.18:
	s_mov_b32 s6, s25
	s_mov_b32 s24, s1
	v_mov_b32_e32 v9, v10
	s_waitcnt vmcnt(0)
	v_mov_b64_e32 v[0:1], v[4:5]
	s_mul_hi_i32 s1, s24, s11
	s_cmp_lg_u64 s[0:1], 0
	s_mul_i32 s8, s24, s11
	s_cbranch_scc1 .LBB7_9
.LBB7_19:
                                        ; implicit-def: $sgpr4_sgpr5
	s_branch .LBB7_10
.LBB7_20:
                                        ; implicit-def: $sgpr6_sgpr7
	s_load_dwordx4 s[12:15], s[0:1], 0x44
	s_branch .LBB7_2
.LBB7_21:
                                        ; implicit-def: $sgpr18_sgpr19
	s_branch .LBB7_5
.LBB7_22:
	v_div_scale_f32 v0, s[0:1], v4, v4, v5
	s_waitcnt vmcnt(0)
	v_rcp_f32_e32 v1, v0
	v_div_scale_f32 v6, vcc, v5, v4, v5
	v_fma_f32 v7, -v0, v1, 1.0
	v_fmac_f32_e32 v1, v7, v1
	v_mul_f32_e32 v7, v6, v1
	v_fma_f32 v8, -v0, v7, v6
	v_fmac_f32_e32 v7, v8, v1
	v_fma_f32 v0, -v0, v7, v6
	v_div_fmas_f32 v0, v0, v1, v7
	v_div_fixup_f32 v0, v0, v4, v5
	global_store_dword v[2:3], v0, off
.LBB7_23:
	s_endpgm
	.section	.rodata,"a",@progbits
	.p2align	6, 0x0
	.amdhsa_kernel _ZL33flash_attn_stream_k_fixup_generalILi64ELi16ELi4EEvPfPK15HIP_vector_typeIfLj2EEiiiiS1_IjLj3EES5_S5_S5_
		.amdhsa_group_segment_fixed_size 0
		.amdhsa_private_segment_fixed_size 0
		.amdhsa_kernarg_size 336
		.amdhsa_user_sgpr_count 2
		.amdhsa_user_sgpr_dispatch_ptr 0
		.amdhsa_user_sgpr_queue_ptr 0
		.amdhsa_user_sgpr_kernarg_segment_ptr 1
		.amdhsa_user_sgpr_dispatch_id 0
		.amdhsa_user_sgpr_kernarg_preload_length 0
		.amdhsa_user_sgpr_kernarg_preload_offset 0
		.amdhsa_user_sgpr_private_segment_size 0
		.amdhsa_uses_dynamic_stack 0
		.amdhsa_enable_private_segment 0
		.amdhsa_system_sgpr_workgroup_id_x 1
		.amdhsa_system_sgpr_workgroup_id_y 1
		.amdhsa_system_sgpr_workgroup_id_z 1
		.amdhsa_system_sgpr_workgroup_info 0
		.amdhsa_system_vgpr_workitem_id 0
		.amdhsa_next_free_vgpr 18
		.amdhsa_next_free_sgpr 36
		.amdhsa_accum_offset 20
		.amdhsa_reserve_vcc 1
		.amdhsa_float_round_mode_32 0
		.amdhsa_float_round_mode_16_64 0
		.amdhsa_float_denorm_mode_32 3
		.amdhsa_float_denorm_mode_16_64 3
		.amdhsa_dx10_clamp 1
		.amdhsa_ieee_mode 1
		.amdhsa_fp16_overflow 0
		.amdhsa_tg_split 0
		.amdhsa_exception_fp_ieee_invalid_op 0
		.amdhsa_exception_fp_denorm_src 0
		.amdhsa_exception_fp_ieee_div_zero 0
		.amdhsa_exception_fp_ieee_overflow 0
		.amdhsa_exception_fp_ieee_underflow 0
		.amdhsa_exception_fp_ieee_inexact 0
		.amdhsa_exception_int_div_zero 0
	.end_amdhsa_kernel
	.section	.text._ZL33flash_attn_stream_k_fixup_generalILi64ELi16ELi4EEvPfPK15HIP_vector_typeIfLj2EEiiiiS1_IjLj3EES5_S5_S5_,"axG",@progbits,_ZL33flash_attn_stream_k_fixup_generalILi64ELi16ELi4EEvPfPK15HIP_vector_typeIfLj2EEiiiiS1_IjLj3EES5_S5_S5_,comdat
.Lfunc_end7:
	.size	_ZL33flash_attn_stream_k_fixup_generalILi64ELi16ELi4EEvPfPK15HIP_vector_typeIfLj2EEiiiiS1_IjLj3EES5_S5_S5_, .Lfunc_end7-_ZL33flash_attn_stream_k_fixup_generalILi64ELi16ELi4EEvPfPK15HIP_vector_typeIfLj2EEiiiiS1_IjLj3EES5_S5_S5_
                                        ; -- End function
	.set _ZL33flash_attn_stream_k_fixup_generalILi64ELi16ELi4EEvPfPK15HIP_vector_typeIfLj2EEiiiiS1_IjLj3EES5_S5_S5_.num_vgpr, 18
	.set _ZL33flash_attn_stream_k_fixup_generalILi64ELi16ELi4EEvPfPK15HIP_vector_typeIfLj2EEiiiiS1_IjLj3EES5_S5_S5_.num_agpr, 0
	.set _ZL33flash_attn_stream_k_fixup_generalILi64ELi16ELi4EEvPfPK15HIP_vector_typeIfLj2EEiiiiS1_IjLj3EES5_S5_S5_.numbered_sgpr, 36
	.set _ZL33flash_attn_stream_k_fixup_generalILi64ELi16ELi4EEvPfPK15HIP_vector_typeIfLj2EEiiiiS1_IjLj3EES5_S5_S5_.num_named_barrier, 0
	.set _ZL33flash_attn_stream_k_fixup_generalILi64ELi16ELi4EEvPfPK15HIP_vector_typeIfLj2EEiiiiS1_IjLj3EES5_S5_S5_.private_seg_size, 0
	.set _ZL33flash_attn_stream_k_fixup_generalILi64ELi16ELi4EEvPfPK15HIP_vector_typeIfLj2EEiiiiS1_IjLj3EES5_S5_S5_.uses_vcc, 1
	.set _ZL33flash_attn_stream_k_fixup_generalILi64ELi16ELi4EEvPfPK15HIP_vector_typeIfLj2EEiiiiS1_IjLj3EES5_S5_S5_.uses_flat_scratch, 0
	.set _ZL33flash_attn_stream_k_fixup_generalILi64ELi16ELi4EEvPfPK15HIP_vector_typeIfLj2EEiiiiS1_IjLj3EES5_S5_S5_.has_dyn_sized_stack, 0
	.set _ZL33flash_attn_stream_k_fixup_generalILi64ELi16ELi4EEvPfPK15HIP_vector_typeIfLj2EEiiiiS1_IjLj3EES5_S5_S5_.has_recursion, 0
	.set _ZL33flash_attn_stream_k_fixup_generalILi64ELi16ELi4EEvPfPK15HIP_vector_typeIfLj2EEiiiiS1_IjLj3EES5_S5_S5_.has_indirect_call, 0
	.section	.AMDGPU.csdata,"",@progbits
; Kernel info:
; codeLenInByte = 2940
; TotalNumSgprs: 42
; NumVgprs: 18
; NumAgprs: 0
; TotalNumVgprs: 18
; ScratchSize: 0
; MemoryBound: 0
; FloatMode: 240
; IeeeMode: 1
; LDSByteSize: 0 bytes/workgroup (compile time only)
; SGPRBlocks: 5
; VGPRBlocks: 2
; NumSGPRsForWavesPerEU: 42
; NumVGPRsForWavesPerEU: 18
; AccumOffset: 20
; Occupancy: 8
; WaveLimiterHint : 0
; COMPUTE_PGM_RSRC2:SCRATCH_EN: 0
; COMPUTE_PGM_RSRC2:USER_SGPR: 2
; COMPUTE_PGM_RSRC2:TRAP_HANDLER: 0
; COMPUTE_PGM_RSRC2:TGID_X_EN: 1
; COMPUTE_PGM_RSRC2:TGID_Y_EN: 1
; COMPUTE_PGM_RSRC2:TGID_Z_EN: 1
; COMPUTE_PGM_RSRC2:TIDIG_COMP_CNT: 0
; COMPUTE_PGM_RSRC3_GFX90A:ACCUM_OFFSET: 4
; COMPUTE_PGM_RSRC3_GFX90A:TG_SPLIT: 0
	.section	.text._ZL26flash_attn_combine_resultsILi64EEvPKfPK15HIP_vector_typeIfLj2EEPfi,"axG",@progbits,_ZL26flash_attn_combine_resultsILi64EEvPKfPK15HIP_vector_typeIfLj2EEPfi,comdat
	.globl	_ZL26flash_attn_combine_resultsILi64EEvPKfPK15HIP_vector_typeIfLj2EEPfi ; -- Begin function _ZL26flash_attn_combine_resultsILi64EEvPKfPK15HIP_vector_typeIfLj2EEPfi
	.p2align	8
	.type	_ZL26flash_attn_combine_resultsILi64EEvPKfPK15HIP_vector_typeIfLj2EEPfi,@function
_ZL26flash_attn_combine_resultsILi64EEvPKfPK15HIP_vector_typeIfLj2EEPfi: ; @_ZL26flash_attn_combine_resultsILi64EEvPKfPK15HIP_vector_typeIfLj2EEPfi
; %bb.0:
	s_load_dwordx2 s[6:7], s[0:1], 0x20
	s_load_dword s19, s[0:1], 0x18
	s_load_dwordx4 s[8:11], s[0:1], 0x0
	s_load_dwordx2 s[14:15], s[0:1], 0x10
	s_waitcnt lgkmcnt(0)
	s_mul_i32 s0, s6, s4
	s_add_i32 s0, s0, s2
	s_mul_i32 s18, s0, s7
	s_add_i32 s18, s18, s3
	s_lshl_b32 s20, s19, 1
	s_mul_i32 s2, s18, s19
	v_cmp_gt_i32_e32 vcc, s20, v0
	s_and_saveexec_b64 s[0:1], vcc
	s_cbranch_execz .LBB8_13
; %bb.1:
	v_xad_u32 v1, v0, -1, s20
	s_ashr_i32 s3, s2, 31
	v_cmp_lt_u32_e32 vcc, 63, v1
	s_mov_b64 s[6:7], -1
	v_mov_b32_e32 v2, v0
	s_and_saveexec_b64 s[4:5], vcc
	s_cbranch_execz .LBB8_10
; %bb.2:
	v_lshrrev_b32_e32 v6, 6, v1
	s_lshl_b64 s[6:7], s[2:3], 3
	v_add_u32_e32 v2, -1, v6
	s_add_u32 s6, s10, s6
	v_or_b32_e32 v1, 64, v0
	v_lshrrev_b32_e32 v3, 1, v2
	s_addc_u32 s7, s11, s7
	s_mov_b32 s21, 0
	v_add_u32_e32 v7, 1, v3
	v_cmp_lt_u32_e32 vcc, 13, v2
	v_mov_b32_e32 v4, 0
	v_mov_b64_e32 v[2:3], v[0:1]
	s_and_saveexec_b64 s[12:13], vcc
	s_cbranch_execz .LBB8_6
; %bb.3:
	v_and_b32_e32 v8, -8, v7
	v_lshl_add_u32 v9, v0, 2, 0
	s_mov_b64 s[16:17], 0
	v_mov_b32_e32 v5, 0
	v_mov_b64_e32 v[2:3], v[0:1]
.LBB8_4:                                ; =>This Inner Loop Header: Depth=1
	v_mov_b32_e32 v4, v2
	v_lshl_add_u64 v[24:25], v[4:5], 2, s[6:7]
	v_mov_b32_e32 v4, v3
	v_add_u32_e32 v10, 0x80, v3
	v_mov_b32_e32 v11, v5
	v_lshl_add_u64 v[26:27], v[4:5], 2, s[6:7]
	v_add_u32_e32 v4, 0x80, v2
	v_lshl_add_u64 v[10:11], v[10:11], 2, s[6:7]
	global_load_dword v1, v[24:25], off
	v_lshl_add_u64 v[24:25], v[4:5], 2, s[6:7]
	v_add_u32_e32 v4, 0x100, v2
	global_load_dword v28, v[26:27], off
	global_load_dword v29, v[24:25], off
	;; [unrolled: 1-line block ×3, first 2 shown]
	v_lshl_add_u64 v[10:11], v[4:5], 2, s[6:7]
	v_add_u32_e32 v4, 0x180, v2
	v_add_u32_e32 v12, 0x100, v3
	v_mov_b32_e32 v13, v5
	v_add_u32_e32 v14, 0x180, v3
	v_mov_b32_e32 v15, v5
	v_lshl_add_u64 v[24:25], v[4:5], 2, s[6:7]
	v_add_u32_e32 v4, 0x200, v2
	v_lshl_add_u64 v[12:13], v[12:13], 2, s[6:7]
	v_lshl_add_u64 v[14:15], v[14:15], 2, s[6:7]
	global_load_dword v26, v[10:11], off
	global_load_dword v27, v[12:13], off
	;; [unrolled: 1-line block ×4, first 2 shown]
	v_lshl_add_u64 v[10:11], v[4:5], 2, s[6:7]
	v_add_u32_e32 v4, 0x280, v2
	v_add_u32_e32 v16, 0x200, v3
	v_mov_b32_e32 v17, v5
	v_add_u32_e32 v18, 0x280, v3
	v_mov_b32_e32 v19, v5
	v_lshl_add_u64 v[12:13], v[4:5], 2, s[6:7]
	v_add_u32_e32 v4, 0x300, v2
	v_add_u32_e32 v20, 0x300, v3
	v_mov_b32_e32 v21, v5
	v_add_u32_e32 v22, 0x380, v3
	v_mov_b32_e32 v23, v5
	v_lshl_add_u64 v[16:17], v[16:17], 2, s[6:7]
	v_lshl_add_u64 v[18:19], v[18:19], 2, s[6:7]
	global_load_dword v14, v[10:11], off
	global_load_dword v15, v[16:17], off
	;; [unrolled: 1-line block ×4, first 2 shown]
	v_lshl_add_u64 v[10:11], v[4:5], 2, s[6:7]
	v_add_u32_e32 v4, 0x380, v2
	v_lshl_add_u64 v[20:21], v[20:21], 2, s[6:7]
	v_lshl_add_u64 v[22:23], v[22:23], 2, s[6:7]
	;; [unrolled: 1-line block ×3, first 2 shown]
	global_load_dword v16, v[10:11], off
	global_load_dword v17, v[20:21], off
	;; [unrolled: 1-line block ×4, first 2 shown]
	v_add_u32_e32 v8, -8, v8
	s_add_i32 s21, s21, 16
	v_cmp_eq_u32_e32 vcc, 0, v8
	v_add_u32_e32 v3, 0x400, v3
	v_mov_b32_e32 v4, s21
	s_or_b64 s[16:17], vcc, s[16:17]
	v_add_u32_e32 v2, 0x400, v2
	s_waitcnt vmcnt(14)
	ds_write2st64_b32 v9, v1, v28 offset1:1
	s_waitcnt vmcnt(12)
	ds_write2st64_b32 v9, v29, v30 offset0:2 offset1:3
	s_waitcnt vmcnt(10)
	ds_write2st64_b32 v9, v26, v27 offset0:4 offset1:5
	;; [unrolled: 2-line block ×7, first 2 shown]
	v_add_u32_e32 v9, 0x1000, v9
	s_andn2_b64 exec, exec, s[16:17]
	s_cbranch_execnz .LBB8_4
; %bb.5:
	s_or_b64 exec, exec, s[16:17]
.LBB8_6:
	s_or_b64 exec, exec, s[12:13]
	v_and_b32_e32 v1, 7, v7
	v_cmp_ne_u32_e32 vcc, 0, v1
	s_and_saveexec_b64 s[12:13], vcc
	s_cbranch_execz .LBB8_9
; %bb.7:
	v_lshlrev_b32_e32 v5, 2, v0
	v_lshl_or_b32 v4, v4, 8, v5
	v_add_u32_e32 v7, 0, v4
	s_mov_b64 s[16:17], 0
	v_mov_b32_e32 v5, 0
.LBB8_8:                                ; =>This Inner Loop Header: Depth=1
	v_mov_b32_e32 v4, v2
	v_lshl_add_u64 v[8:9], v[4:5], 2, s[6:7]
	v_mov_b32_e32 v4, v3
	v_lshl_add_u64 v[10:11], v[4:5], 2, s[6:7]
	global_load_dword v4, v[8:9], off
	global_load_dword v12, v[10:11], off
	v_add_u32_e32 v1, -1, v1
	v_cmp_eq_u32_e32 vcc, 0, v1
	v_add_u32_e32 v2, 0x80, v2
	v_add_u32_e32 v3, 0x80, v3
	s_or_b64 s[16:17], vcc, s[16:17]
	s_waitcnt vmcnt(0)
	ds_write2st64_b32 v7, v4, v12 offset1:1
	v_add_u32_e32 v7, 0x200, v7
	s_andn2_b64 exec, exec, s[16:17]
	s_cbranch_execnz .LBB8_8
.LBB8_9:
	s_or_b64 exec, exec, s[12:13]
	v_add_u32_e32 v1, 1, v6
	v_and_b32_e32 v3, 0x7fffffe, v1
	v_cmp_ne_u32_e32 vcc, v1, v3
	v_lshl_or_b32 v2, v3, 6, v0
	s_orn2_b64 s[6:7], vcc, exec
.LBB8_10:
	s_or_b64 exec, exec, s[4:5]
	s_and_b64 exec, exec, s[6:7]
	s_cbranch_execz .LBB8_13
; %bb.11:
	s_lshl_b64 s[4:5], s[2:3], 3
	s_add_u32 s4, s10, s4
	v_mov_b32_e32 v3, 0
	s_addc_u32 s5, s11, s5
	v_lshl_add_u64 v[4:5], v[2:3], 2, s[4:5]
	v_lshl_add_u32 v1, v2, 2, 0
	s_mov_b64 s[4:5], 0
	s_mov_b64 s[6:7], 0x100
.LBB8_12:                               ; =>This Inner Loop Header: Depth=1
	global_load_dword v3, v[4:5], off
	v_add_u32_e32 v2, 64, v2
	v_cmp_le_i32_e32 vcc, s20, v2
	v_lshl_add_u64 v[4:5], v[4:5], 0, s[6:7]
	s_or_b64 s[4:5], vcc, s[4:5]
	s_waitcnt vmcnt(0)
	ds_write_b32 v1, v3
	v_add_u32_e32 v1, 0x100, v1
	s_andn2_b64 exec, exec, s[4:5]
	s_cbranch_execnz .LBB8_12
.LBB8_13:
	s_or_b64 exec, exec, s[0:1]
	v_mov_b32_e32 v1, 0
	s_waitcnt lgkmcnt(0)
	; wave barrier
	ds_read_b32 v1, v1
	s_cmp_lt_i32 s19, 2
	s_cbranch_scc1 .LBB8_21
; %bb.14:
	s_cmp_eq_u32 s19, 2
	s_cbranch_scc1 .LBB8_18
; %bb.15:
	s_add_i32 s3, s19, -1
	s_and_b32 s4, s3, -2
	s_add_i32 s6, 0, 8
	s_mov_b32 s5, 2
	s_waitcnt lgkmcnt(0)
	v_mov_b32_e32 v4, v1
.LBB8_16:                               ; =>This Inner Loop Header: Depth=1
	v_mov_b32_e32 v2, v1
	v_mov_b32_e32 v1, s6
	;; [unrolled: 1-line block ×3, first 2 shown]
	ds_read2_b32 v[4:5], v1 offset1:2
	s_cmp_lg_u32 s4, s5
	s_cselect_b64 s[10:11], -1, 0
	v_max_f32_e32 v1, v3, v3
	v_max_f32_e32 v6, v2, v2
	s_waitcnt lgkmcnt(0)
	v_cmp_u_f32_e32 vcc, v5, v5
	v_max_f32_e32 v7, v5, v5
	v_max_f32_e32 v8, v4, v4
	v_cndmask_b32_e64 v5, 0, 1, vcc
	v_cmp_u_f32_e32 vcc, v4, v4
	v_readfirstlane_b32 s0, v5
	s_lshl_b32 s0, s0, 1
	v_cndmask_b32_e64 v9, 0, 1, vcc
	v_max_f32_e32 v4, v1, v7
	v_readfirstlane_b32 s1, v9
	s_or_b32 s0, s1, s0
	s_and_b32 s7, s0, 3
	s_cmp_lg_u32 s7, 0
	s_cselect_b64 s[0:1], -1, 0
	s_cmp_eq_u32 s7, 0
	s_cselect_b64 s[12:13], -1, 0
	s_and_b64 s[10:11], s[12:13], s[10:11]
	v_max_f32_e32 v1, v6, v8
	s_add_i32 s5, s5, 2
	s_add_i32 s6, s6, 16
	s_and_b64 vcc, exec, s[10:11]
	s_cbranch_vccnz .LBB8_16
; %bb.17:
	s_add_i32 s5, s5, -4
	s_and_b64 s[6:7], s[0:1], exec
	s_cselect_b32 s5, s5, s3
	s_or_b32 s5, s5, 1
	v_cndmask_b32_e64 v1, v1, v2, s[0:1]
	v_cndmask_b32_e64 v2, v4, v3, s[0:1]
	s_cmp_lg_u32 s3, s4
	v_max_f32_e32 v2, v2, v2
	v_max_f32_e32 v1, v1, v1
	s_cselect_b64 s[6:7], -1, 0
	v_max_f32_e32 v1, v1, v2
	s_or_b64 s[0:1], s[6:7], s[0:1]
	s_and_b64 vcc, exec, s[0:1]
	s_cbranch_vccnz .LBB8_19
	s_branch .LBB8_21
.LBB8_18:
	s_mov_b32 s5, 1
	s_cbranch_execz .LBB8_21
.LBB8_19:
	s_lshl_b32 s1, s5, 3
	s_sub_i32 s0, s19, s5
	s_add_i32 s1, s1, 0
.LBB8_20:                               ; =>This Inner Loop Header: Depth=1
	v_mov_b32_e32 v2, s1
	ds_read_b32 v2, v2
	s_waitcnt lgkmcnt(1)
	v_max_f32_e32 v1, v1, v1
	s_add_i32 s0, s0, -1
	s_add_i32 s1, s1, 8
	s_cmp_eq_u32 s0, 0
	s_waitcnt lgkmcnt(0)
	v_max_f32_e32 v2, v2, v2
	v_max_f32_e32 v1, v1, v2
	s_cbranch_scc0 .LBB8_20
.LBB8_21:
	s_cmp_lt_i32 s19, 1
	s_cbranch_scc1 .LBB8_26
; %bb.22:
	s_lshl_b32 s0, s2, 6
	s_ashr_i32 s1, s0, 31
	s_lshl_b64 s[0:1], s[0:1], 2
	s_add_u32 s16, s8, s0
	s_addc_u32 s17, s9, s1
	s_cmp_lt_u32 s19, 8
	s_cbranch_scc1 .LBB8_27
; %bb.23:
	v_mov_b32_e32 v7, 0
	s_and_b32 s20, s19, 0x7ffffff8
	v_or_b32_e32 v4, 0x1c0, v0
	s_mov_b32 s21, 0
	s_mov_b32 s22, 0x3fb8aa3b
	;; [unrolled: 1-line block ×4, first 2 shown]
	v_mov_b32_e32 v8, 0x7f800000
	s_mov_b32 s25, 0
	v_mov_b32_e32 v2, v7
	v_mov_b32_e32 v3, v7
.LBB8_24:                               ; =>This Inner Loop Header: Depth=1
	v_add_u32_e32 v6, 0xfffffe40, v4
	v_lshl_add_u64 v[26:27], v[6:7], 2, s[16:17]
	v_add_u32_e32 v6, 0xfffffe80, v4
	v_mov_b32_e32 v9, s21
	v_lshl_add_u64 v[30:31], v[6:7], 2, s[16:17]
	v_add_u32_e32 v6, 0xfffffec0, v4
	ds_read2_b64 v[10:13], v9 offset1:1
	ds_read2_b64 v[14:17], v9 offset0:2 offset1:3
	ds_read2_b64 v[18:21], v9 offset0:4 offset1:5
	;; [unrolled: 1-line block ×3, first 2 shown]
	global_load_dword v33, v[26:27], off
	global_load_dword v35, v[30:31], off
	v_lshl_add_u64 v[26:27], v[6:7], 2, s[16:17]
	v_add_u32_e32 v6, 0xffffff00, v4
	v_lshl_add_u64 v[30:31], v[6:7], 2, s[16:17]
	v_add_u32_e32 v6, 0xffffff40, v4
	global_load_dword v37, v[26:27], off
	global_load_dword v39, v[30:31], off
	v_lshl_add_u64 v[26:27], v[6:7], 2, s[16:17]
	v_add_u32_e32 v6, 0xffffff80, v4
	s_waitcnt lgkmcnt(3)
	v_mov_b32_e32 v32, v11
	v_sub_f32_e32 v9, v12, v1
	v_mov_b32_e32 v34, v13
	global_load_dword v11, v[26:27], off
	v_lshl_add_u64 v[12:13], v[6:7], 2, s[16:17]
	s_waitcnt lgkmcnt(2)
	v_mov_b32_e32 v36, v15
	v_subrev_u32_e32 v6, 64, v4
	global_load_dword v15, v[12:13], off
	v_mov_b32_e32 v5, v7
	v_lshl_add_u64 v[12:13], v[6:7], 2, s[16:17]
	v_lshl_add_u64 v[28:29], v[4:5], 2, s[16:17]
	v_sub_f32_e32 v5, v10, v1
	v_mov_b32_e32 v38, v17
	s_waitcnt lgkmcnt(1)
	v_mov_b32_e32 v10, v19
	global_load_dword v17, v[12:13], off
	global_load_dword v19, v[28:29], off
	v_sub_f32_e32 v30, v14, v1
	v_sub_f32_e32 v31, v16, v1
	;; [unrolled: 1-line block ×3, first 2 shown]
	v_mov_b32_e32 v14, v21
	s_waitcnt lgkmcnt(0)
	v_sub_f32_e32 v21, v22, v1
	v_mov_b32_e32 v16, v23
	v_sub_f32_e32 v22, v24, v1
	v_mul_f32_e32 v23, 0x3fb8aa3b, v5
	v_mov_b32_e32 v18, v25
	v_mul_f32_e32 v24, 0x3fb8aa3b, v9
	v_mul_f32_e32 v25, 0x3fb8aa3b, v30
	v_mul_f32_e32 v27, 0x3fb8aa3b, v40
	v_mul_f32_e32 v42, 0x3fb8aa3b, v21
	v_mul_f32_e32 v6, 0x3fb8aa3b, v22
	v_fma_f32 v43, v5, s22, -v23
	v_rndne_f32_e32 v44, v23
	v_sub_f32_e32 v20, v20, v1
	v_fma_f32 v45, v9, s22, -v24
	v_rndne_f32_e32 v46, v24
	v_fma_f32 v47, v30, s22, -v25
	v_rndne_f32_e32 v48, v25
	;; [unrolled: 2-line block ×5, first 2 shown]
	v_fmac_f32_e32 v43, 0x32a5705f, v5
	v_sub_f32_e32 v12, v23, v44
	v_mul_f32_e32 v26, 0x3fb8aa3b, v31
	v_mul_f32_e32 v41, 0x3fb8aa3b, v20
	v_fmac_f32_e32 v45, 0x32a5705f, v9
	v_sub_f32_e32 v23, v24, v46
	v_fmac_f32_e32 v47, 0x32a5705f, v30
	v_sub_f32_e32 v25, v25, v48
	;; [unrolled: 2-line block ×5, first 2 shown]
	v_add_f32_e32 v12, v12, v43
	v_fma_f32 v49, v31, s22, -v26
	v_rndne_f32_e32 v50, v26
	v_fma_f32 v53, v20, s22, -v41
	v_rndne_f32_e32 v54, v41
	v_cvt_i32_f32_e32 v13, v44
	v_add_f32_e32 v23, v23, v45
	v_add_f32_e32 v25, v25, v47
	;; [unrolled: 1-line block ×5, first 2 shown]
	v_exp_f32_e32 v12, v12
	v_cvt_i32_f32_e32 v24, v46
	v_cvt_i32_f32_e32 v28, v48
	v_fmac_f32_e32 v49, 0x32a5705f, v31
	v_sub_f32_e32 v26, v26, v50
	v_cvt_i32_f32_e32 v29, v50
	v_cvt_i32_f32_e32 v44, v52
	v_fmac_f32_e32 v53, 0x32a5705f, v20
	v_sub_f32_e32 v41, v41, v54
	v_cvt_i32_f32_e32 v48, v56
	v_cvt_i32_f32_e32 v50, v58
	v_exp_f32_e32 v23, v23
	v_exp_f32_e32 v25, v25
	;; [unrolled: 1-line block ×5, first 2 shown]
	v_add_f32_e32 v26, v26, v49
	v_add_f32_e32 v41, v41, v53
	v_cvt_i32_f32_e32 v46, v54
	v_exp_f32_e32 v26, v26
	v_exp_f32_e32 v41, v41
	v_ldexp_f32 v12, v12, v13
	v_cmp_ngt_f32_e64 s[12:13], s23, v5
	v_ldexp_f32 v13, v23, v24
	v_cmp_ngt_f32_e32 vcc, s23, v9
	v_ldexp_f32 v23, v25, v28
	v_ldexp_f32 v25, v27, v44
	;; [unrolled: 1-line block ×3, first 2 shown]
	v_cmp_ngt_f32_e64 s[8:9], s23, v21
	v_ldexp_f32 v6, v6, v50
	v_cmp_ngt_f32_e64 s[10:11], s23, v22
	v_cndmask_b32_e64 v12, 0, v12, s[12:13]
	v_cmp_nlt_f32_e64 s[12:13], s24, v5
	v_cmp_ngt_f32_e64 s[0:1], s23, v30
	v_cndmask_b32_e32 v13, 0, v13, vcc
	v_cmp_nlt_f32_e32 vcc, s24, v9
	v_cndmask_b32_e64 v27, 0, v27, s[8:9]
	v_cmp_nlt_f32_e64 s[8:9], s24, v21
	v_cndmask_b32_e64 v21, 0, v6, s[10:11]
	v_cndmask_b32_e64 v6, v8, v12, s[12:13]
	v_ldexp_f32 v24, v26, v29
	v_cmp_ngt_f32_e64 s[2:3], s23, v31
	v_cmp_ngt_f32_e64 s[4:5], s23, v40
	v_ldexp_f32 v26, v41, v46
	v_cmp_ngt_f32_e64 s[6:7], s23, v20
	v_cndmask_b32_e64 v9, 0, v23, s[0:1]
	v_cmp_nlt_f32_e64 s[0:1], s24, v30
	v_cndmask_b32_e32 v12, v8, v13, vcc
	s_waitcnt vmcnt(7)
	v_pk_fma_f32 v[2:3], v[6:7], v[32:33], v[2:3] op_sel_hi:[0,1,1]
	v_cndmask_b32_e64 v23, 0, v24, s[2:3]
	v_cmp_nlt_f32_e64 s[2:3], s24, v31
	v_cndmask_b32_e64 v24, 0, v25, s[4:5]
	v_cndmask_b32_e64 v25, 0, v26, s[6:7]
	v_cmp_nlt_f32_e64 s[6:7], s24, v20
	v_cndmask_b32_e64 v20, v8, v9, s[0:1]
	s_waitcnt vmcnt(6)
	v_pk_fma_f32 v[2:3], v[12:13], v[34:35], v[2:3] op_sel_hi:[0,1,1]
	v_cmp_nlt_f32_e64 s[4:5], s24, v40
	v_cmp_nlt_f32_e64 s[10:11], s24, v22
	v_cndmask_b32_e64 v22, v8, v23, s[2:3]
	s_waitcnt vmcnt(5)
	v_pk_fma_f32 v[2:3], v[20:21], v[36:37], v[2:3] op_sel_hi:[0,1,1]
	v_cndmask_b32_e64 v24, v8, v24, s[4:5]
	s_waitcnt vmcnt(4)
	v_pk_fma_f32 v[2:3], v[22:23], v[38:39], v[2:3] op_sel_hi:[0,1,1]
	;; [unrolled: 3-line block ×4, first 2 shown]
	s_add_i32 s25, s25, 8
	s_add_i32 s21, s21, 64
	v_cndmask_b32_e64 v30, v8, v21, s[10:11]
	s_waitcnt vmcnt(1)
	v_pk_fma_f32 v[2:3], v[28:29], v[16:17], v[2:3] op_sel_hi:[0,1,1]
	s_cmp_eq_u32 s20, s25
	v_add_u32_e32 v4, 0x200, v4
	s_waitcnt vmcnt(0)
	v_pk_fma_f32 v[2:3], v[30:31], v[18:19], v[2:3] op_sel_hi:[0,1,1]
	s_cbranch_scc0 .LBB8_24
; %bb.25:
	s_and_b32 s0, s19, 7
	s_cmp_eq_u32 s0, 0
	s_cbranch_scc0 .LBB8_28
	s_branch .LBB8_30
.LBB8_26:
	s_waitcnt lgkmcnt(0)
	v_mov_b32_e32 v1, 0x7fc00000
	s_branch .LBB8_31
.LBB8_27:
	v_mov_b32_e32 v2, 0
	s_mov_b32 s20, 0
	v_mov_b32_e32 v3, v2
	s_and_b32 s0, s19, 7
	s_cmp_eq_u32 s0, 0
	s_cbranch_scc1 .LBB8_30
.LBB8_28:
	s_lshl_b32 s1, s20, 3
	v_lshl_or_b32 v4, s20, 6, v0
	s_add_i32 s1, s1, 0
	s_mov_b32 s2, 0x3fb8aa3b
	s_mov_b32 s3, 0xc2ce8ed0
	;; [unrolled: 1-line block ×3, first 2 shown]
	v_mov_b32_e32 v6, 0x7f800000
	v_mov_b32_e32 v5, 0
.LBB8_29:                               ; =>This Inner Loop Header: Depth=1
	v_lshl_add_u64 v[8:9], v[4:5], 2, s[16:17]
	global_load_dword v9, v[8:9], off
	v_mov_b32_e32 v7, s1
	ds_read_b64 v[10:11], v7
	s_add_i32 s1, s1, 8
	s_add_i32 s0, s0, -1
	v_add_u32_e32 v4, 64, v4
	s_cmp_lg_u32 s0, 0
	s_waitcnt lgkmcnt(0)
	v_sub_f32_e32 v7, v10, v1
	v_mul_f32_e32 v8, 0x3fb8aa3b, v7
	v_fma_f32 v10, v7, s2, -v8
	v_rndne_f32_e32 v12, v8
	v_fmac_f32_e32 v10, 0x32a5705f, v7
	v_sub_f32_e32 v8, v8, v12
	v_add_f32_e32 v8, v8, v10
	v_cvt_i32_f32_e32 v12, v12
	v_exp_f32_e32 v10, v8
	v_cmp_ngt_f32_e32 vcc, s3, v7
	v_mov_b32_e32 v8, v11
	v_ldexp_f32 v10, v10, v12
	v_cndmask_b32_e32 v10, 0, v10, vcc
	v_cmp_nlt_f32_e32 vcc, s4, v7
	s_nop 1
	v_cndmask_b32_e32 v10, v6, v10, vcc
	s_waitcnt vmcnt(0)
	v_pk_fma_f32 v[2:3], v[10:11], v[8:9], v[2:3] op_sel_hi:[0,1,1]
	s_cbranch_scc1 .LBB8_29
.LBB8_30:
	s_waitcnt lgkmcnt(0)
	v_div_scale_f32 v1, s[0:1], v2, v2, v3
	v_rcp_f32_e32 v4, v1
	v_div_scale_f32 v5, vcc, v3, v2, v3
	v_fma_f32 v6, -v1, v4, 1.0
	v_fmac_f32_e32 v4, v6, v4
	v_mul_f32_e32 v6, v5, v4
	v_fma_f32 v7, -v1, v6, v5
	v_fmac_f32_e32 v6, v7, v4
	v_fma_f32 v1, -v1, v6, v5
	v_div_fmas_f32 v1, v1, v4, v6
	v_div_fixup_f32 v1, v1, v2, v3
.LBB8_31:
	s_lshl_b32 s0, s18, 6
	s_ashr_i32 s1, s0, 31
	s_lshl_b64 s[0:1], s[0:1], 2
	s_add_u32 s0, s14, s0
	s_addc_u32 s1, s15, s1
	v_lshlrev_b32_e32 v0, 2, v0
	global_store_dword v0, v1, s[0:1]
	s_endpgm
	.section	.rodata,"a",@progbits
	.p2align	6, 0x0
	.amdhsa_kernel _ZL26flash_attn_combine_resultsILi64EEvPKfPK15HIP_vector_typeIfLj2EEPfi
		.amdhsa_group_segment_fixed_size 0
		.amdhsa_private_segment_fixed_size 0
		.amdhsa_kernarg_size 288
		.amdhsa_user_sgpr_count 2
		.amdhsa_user_sgpr_dispatch_ptr 0
		.amdhsa_user_sgpr_queue_ptr 0
		.amdhsa_user_sgpr_kernarg_segment_ptr 1
		.amdhsa_user_sgpr_dispatch_id 0
		.amdhsa_user_sgpr_kernarg_preload_length 0
		.amdhsa_user_sgpr_kernarg_preload_offset 0
		.amdhsa_user_sgpr_private_segment_size 0
		.amdhsa_uses_dynamic_stack 0
		.amdhsa_enable_private_segment 0
		.amdhsa_system_sgpr_workgroup_id_x 1
		.amdhsa_system_sgpr_workgroup_id_y 1
		.amdhsa_system_sgpr_workgroup_id_z 1
		.amdhsa_system_sgpr_workgroup_info 0
		.amdhsa_system_vgpr_workitem_id 0
		.amdhsa_next_free_vgpr 59
		.amdhsa_next_free_sgpr 26
		.amdhsa_accum_offset 60
		.amdhsa_reserve_vcc 1
		.amdhsa_float_round_mode_32 0
		.amdhsa_float_round_mode_16_64 0
		.amdhsa_float_denorm_mode_32 3
		.amdhsa_float_denorm_mode_16_64 3
		.amdhsa_dx10_clamp 1
		.amdhsa_ieee_mode 1
		.amdhsa_fp16_overflow 0
		.amdhsa_tg_split 0
		.amdhsa_exception_fp_ieee_invalid_op 0
		.amdhsa_exception_fp_denorm_src 0
		.amdhsa_exception_fp_ieee_div_zero 0
		.amdhsa_exception_fp_ieee_overflow 0
		.amdhsa_exception_fp_ieee_underflow 0
		.amdhsa_exception_fp_ieee_inexact 0
		.amdhsa_exception_int_div_zero 0
	.end_amdhsa_kernel
	.section	.text._ZL26flash_attn_combine_resultsILi64EEvPKfPK15HIP_vector_typeIfLj2EEPfi,"axG",@progbits,_ZL26flash_attn_combine_resultsILi64EEvPKfPK15HIP_vector_typeIfLj2EEPfi,comdat
.Lfunc_end8:
	.size	_ZL26flash_attn_combine_resultsILi64EEvPKfPK15HIP_vector_typeIfLj2EEPfi, .Lfunc_end8-_ZL26flash_attn_combine_resultsILi64EEvPKfPK15HIP_vector_typeIfLj2EEPfi
                                        ; -- End function
	.set _ZL26flash_attn_combine_resultsILi64EEvPKfPK15HIP_vector_typeIfLj2EEPfi.num_vgpr, 59
	.set _ZL26flash_attn_combine_resultsILi64EEvPKfPK15HIP_vector_typeIfLj2EEPfi.num_agpr, 0
	.set _ZL26flash_attn_combine_resultsILi64EEvPKfPK15HIP_vector_typeIfLj2EEPfi.numbered_sgpr, 26
	.set _ZL26flash_attn_combine_resultsILi64EEvPKfPK15HIP_vector_typeIfLj2EEPfi.num_named_barrier, 0
	.set _ZL26flash_attn_combine_resultsILi64EEvPKfPK15HIP_vector_typeIfLj2EEPfi.private_seg_size, 0
	.set _ZL26flash_attn_combine_resultsILi64EEvPKfPK15HIP_vector_typeIfLj2EEPfi.uses_vcc, 1
	.set _ZL26flash_attn_combine_resultsILi64EEvPKfPK15HIP_vector_typeIfLj2EEPfi.uses_flat_scratch, 0
	.set _ZL26flash_attn_combine_resultsILi64EEvPKfPK15HIP_vector_typeIfLj2EEPfi.has_dyn_sized_stack, 0
	.set _ZL26flash_attn_combine_resultsILi64EEvPKfPK15HIP_vector_typeIfLj2EEPfi.has_recursion, 0
	.set _ZL26flash_attn_combine_resultsILi64EEvPKfPK15HIP_vector_typeIfLj2EEPfi.has_indirect_call, 0
	.section	.AMDGPU.csdata,"",@progbits
; Kernel info:
; codeLenInByte = 2900
; TotalNumSgprs: 32
; NumVgprs: 59
; NumAgprs: 0
; TotalNumVgprs: 59
; ScratchSize: 0
; MemoryBound: 0
; FloatMode: 240
; IeeeMode: 1
; LDSByteSize: 0 bytes/workgroup (compile time only)
; SGPRBlocks: 3
; VGPRBlocks: 7
; NumSGPRsForWavesPerEU: 32
; NumVGPRsForWavesPerEU: 59
; AccumOffset: 60
; Occupancy: 8
; WaveLimiterHint : 0
; COMPUTE_PGM_RSRC2:SCRATCH_EN: 0
; COMPUTE_PGM_RSRC2:USER_SGPR: 2
; COMPUTE_PGM_RSRC2:TRAP_HANDLER: 0
; COMPUTE_PGM_RSRC2:TGID_X_EN: 1
; COMPUTE_PGM_RSRC2:TGID_Y_EN: 1
; COMPUTE_PGM_RSRC2:TGID_Z_EN: 1
; COMPUTE_PGM_RSRC2:TIDIG_COMP_CNT: 0
; COMPUTE_PGM_RSRC3_GFX90A:ACCUM_OFFSET: 14
; COMPUTE_PGM_RSRC3_GFX90A:TG_SPLIT: 0
	.section	.text._ZL18flash_attn_ext_f16ILi80ELi80ELi16ELi4ELb0ELb0EEvPKcS1_S1_S1_S1_PKiPfP15HIP_vector_typeIfLj2EEffffjfiS5_IjLj3EEiiiiiiiiiiiliiliiiiil,"axG",@progbits,_ZL18flash_attn_ext_f16ILi80ELi80ELi16ELi4ELb0ELb0EEvPKcS1_S1_S1_S1_PKiPfP15HIP_vector_typeIfLj2EEffffjfiS5_IjLj3EEiiiiiiiiiiiliiliiiiil,comdat
	.globl	_ZL18flash_attn_ext_f16ILi80ELi80ELi16ELi4ELb0ELb0EEvPKcS1_S1_S1_S1_PKiPfP15HIP_vector_typeIfLj2EEffffjfiS5_IjLj3EEiiiiiiiiiiiliiliiiiil ; -- Begin function _ZL18flash_attn_ext_f16ILi80ELi80ELi16ELi4ELb0ELb0EEvPKcS1_S1_S1_S1_PKiPfP15HIP_vector_typeIfLj2EEffffjfiS5_IjLj3EEiiiiiiiiiiiliiliiiiil
	.p2align	8
	.type	_ZL18flash_attn_ext_f16ILi80ELi80ELi16ELi4ELb0ELb0EEvPKcS1_S1_S1_S1_PKiPfP15HIP_vector_typeIfLj2EEffffjfiS5_IjLj3EEiiiiiiiiiiiliiliiiiil,@function
_ZL18flash_attn_ext_f16ILi80ELi80ELi16ELi4ELb0ELb0EEvPKcS1_S1_S1_S1_PKiPfP15HIP_vector_typeIfLj2EEffffjfiS5_IjLj3EEiiiiiiiiiiiliiliiiiil: ; @_ZL18flash_attn_ext_f16ILi80ELi80ELi16ELi4ELb0ELb0EEvPKcS1_S1_S1_S1_PKiPfP15HIP_vector_typeIfLj2EEffffjfiS5_IjLj3EEiiiiiiiiiiiliiliiiiil
; %bb.0:
	s_load_dwordx2 s[4:5], s[0:1], 0x80
	s_load_dwordx4 s[28:31], s[0:1], 0x64
	s_mov_b32 s24, s2
                                        ; implicit-def: $vgpr187 : SGPR spill to VGPR lane
	s_load_dword s25, s[0:1], 0xd0
	s_mov_b32 s6, 0
	s_waitcnt lgkmcnt(0)
	s_abs_i32 s2, s5
	v_cvt_f32_u32_e32 v1, s2
	s_sub_i32 s8, 0, s2
	s_abs_i32 s7, s29
	s_xor_b32 s3, s29, s5
	v_rcp_iflag_f32_e32 v1, v1
	s_ashr_i32 s3, s3, 31
	v_mul_f32_e32 v1, 0x4f7ffffe, v1
	v_cvt_u32_f32_e32 v1, v1
	s_nop 0
	v_readfirstlane_b32 s9, v1
	s_mul_i32 s8, s8, s9
	s_mul_hi_u32 s8, s9, s8
	s_add_i32 s9, s9, s8
	s_mul_hi_u32 s8, s7, s9
	s_mul_i32 s9, s8, s2
	s_sub_i32 s7, s7, s9
	s_add_i32 s10, s8, 1
	s_sub_i32 s9, s7, s2
	s_cmp_ge_u32 s7, s2
	s_cselect_b32 s8, s10, s8
	s_cselect_b32 s7, s9, s7
	s_add_i32 s9, s8, 1
	s_cmp_ge_u32 s7, s2
	s_cselect_b32 s2, s9, s8
	s_add_i32 s4, s4, 63
	s_xor_b32 s2, s2, s3
	s_ashr_i32 s7, s4, 31
	s_sub_i32 s33, s2, s3
	s_lshr_b32 s2, s7, 26
	s_add_i32 s4, s4, s2
	s_add_i32 s2, s28, 15
	s_lshr_b32 s7, s2, 4
	s_add_i32 s2, s33, 3
	s_ashr_i32 s3, s4, 6
	s_ashr_i32 s4, s2, 31
	s_lshr_b32 s4, s4, 30
	s_add_i32 s2, s2, s4
	s_ashr_i32 s2, s2, 2
	v_writelane_b32 v187, s7, 0
	s_mul_i32 s4, s7, s3
	v_writelane_b32 v187, s4, 1
	s_mul_i32 s2, s4, s2
	;; [unrolled: 2-line block ×4, first 2 shown]
	s_ashr_i32 s10, s2, 31
	s_mul_i32 s4, s10, s24
	s_mul_hi_u32 s5, s2, s24
	s_add_i32 s7, s5, s4
	s_add_u32 s48, s0, 0xd0
	s_addc_u32 s49, s1, 0
	s_cmp_lg_u64 s[6:7], 0
	s_mul_i32 s6, s2, s24
	s_cbranch_scc0 .LBB9_2
; %bb.1:
	s_add_u32 s4, s25, 0
	s_addc_u32 s5, 0, 0
	s_xor_b64 s[8:9], s[4:5], 0
	v_cvt_f32_u32_e32 v1, s8
	v_cvt_f32_u32_e32 v2, s9
	s_sub_u32 s11, 0, s8
	s_subb_u32 s14, 0, s9
	s_mov_b64 s[4:5], 0
	v_fmamk_f32 v1, v2, 0x4f800000, v1
	v_rcp_f32_e32 v1, v1
	s_nop 0
	v_mul_f32_e32 v1, 0x5f7ffffc, v1
	v_mul_f32_e32 v2, 0x2f800000, v1
	v_trunc_f32_e32 v2, v2
	v_fmamk_f32 v1, v2, 0xcf800000, v1
	v_cvt_u32_f32_e32 v2, v2
	v_cvt_u32_f32_e32 v1, v1
	v_readfirstlane_b32 s15, v2
	v_readfirstlane_b32 s12, v1
	s_mul_i32 s13, s11, s15
	s_mul_hi_u32 s17, s11, s12
	s_mul_i32 s16, s14, s12
	s_add_i32 s13, s17, s13
	s_add_i32 s13, s13, s16
	s_mul_i32 s18, s11, s12
	s_mul_i32 s17, s12, s13
	s_mul_hi_u32 s19, s12, s18
	s_mul_hi_u32 s16, s12, s13
	s_add_u32 s17, s19, s17
	s_addc_u32 s16, 0, s16
	s_mul_hi_u32 s20, s15, s18
	s_mul_i32 s18, s15, s18
	s_add_u32 s17, s17, s18
	s_mul_hi_u32 s19, s15, s13
	s_addc_u32 s16, s16, s20
	s_addc_u32 s17, s19, 0
	s_mul_i32 s13, s15, s13
	s_add_u32 s13, s16, s13
	s_addc_u32 s16, 0, s17
	s_add_u32 s17, s12, s13
	s_cselect_b64 s[12:13], -1, 0
	s_cmp_lg_u64 s[12:13], 0
	s_addc_u32 s15, s15, s16
	s_mul_i32 s12, s11, s15
	s_mul_hi_u32 s13, s11, s17
	s_add_i32 s12, s13, s12
	s_mul_i32 s14, s14, s17
	s_add_i32 s12, s12, s14
	s_mul_i32 s11, s11, s17
	s_mul_hi_u32 s14, s15, s11
	s_mul_i32 s16, s15, s11
	s_mul_i32 s19, s17, s12
	s_mul_hi_u32 s11, s17, s11
	s_mul_hi_u32 s18, s17, s12
	s_add_u32 s11, s11, s19
	s_addc_u32 s18, 0, s18
	s_add_u32 s11, s11, s16
	s_mul_hi_u32 s13, s15, s12
	s_addc_u32 s11, s18, s14
	s_addc_u32 s13, s13, 0
	s_mul_i32 s12, s15, s12
	s_add_u32 s11, s11, s12
	s_addc_u32 s14, 0, s13
	s_add_u32 s11, s17, s11
	s_cselect_b64 s[12:13], -1, 0
	s_cmp_lg_u64 s[12:13], 0
	s_addc_u32 s16, s15, s14
	s_ashr_i32 s12, s7, 31
	s_add_u32 s14, s6, s12
	s_mov_b32 s13, s12
	s_addc_u32 s15, s7, s12
	s_xor_b64 s[14:15], s[14:15], s[12:13]
	s_mul_i32 s17, s14, s16
	s_mul_hi_u32 s18, s14, s11
	s_mul_hi_u32 s7, s14, s16
	s_add_u32 s17, s18, s17
	s_addc_u32 s7, 0, s7
	s_mul_hi_u32 s19, s15, s11
	s_mul_i32 s11, s15, s11
	s_add_u32 s11, s17, s11
	s_mul_hi_u32 s18, s15, s16
	s_addc_u32 s7, s7, s19
	s_addc_u32 s11, s18, 0
	s_mul_i32 s16, s15, s16
	s_add_u32 s7, s7, s16
	s_addc_u32 s11, 0, s11
	s_mul_i32 s16, s8, s11
	s_mul_hi_u32 s17, s8, s7
	s_add_i32 s16, s17, s16
	s_mul_i32 s17, s9, s7
	s_add_i32 s20, s16, s17
	s_sub_i32 s18, s15, s20
	s_mul_i32 s16, s8, s7
	s_sub_u32 s14, s14, s16
	s_cselect_b64 s[16:17], -1, 0
	s_cmp_lg_u64 s[16:17], 0
	s_subb_u32 s21, s18, s9
	s_sub_u32 s22, s14, s8
	s_cselect_b64 s[18:19], -1, 0
	s_cmp_lg_u64 s[18:19], 0
	s_subb_u32 s18, s21, 0
	s_cmp_ge_u32 s18, s9
	s_cselect_b32 s19, -1, 0
	s_cmp_ge_u32 s22, s8
	s_cselect_b32 s21, -1, 0
	s_cmp_eq_u32 s18, s9
	s_cselect_b32 s18, s21, s19
	s_add_u32 s19, s7, 1
	s_addc_u32 s21, s11, 0
	s_add_u32 s22, s7, 2
	s_addc_u32 s23, s11, 0
	s_cmp_lg_u32 s18, 0
	s_cselect_b32 s18, s22, s19
	s_cselect_b32 s19, s23, s21
	s_cmp_lg_u64 s[16:17], 0
	s_subb_u32 s15, s15, s20
	s_cmp_ge_u32 s15, s9
	s_cselect_b32 s16, -1, 0
	s_cmp_ge_u32 s14, s8
	s_cselect_b32 s8, -1, 0
	s_cmp_eq_u32 s15, s9
	s_cselect_b32 s8, s8, s16
	s_cmp_lg_u32 s8, 0
	s_cselect_b32 s9, s19, s11
	s_cselect_b32 s8, s18, s7
	s_xor_b64 s[12:13], s[12:13], 0
	s_xor_b64 s[8:9], s[8:9], s[12:13]
	s_sub_u32 s52, s8, s12
	s_branch .LBB9_3
.LBB9_2:
	s_mov_b64 s[4:5], -1
                                        ; implicit-def: $sgpr52_sgpr53
.LBB9_3:
	s_load_dwordx2 s[8:9], s[0:1], 0x74
	v_cvt_f32_u32_e32 v1, s25
	s_andn2_b64 vcc, exec, s[4:5]
	s_waitcnt lgkmcnt(0)
	v_writelane_b32 v187, s8, 4
	s_nop 1
	v_writelane_b32 v187, s9, 5
	s_cbranch_vccnz .LBB9_5
; %bb.4:
	v_rcp_iflag_f32_e32 v2, v1
	s_sub_i32 s4, 0, s25
	v_mul_f32_e32 v2, 0x4f7ffffe, v2
	v_cvt_u32_f32_e32 v2, v2
	s_nop 0
	v_readfirstlane_b32 s5, v2
	s_mul_i32 s4, s4, s5
	s_mul_hi_u32 s4, s5, s4
	s_add_i32 s5, s5, s4
	s_mul_hi_u32 s4, s6, s5
	s_mul_i32 s7, s4, s25
	s_sub_i32 s6, s6, s7
	s_add_i32 s5, s4, 1
	s_sub_i32 s7, s6, s25
	s_cmp_ge_u32 s6, s25
	s_cselect_b32 s4, s5, s4
	s_cselect_b32 s6, s7, s6
	s_add_i32 s5, s4, 1
	s_cmp_ge_u32 s6, s25
	s_cselect_b32 s52, s5, s4
.LBB9_5:
	s_add_i32 s4, s24, 1
	s_mul_i32 s5, s10, s4
	s_mul_hi_u32 s6, s2, s4
	s_add_i32 s9, s6, s5
	s_mov_b32 s8, 0
	s_cmp_lg_u64 s[8:9], 0
	s_mul_i32 s2, s2, s4
	v_writelane_b32 v187, s24, 6
	s_cbranch_scc0 .LBB9_277
; %bb.6:
	s_add_u32 s4, s25, 0
	s_addc_u32 s5, 0, 0
	s_xor_b64 s[6:7], s[4:5], 0
	v_cvt_f32_u32_e32 v2, s6
	v_cvt_f32_u32_e32 v3, s7
	s_sub_u32 s8, 0, s6
	s_subb_u32 s12, 0, s7
	v_fmamk_f32 v2, v3, 0x4f800000, v2
	v_rcp_f32_e32 v2, v2
	s_nop 0
	v_mul_f32_e32 v2, 0x5f7ffffc, v2
	v_mul_f32_e32 v3, 0x2f800000, v2
	v_trunc_f32_e32 v3, v3
	v_fmamk_f32 v2, v3, 0xcf800000, v2
	v_cvt_u32_f32_e32 v3, v3
	v_cvt_u32_f32_e32 v2, v2
	v_readfirstlane_b32 s13, v3
	v_readfirstlane_b32 s10, v2
	s_mul_i32 s11, s8, s13
	s_mul_hi_u32 s15, s8, s10
	s_mul_i32 s14, s12, s10
	s_add_i32 s11, s15, s11
	s_add_i32 s11, s11, s14
	s_mul_i32 s16, s8, s10
	s_mul_i32 s15, s10, s11
	s_mul_hi_u32 s17, s10, s16
	s_mul_hi_u32 s14, s10, s11
	s_add_u32 s15, s17, s15
	s_addc_u32 s14, 0, s14
	s_mul_hi_u32 s18, s13, s16
	s_mul_i32 s16, s13, s16
	s_add_u32 s15, s15, s16
	s_mul_hi_u32 s17, s13, s11
	s_addc_u32 s14, s14, s18
	s_addc_u32 s15, s17, 0
	s_mul_i32 s11, s13, s11
	s_add_u32 s11, s14, s11
	s_addc_u32 s14, 0, s15
	s_add_u32 s15, s10, s11
	s_cselect_b64 s[10:11], -1, 0
	s_cmp_lg_u64 s[10:11], 0
	s_addc_u32 s13, s13, s14
	s_mul_i32 s10, s8, s13
	s_mul_hi_u32 s11, s8, s15
	s_add_i32 s10, s11, s10
	s_mul_i32 s12, s12, s15
	s_add_i32 s10, s10, s12
	s_mul_i32 s8, s8, s15
	s_mul_hi_u32 s12, s13, s8
	s_mul_i32 s14, s13, s8
	s_mul_i32 s17, s15, s10
	s_mul_hi_u32 s8, s15, s8
	s_mul_hi_u32 s16, s15, s10
	s_add_u32 s8, s8, s17
	s_addc_u32 s16, 0, s16
	s_add_u32 s8, s8, s14
	s_mul_hi_u32 s11, s13, s10
	s_addc_u32 s8, s16, s12
	s_addc_u32 s11, s11, 0
	s_mul_i32 s10, s13, s10
	s_add_u32 s8, s8, s10
	s_addc_u32 s12, 0, s11
	s_add_u32 s14, s15, s8
	s_cselect_b64 s[10:11], -1, 0
	s_cmp_lg_u64 s[10:11], 0
	s_addc_u32 s12, s13, s12
	s_ashr_i32 s10, s9, 31
	s_add_u32 s8, s2, s10
	s_mov_b32 s11, s10
	s_addc_u32 s9, s9, s10
	s_xor_b64 s[8:9], s[8:9], s[10:11]
	s_mul_i32 s15, s8, s12
	s_mul_hi_u32 s16, s8, s14
	s_mul_hi_u32 s13, s8, s12
	s_add_u32 s15, s16, s15
	s_addc_u32 s13, 0, s13
	s_mul_hi_u32 s17, s9, s14
	s_mul_i32 s14, s9, s14
	s_add_u32 s14, s15, s14
	s_mul_hi_u32 s16, s9, s12
	s_addc_u32 s13, s13, s17
	s_addc_u32 s14, s16, 0
	s_mul_i32 s12, s9, s12
	s_add_u32 s16, s13, s12
	s_addc_u32 s17, 0, s14
	s_mul_i32 s12, s6, s17
	s_mul_hi_u32 s13, s6, s16
	s_add_i32 s12, s13, s12
	s_mul_i32 s13, s7, s16
	s_add_i32 s18, s12, s13
	s_sub_i32 s14, s9, s18
	s_mul_i32 s12, s6, s16
	s_sub_u32 s8, s8, s12
	s_cselect_b64 s[12:13], -1, 0
	s_cmp_lg_u64 s[12:13], 0
	s_subb_u32 s19, s14, s7
	s_sub_u32 s20, s8, s6
	s_cselect_b64 s[14:15], -1, 0
	s_cmp_lg_u64 s[14:15], 0
	s_subb_u32 s14, s19, 0
	s_cmp_ge_u32 s14, s7
	s_cselect_b32 s15, -1, 0
	s_cmp_ge_u32 s20, s6
	s_cselect_b32 s19, -1, 0
	s_cmp_eq_u32 s14, s7
	s_cselect_b32 s14, s19, s15
	s_add_u32 s15, s16, 1
	s_addc_u32 s19, s17, 0
	s_add_u32 s20, s16, 2
	s_addc_u32 s21, s17, 0
	s_cmp_lg_u32 s14, 0
	s_cselect_b32 s14, s20, s15
	s_cselect_b32 s15, s21, s19
	s_cmp_lg_u64 s[12:13], 0
	s_subb_u32 s9, s9, s18
	s_cmp_ge_u32 s9, s7
	s_cselect_b32 s12, -1, 0
	s_cmp_ge_u32 s8, s6
	s_cselect_b32 s6, -1, 0
	s_cmp_eq_u32 s9, s7
	s_cselect_b32 s6, s6, s12
	s_cmp_lg_u32 s6, 0
	s_cselect_b32 s7, s15, s17
	s_cselect_b32 s6, s14, s16
	s_xor_b64 s[8:9], s[10:11], 0
	s_xor_b64 s[6:7], s[6:7], s[8:9]
	s_sub_u32 s56, s6, s8
	s_load_dwordx2 s[40:41], s[0:1], 0x5c
	s_cbranch_execnz .LBB9_8
.LBB9_7:
	v_rcp_iflag_f32_e32 v1, v1
	s_sub_i32 s4, 0, s25
	v_mul_f32_e32 v1, 0x4f7ffffe, v1
	v_cvt_u32_f32_e32 v1, v1
	s_nop 0
	v_readfirstlane_b32 s5, v1
	s_mul_i32 s4, s4, s5
	s_mul_hi_u32 s4, s5, s4
	s_add_i32 s5, s5, s4
	s_mul_hi_u32 s4, s2, s5
	s_mul_i32 s6, s4, s25
	s_sub_i32 s2, s2, s6
	s_add_i32 s5, s4, 1
	s_sub_i32 s6, s2, s25
	s_cmp_ge_u32 s2, s25
	s_cselect_b32 s4, s5, s4
	s_cselect_b32 s2, s6, s2
	s_add_i32 s5, s4, 1
	s_cmp_ge_u32 s2, s25
	s_cselect_b32 s56, s5, s4
.LBB9_8:
	s_abs_i32 s57, s3
	v_cvt_f32_u32_e32 v1, s57
	v_writelane_b32 v187, s25, 7
	s_load_dwordx16 s[12:27], s[0:1], 0x0
	s_load_dword s2, s[0:1], 0x40
	s_load_dwordx2 s[4:5], s[0:1], 0x8c
	s_load_dwordx4 s[36:39], s[0:1], 0x98
	s_load_dwordx2 s[44:45], s[0:1], 0xa8
	s_load_dwordx2 s[8:9], s[0:1], 0xb8
	;; [unrolled: 1-line block ×3, first 2 shown]
	v_readlane_b32 s0, v187, 4
	v_rcp_iflag_f32_e32 v1, v1
	v_readlane_b32 s1, v187, 5
	s_waitcnt lgkmcnt(0)
	s_mov_b32 s1, s5
	s_ashr_i32 s34, s4, 2
	v_mul_f32_e32 v1, 0x4f7ffffe, v1
	v_cvt_u32_f32_e32 v1, v1
	s_sub_i32 s4, 0, s57
	s_ashr_i32 s50, s0, 3
	v_writelane_b32 v187, s0, 8
	v_readfirstlane_b32 s5, v1
	s_mul_i32 s4, s4, s5
	v_writelane_b32 v187, s1, 9
	s_ashr_i32 s1, s3, 31
	s_mul_hi_u32 s4, s5, s4
	v_writelane_b32 v187, s1, 10
	s_abs_i32 s1, s52
	s_add_i32 s55, s5, s4
	s_mul_hi_u32 s4, s1, s55
	s_mul_i32 s4, s4, s57
	s_sub_i32 s1, s1, s4
	s_ashr_i32 s53, s31, 3
	s_ashr_i32 s42, s9, 1
	;; [unrolled: 1-line block ×4, first 2 shown]
	s_sub_i32 s4, s1, s57
	s_cmp_ge_u32 s1, s57
	s_cselect_b32 s1, s4, s1
	s_sub_i32 s4, s1, s57
	s_cmp_ge_u32 s1, s57
	s_cselect_b32 s1, s4, s1
	s_xor_b32 s1, s1, s0
	s_sub_i32 s82, s1, s0
	s_sub_i32 s0, s56, s52
	s_add_i32 s4, s0, s82
	s_min_i32 s10, s3, s4
	s_cmp_gt_i32 s56, s52
	s_cselect_b64 s[6:7], -1, 0
	s_cmp_le_i32 s56, s52
	s_cselect_b64 s[0:1], -1, 0
	s_cmp_gt_i32 s3, s4
	v_cvt_f16_f32_e32 v1, s2
	s_cselect_b64 s[4:5], -1, 0
	s_or_b64 s[0:1], s[4:5], s[0:1]
	v_bfe_u32 v2, v0, 5, 5
	v_bfe_u32 v39, v0, 10, 10
	s_mov_b32 s59, 0
	s_and_b64 vcc, exec, s[0:1]
	v_lshl_add_u32 v27, v39, 1, v2
	v_and_b32_e32 v26, 31, v0
	v_lshlrev_b32_e32 v59, 4, v39
	v_mbcnt_lo_u32_b32 v61, -1, 0
	v_writelane_b32 v187, s50, 11
	s_cbranch_vccz .LBB9_11
; %bb.9:
	s_andn2_b64 vcc, exec, s[6:7]
	s_cbranch_vccz .LBB9_233
.LBB9_10:
	s_endpgm
.LBB9_11:
	v_writelane_b32 v187, s48, 12
	s_cmp_eq_u64 s[20:21], 0
	v_bfe_u32 v2, v0, 3, 7
	v_writelane_b32 v187, s49, 13
	s_cselect_b64 s[0:1], -1, 0
	v_and_b32_e32 v4, 0x3ff, v0
	v_and_b32_e32 v6, 15, v0
	v_lshlrev_b32_e32 v8, 2, v2
	v_writelane_b32 v187, s0, 14
	s_cmp_lg_u64 s[22:23], 0
	v_lshl_add_u32 v3, v39, 3, v2
	s_movk_i32 s4, 0xb0
	v_mul_u32_u24_e32 v7, 0xb0, v6
	v_and_b32_e32 v9, 0x78, v8
	v_lshlrev_b32_e32 v11, 2, v4
	v_writelane_b32 v187, s1, 15
	s_cselect_b64 s[0:1], -1, 0
	v_add3_u32 v33, 0, v7, v9
	v_bfe_u32 v7, v0, 1, 9
	v_and_b32_e32 v32, 28, v11
	v_mad_u32_u24 v65, v3, s4, 0
	v_writelane_b32 v187, s0, 16
	v_lshl_add_u32 v10, v39, 5, v7
	v_lshlrev_b32_e32 v13, 2, v32
	v_add_u32_e32 v106, 0x1600, v65
	v_and_b32_e32 v38, 4, v11
	v_writelane_b32 v187, s1, 17
	v_add_u32_e32 v67, v65, v13
	v_add_u32_e32 v107, v106, v13
	v_mad_u32_u24 v11, v10, s4, 0
	v_lshlrev_b32_e32 v13, 2, v38
	s_movk_i32 s7, 0x80
	v_cmp_gt_u32_e64 s[48:49], 16, v4
	v_add3_u32 v108, v11, v13, s7
	v_and_or_b32 v11, v0, 12, v59
	v_writelane_b32 v187, s48, 18
	s_movk_i32 s2, 0x90
	v_lshrrev_b32_e32 v11, 2, v11
	v_writelane_b32 v187, s49, 19
	v_mad_u32_u24 v11, v11, s2, 0
	v_readlane_b32 s2, v187, 6
	v_and_b32_e32 v7, 0x78, v7
	s_lshl_b32 s58, s2, 6
	s_ashr_i32 s43, s42, 31
	s_ashr_i32 s35, s34, 31
	v_add_u32_e32 v109, v11, v7
	v_or_b32_e32 v7, 4, v8
	s_ashr_i32 s31, s30, 31
	v_lshlrev_b32_e32 v2, 1, v2
	s_mov_b32 s54, s8
	s_lshl_b64 s[8:9], s[58:59], 3
	v_add_u32_e32 v110, v11, v7
	v_or_b32_e32 v7, 3, v2
	v_or_b32_e32 v8, 2, v2
	v_and_b32_e32 v2, 60, v2
	s_add_u32 s8, s26, s8
	v_readlane_b32 s38, v187, 3
	v_cmp_gt_u32_e64 s[0:1], 64, v10
	v_mul_lo_u32 v40, s34, v10
	v_mul_lo_u32 v42, s30, v10
	v_mul_u32_u24_e32 v7, 0xb0, v7
	v_mul_u32_u24_e32 v8, 0xb0, v8
	;; [unrolled: 1-line block ×3, first 2 shown]
	v_lshlrev_b32_e32 v10, 1, v6
	s_addc_u32 s9, s27, s9
	s_abs_i32 s2, s38
	v_add3_u32 v111, 0, v2, v10
	v_add3_u32 v112, 0, v8, v10
	;; [unrolled: 1-line block ×3, first 2 shown]
	v_cvt_f32_u32_e32 v10, s2
	v_readlane_b32 s49, v187, 2
	s_abs_i32 s64, s49
	v_cvt_f32_u32_e32 v11, s64
	v_rcp_iflag_f32_e32 v10, v10
	v_or_b32_e32 v2, v59, v4
	v_lshlrev_b32_e32 v30, 3, v2
	v_or_b32_e32 v2, v59, v6
	v_mul_f32_e32 v10, 0x4f7ffffe, v10
	v_cvt_u32_f32_e32 v10, v10
	v_readlane_b32 s48, v187, 1
	v_mul_u32_u24_e32 v2, 0xb0, v2
	v_rcp_iflag_f32_e32 v11, v11
	s_abs_i32 s65, s48
	v_add3_u32 v114, 0, v2, v9
	v_add_u32_e32 v2, v59, v4
	v_add_u32_e32 v7, 24, v27
	;; [unrolled: 1-line block ×3, first 2 shown]
	v_cvt_f32_u32_e32 v13, s65
	s_mov_b32 s58, s54
	v_mul_u32_u24_e32 v6, 0xb0, v2
	v_add_u32_e32 v2, 16, v27
	v_lshrrev_b32_e32 v116, 2, v7
	v_add_u32_e32 v7, 32, v27
	v_lshrrev_b32_e32 v118, 2, v8
	v_add_u32_e32 v8, 48, v27
	v_and_b32_e32 v9, 15, v27
	s_movk_i32 s7, 0x7f0
	v_writelane_b32 v187, s58, 20
	s_abs_i32 s54, s54
	v_lshrrev_b32_e32 v115, 2, v2
	v_lshrrev_b32_e32 v117, 2, v7
	v_and_or_b32 v2, v2, s7, v9
	v_and_or_b32 v7, v7, s7, v9
	;; [unrolled: 1-line block ×3, first 2 shown]
	v_readfirstlane_b32 s7, v10
	v_writelane_b32 v187, s59, 21
	v_cvt_f32_u32_e32 v10, s54
	s_ashr_i32 s38, s38, 31
	v_mul_f32_e32 v11, 0x4f7ffffe, v11
	v_writelane_b32 v187, s38, 22
	s_sub_i32 s38, 0, s2
	v_cvt_u32_f32_e32 v11, v11
	v_lshrrev_b32_e32 v119, 2, v8
	v_rcp_iflag_f32_e32 v8, v13
	s_mul_i32 s38, s38, s7
	s_mul_hi_u32 s38, s7, s38
	v_rcp_iflag_f32_e32 v10, v10
	s_add_i32 s7, s7, s38
	v_mov_b32_e32 v31, 0
	v_writelane_b32 v187, s7, 23
	s_ashr_i32 s7, s49, 31
	v_lshl_add_u64 v[48:49], s[8:9], 0, v[30:31]
	v_readfirstlane_b32 s8, v11
	v_mul_f32_e32 v8, 0x4f7ffffe, v8
	v_writelane_b32 v187, s7, 24
	s_sub_i32 s7, 0, s64
	v_cvt_u32_f32_e32 v8, v8
	s_mul_i32 s7, s7, s8
	v_mul_u32_u24_e32 v63, 0xb0, v3
	v_mul_lo_u32 v34, s34, v3
	v_add_u32_e32 v12, 32, v3
	v_mul_lo_u32 v46, s30, v3
	v_lshrrev_b32_e32 v121, 2, v3
	v_mul_f32_e32 v3, 0x4f7ffffe, v10
	s_mul_hi_u32 s7, s8, s7
	v_cvt_u32_f32_e32 v3, v3
	s_add_i32 s7, s8, s7
	v_writelane_b32 v187, s7, 25
	s_ashr_i32 s7, s48, 31
	v_readfirstlane_b32 s9, v8
	v_writelane_b32 v187, s7, 26
	s_sub_i32 s7, 0, s65
	s_mul_i32 s7, s7, s9
	v_and_b32_e32 v28, 7, v0
	v_readfirstlane_b32 s11, v3
	v_and_b32_e32 v3, 1, v0
	s_mul_hi_u32 s7, s9, s7
	v_lshlrev_b32_e32 v5, 2, v28
	v_ashrrev_i32_e32 v43, 31, v42
	v_lshlrev_b32_e32 v30, 4, v3
	s_add_i32 s7, s9, s7
	v_add_u32_e32 v29, 0, v5
	v_add_u32_e32 v122, v65, v5
	;; [unrolled: 1-line block ×3, first 2 shown]
	v_mul_u32_u24_e32 v5, 0xb0, v2
	v_mad_u32_u24 v125, v2, s4, 0
	v_writelane_b32 v187, s7, 27
	s_sub_i32 s7, 0, s54
	v_lshl_add_u64 v[2:3], v[42:43], 2, v[30:31]
	v_ashrrev_i32_e32 v41, 31, v40
	s_mul_i32 s7, s7, s11
	v_lshl_add_u64 v[2:3], s[16:17], 0, v[2:3]
	s_mov_b64 s[66:67], 0x80
	s_mul_hi_u32 s7, s11, s7
	v_lshl_add_u64 v[52:53], v[2:3], 0, s[66:67]
	v_lshl_add_u64 v[2:3], v[40:41], 2, v[30:31]
	s_add_i32 s7, s11, s7
	v_lshl_add_u64 v[2:3], s[14:15], 0, v[2:3]
	v_lshl_add_u32 v36, s34, 5, v34
	v_mul_lo_u32 v44, s30, v12
	v_writelane_b32 v187, s7, 28
	v_lshlrev_b32_e32 v50, 2, v26
	s_lshl_b64 s[8:9], s[42:43], 1
	v_lshl_add_u64 v[56:57], v[2:3], 0, s[66:67]
	v_lshlrev_b32_e32 v2, 1, v4
	v_bfe_u32 v58, v4, 3, 2
	v_mad_u32_u24 v144, v27, s4, 0
	s_mov_b32 s5, 0x10001
	s_movk_i32 s6, 0xb00
	v_ashrrev_i32_e32 v35, 31, v34
	v_ashrrev_i32_e32 v37, 31, v36
	;; [unrolled: 1-line block ×4, first 2 shown]
	v_add_u32_e32 v11, 56, v27
	v_mul_u32_u24_e32 v8, 0xb0, v7
	v_mad_u32_u24 v126, v7, s4, 0
	v_mul_u32_u24_e32 v7, 0xb0, v9
	v_mad_u32_u24 v127, v9, s4, 0
	v_writelane_b32 v187, s8, 29
	v_add_u32_e32 v128, 0, v50
	v_mul_lo_u32 v3, s50, v58
	v_and_b32_e32 v62, 62, v2
	v_add_u32_e32 v136, 8, v27
	v_add_u32_e32 v146, 0x580, v144
	;; [unrolled: 1-line block ×5, first 2 shown]
	v_and_b32_e32 v66, 3, v27
	v_lshrrev_b32_e32 v120, 2, v11
	v_lshrrev_b32_e32 v123, 2, v12
	v_mov_b32_e32 v51, v31
	v_writelane_b32 v187, s9, 30
	s_lshl_b64 s[68:69], s[30:31], 8
	v_lshlrev_b32_e32 v54, 4, v28
	v_mov_b32_e32 v55, v31
	s_lshl_b64 s[70:71], s[34:35], 8
	s_mov_b32 s43, 0x3fb8aa3b
	s_mov_b32 s63, 0xc2ce8ed0
	;; [unrolled: 1-line block ×5, first 2 shown]
	v_add_u32_e32 v129, v128, v5
	v_add_u32_e32 v130, v128, v8
	;; [unrolled: 1-line block ×4, first 2 shown]
	v_mul_lo_u32 v133, v1, s5
	v_add3_u32 v60, v3, v28, 32
	v_mad_u32_u24 v134, v39, s6, v33
	v_mul_u32_u24_e32 v135, 0x90, v27
	v_lshl_add_u32 v137, v62, 1, 0
	v_add_u32_e32 v138, 32, v109
	v_add_u32_e32 v139, 64, v109
	;; [unrolled: 1-line block ×3, first 2 shown]
	v_lshrrev_b32_e32 v141, 2, v27
	v_mul_u32_u24_e32 v142, 0xb0, v27
	v_lshrrev_b32_e32 v143, 2, v136
	v_add_u32_e32 v145, v144, v50
	v_add_u32_e32 v147, v146, v50
	;; [unrolled: 1-line block ×8, first 2 shown]
	v_mbcnt_hi_u32_b32 v157, -1, v61
	v_mov_b32_e32 v158, 0x7f800000
	v_and_b32_e32 v64, 3, v0
	v_mad_u64_u32 v[68:69], s[4:5], v66, s50, v[26:27]
	v_lshl_add_u64 v[70:71], v[46:47], 2, s[16:17]
	v_lshl_add_u64 v[72:73], v[44:45], 2, s[16:17]
	v_lshl_add_u64 v[74:75], v[34:35], 2, s[14:15]
	v_lshl_add_u64 v[76:77], v[36:37], 2, s[14:15]
	v_writelane_b32 v187, s55, 31
	s_branch .LBB9_13
.LBB9_12:                               ;   in Loop: Header=BB9_13 Depth=1
	s_or_b64 exec, exec, s[6:7]
	s_add_i32 s4, s52, s3
	s_abs_i32 s6, s4
	s_mul_hi_u32 s7, s6, s55
	s_mul_i32 s7, s7, s57
	s_sub_i32 s6, s6, s7
	s_ashr_i32 s5, s4, 31
	s_sub_i32 s7, s6, s57
	s_cmp_ge_u32 s6, s57
	s_cselect_b32 s6, s7, s6
	s_sub_i32 s7, s6, s57
	s_cmp_ge_u32 s6, s57
	s_cselect_b32 s6, s7, s6
	s_xor_b32 s6, s6, s5
	s_sub_i32 s5, s5, s6
	s_add_i32 s52, s4, s5
	s_sub_i32 s4, s56, s52
	s_min_i32 s10, s3, s4
	s_cmp_gt_i32 s56, s52
	s_cselect_b64 s[6:7], -1, 0
	s_cmp_le_i32 s3, s4
	s_cselect_b64 s[4:5], -1, 0
	s_and_b64 s[4:5], s[4:5], s[6:7]
	s_mov_b32 s82, 0
	s_and_b64 vcc, exec, s[4:5]
	s_cbranch_vccz .LBB9_232
.LBB9_13:                               ; =>This Loop Header: Depth=1
                                        ;     Child Loop BB9_60 Depth 2
                                        ;     Child Loop BB9_168 Depth 2
	s_ashr_i32 s4, s52, 31
	v_readlane_b32 s5, v187, 22
	s_xor_b32 s4, s4, s5
	s_abs_i32 s5, s52
	v_readlane_b32 s6, v187, 23
	s_mul_hi_u32 s6, s5, s6
	s_mul_i32 s7, s6, s2
	s_sub_i32 s5, s5, s7
	s_add_i32 s7, s6, 1
	s_sub_i32 s8, s5, s2
	s_cmp_ge_u32 s5, s2
	s_cselect_b32 s6, s7, s6
	s_cselect_b32 s5, s8, s5
	s_add_i32 s7, s6, 1
	s_cmp_ge_u32 s5, s2
	s_cselect_b32 s5, s7, s6
	s_xor_b32 s5, s5, s4
	s_sub_i32 s6, s5, s4
	v_readlane_b32 s4, v187, 3
	s_mul_i32 s4, s6, s4
	s_sub_i32 s4, s52, s4
	s_ashr_i32 s5, s4, 31
	v_readlane_b32 s7, v187, 24
	s_xor_b32 s5, s5, s7
	s_abs_i32 s7, s4
	v_readlane_b32 s8, v187, 25
	s_mul_hi_u32 s8, s7, s8
	s_mul_i32 s9, s8, s64
	s_sub_i32 s7, s7, s9
	s_add_i32 s9, s8, 1
	s_sub_i32 s11, s7, s64
	s_cmp_ge_u32 s7, s64
	s_cselect_b32 s8, s9, s8
	s_cselect_b32 s7, s11, s7
	s_add_i32 s9, s8, 1
	s_cmp_ge_u32 s7, s64
	s_cselect_b32 s7, s9, s8
	s_xor_b32 s7, s7, s5
	s_sub_i32 s7, s7, s5
	v_readlane_b32 s5, v187, 2
	s_mul_i32 s5, s7, s5
	s_sub_i32 s5, s4, s5
	;; [unrolled: 21-line block ×3, first 2 shown]
	s_ashr_i32 s8, s5, 31
	v_readlane_b32 s9, v187, 10
	s_abs_i32 s5, s5
	s_xor_b32 s8, s8, s9
	s_mul_hi_u32 s9, s5, s55
	s_mul_i32 s11, s9, s57
	s_sub_i32 s5, s5, s11
	s_add_i32 s11, s9, 1
	s_sub_i32 s38, s5, s57
	s_cmp_ge_u32 s5, s57
	s_cselect_b32 s9, s11, s9
	s_cselect_b32 s5, s38, s5
	s_add_i32 s11, s9, 1
	s_cmp_ge_u32 s5, s57
	s_cselect_b32 s5, s11, s9
	v_readlane_b32 s48, v187, 16
	s_xor_b32 s5, s5, s8
	v_readlane_b32 s49, v187, 17
	s_andn2_b64 vcc, exec, s[48:49]
	s_sub_i32 s90, s5, s8
	s_cbranch_vccnz .LBB9_15
; %bb.14:                               ;   in Loop: Header=BB9_13 Depth=1
	v_readlane_b32 s5, v187, 0
	s_mul_i32 s5, s6, s5
	s_add_i32 s8, s90, s5
	s_ashr_i32 s9, s8, 31
	s_lshl_b64 s[8:9], s[8:9], 2
	s_add_u32 s8, s22, s8
	s_addc_u32 s9, s23, s9
	global_load_dword v2, v31, s[8:9]
	s_waitcnt vmcnt(0)
	v_readfirstlane_b32 s5, v2
	s_ashr_i32 s8, s5, 31
	s_lshr_b32 s8, s8, 26
	s_add_i32 s5, s5, s8
	s_ashr_i32 s5, s5, 6
	s_min_i32 s10, s10, s5
.LBB9_15:                               ;   in Loop: Header=BB9_13 Depth=1
	v_readlane_b32 s48, v187, 4
	v_readlane_b32 s49, v187, 5
	s_mul_i32 s5, s7, s33
	s_lshl_b32 s98, s4, 2
	s_mul_i32 s4, s6, s49
	s_add_i32 s8, s98, s5
	s_ashr_i32 s5, s4, 31
	s_add_u32 s4, s12, s4
	s_mul_i32 s9, s8, s48
	s_addc_u32 s5, s13, s5
	s_ashr_i32 s11, s9, 31
	s_add_u32 s78, s4, s9
	s_addc_u32 s79, s5, s11
	s_ashr_i32 s9, s6, 31
	s_mul_hi_u32 s4, s36, s6
	s_mul_i32 s5, s36, s9
	s_add_i32 s4, s4, s5
	s_mul_i32 s5, s37, s6
	v_readlane_b32 s48, v187, 8
	s_add_i32 s11, s4, s5
	s_mul_i32 s55, s36, s6
	v_readlane_b32 s49, v187, 9
	s_add_u32 s4, s14, s55
	s_mul_i32 s50, s7, s49
	s_addc_u32 s38, s15, s11
	s_ashr_i32 s51, s50, 31
	s_add_u32 s5, s4, s50
	s_addc_u32 s4, s38, s51
	s_abs_i32 s38, s6
	v_readlane_b32 s48, v187, 28
	s_mul_hi_u32 s48, s38, s48
	s_mul_i32 s48, s48, s54
	s_sub_i32 s38, s38, s48
	s_sub_i32 s48, s38, s54
	s_cmp_ge_u32 s38, s54
	s_cselect_b32 s38, s48, s38
	s_sub_i32 s48, s38, s54
	s_cmp_ge_u32 s38, s54
	s_cselect_b32 s38, s48, s38
	s_xor_b32 s38, s38, s9
	s_sub_i32 s38, s38, s9
	s_ashr_i32 s48, s38, 31
	s_mul_i32 s48, s46, s48
	s_mul_hi_u32 s49, s46, s38
	s_add_i32 s48, s49, s48
	s_mul_i32 s49, s47, s38
	s_add_i32 s48, s48, s49
	s_mul_i32 s86, s46, s38
	s_mul_i32 s38, s28, s29
	s_add_u32 s76, s18, s86
	s_mul_i32 s38, s38, s6
	s_addc_u32 s77, s19, s48
	s_add_i32 s38, s8, s38
	s_mul_i32 s58, s38, 40
	s_lshl_b64 s[72:73], s[58:59], 3
	s_add_u32 s72, s24, s72
	s_mul_hi_u32 s38, s44, s6
	s_mul_i32 s9, s44, s9
	s_addc_u32 s73, s25, s73
	s_add_i32 s9, s38, s9
	s_mul_i32 s38, s45, s6
	s_add_i32 s58, s9, s38
	s_mul_i32 s87, s44, s6
	s_add_u32 s6, s16, s87
	s_mul_i32 s88, s7, s39
	s_addc_u32 s9, s17, s58
	s_ashr_i32 s89, s88, 31
	s_add_u32 s38, s6, s88
	s_addc_u32 s49, s9, s89
	s_ashr_i32 s9, s8, 31
	s_lshl_b64 s[6:7], s[8:9], 2
	s_add_u32 s8, s20, s6
	s_addc_u32 s9, s21, s7
	v_readlane_b32 s6, v187, 14
	v_readlane_b32 s7, v187, 15
	s_and_b64 s[6:7], s[6:7], exec
	s_cselect_b32 s75, 0, s9
	s_cselect_b32 s74, 0, s8
	s_cmp_lg_u32 s82, 0
	v_or_b32_e32 v94, s98, v66
	s_cbranch_scc0 .LBB9_66
; %bb.16:                               ;   in Loop: Header=BB9_13 Depth=1
	s_lshl_b32 s80, s90, 4
	v_add_u32_e32 v104, s80, v141
	v_cmp_le_i32_e64 s[6:7], s28, v104
	v_cmp_le_i32_e64 s[8:9], s33, v94
	v_cmp_gt_i32_e32 vcc, s33, v94
	s_or_b64 s[6:7], s[6:7], s[8:9]
	s_and_saveexec_b64 s[8:9], s[6:7]
	s_xor_b64 s[6:7], exec, s[8:9]
; %bb.17:                               ;   in Loop: Header=BB9_13 Depth=1
	v_add_u32_e32 v2, v128, v142
	ds_write_b32 v2, v31
; %bb.18:                               ;   in Loop: Header=BB9_13 Depth=1
	s_andn2_saveexec_b64 s[6:7], s[6:7]
	s_cbranch_execz .LBB9_20
; %bb.19:                               ;   in Loop: Header=BB9_13 Depth=1
	v_mad_u64_u32 v[2:3], s[8:9], v104, s53, v[68:69]
	v_ashrrev_i32_e32 v3, 31, v2
	v_lshl_add_u64 v[2:3], v[2:3], 3, s[78:79]
	global_load_dwordx2 v[2:3], v[2:3], off
	s_waitcnt vmcnt(0)
	v_cvt_pk_f16_f32 v2, v2, v3
	v_pk_mul_f16 v2, v2, v133
	v_add_u32_e32 v3, v128, v142
	ds_write_b32 v3, v2
.LBB9_20:                               ;   in Loop: Header=BB9_13 Depth=1
	s_or_b64 exec, exec, s[6:7]
	v_add_u32_e32 v103, s80, v143
	v_cmp_le_i32_e64 s[6:7], s28, v103
	s_xor_b64 s[8:9], vcc, -1
	s_or_b64 s[6:7], s[6:7], s[8:9]
	s_and_saveexec_b64 s[84:85], s[6:7]
	s_xor_b64 s[6:7], exec, s[84:85]
; %bb.21:                               ;   in Loop: Header=BB9_13 Depth=1
	v_add_u32_e32 v2, v128, v142
	ds_write_b32 v2, v31 offset:1408
; %bb.22:                               ;   in Loop: Header=BB9_13 Depth=1
	s_andn2_saveexec_b64 s[6:7], s[6:7]
	s_cbranch_execz .LBB9_24
; %bb.23:                               ;   in Loop: Header=BB9_13 Depth=1
	v_mad_u64_u32 v[2:3], s[84:85], v103, s53, v[68:69]
	v_ashrrev_i32_e32 v3, 31, v2
	v_lshl_add_u64 v[2:3], v[2:3], 3, s[78:79]
	global_load_dwordx2 v[2:3], v[2:3], off
	s_waitcnt vmcnt(0)
	v_cvt_pk_f16_f32 v2, v2, v3
	v_pk_mul_f16 v2, v2, v133
	v_add_u32_e32 v3, v128, v142
	ds_write_b32 v3, v2 offset:1408
.LBB9_24:                               ;   in Loop: Header=BB9_13 Depth=1
	s_or_b64 exec, exec, s[6:7]
	v_add_u32_e32 v102, s80, v115
	v_cmp_le_i32_e32 vcc, s28, v102
	s_or_b64 s[6:7], vcc, s[8:9]
	s_and_saveexec_b64 s[84:85], s[6:7]
	s_xor_b64 s[6:7], exec, s[84:85]
; %bb.25:                               ;   in Loop: Header=BB9_13 Depth=1
	v_add_u32_e32 v2, v128, v142
	ds_write_b32 v2, v31 offset:2816
; %bb.26:                               ;   in Loop: Header=BB9_13 Depth=1
	s_andn2_saveexec_b64 s[6:7], s[6:7]
	s_cbranch_execz .LBB9_28
; %bb.27:                               ;   in Loop: Header=BB9_13 Depth=1
	v_mad_u64_u32 v[2:3], s[84:85], v102, s53, v[68:69]
	v_ashrrev_i32_e32 v3, 31, v2
	v_lshl_add_u64 v[2:3], v[2:3], 3, s[78:79]
	global_load_dwordx2 v[2:3], v[2:3], off
	s_waitcnt vmcnt(0)
	v_cvt_pk_f16_f32 v2, v2, v3
	v_pk_mul_f16 v2, v2, v133
	v_add_u32_e32 v3, v128, v142
	ds_write_b32 v3, v2 offset:2816
.LBB9_28:                               ;   in Loop: Header=BB9_13 Depth=1
	s_or_b64 exec, exec, s[6:7]
	v_add_u32_e32 v101, s80, v116
	v_cmp_le_i32_e32 vcc, s28, v101
	s_or_b64 s[6:7], vcc, s[8:9]
	;; [unrolled: 23-line block ×6, first 2 shown]
	s_and_saveexec_b64 s[8:9], s[6:7]
	s_xor_b64 s[6:7], exec, s[8:9]
; %bb.45:                               ;   in Loop: Header=BB9_13 Depth=1
	v_add_u32_e32 v2, v128, v142
	ds_write_b32 v2, v31 offset:9856
; %bb.46:                               ;   in Loop: Header=BB9_13 Depth=1
	s_andn2_saveexec_b64 s[6:7], s[6:7]
	s_cbranch_execz .LBB9_48
; %bb.47:                               ;   in Loop: Header=BB9_13 Depth=1
	v_mad_u64_u32 v[2:3], s[8:9], v96, s53, v[68:69]
	v_ashrrev_i32_e32 v3, 31, v2
	v_lshl_add_u64 v[2:3], v[2:3], 3, s[78:79]
	global_load_dwordx2 v[2:3], v[2:3], off
	s_waitcnt vmcnt(0)
	v_cvt_pk_f16_f32 v2, v2, v3
	v_pk_mul_f16 v2, v2, v133
	v_add_u32_e32 v3, v128, v142
	ds_write_b32 v3, v2 offset:9856
.LBB9_48:                               ;   in Loop: Header=BB9_13 Depth=1
	s_or_b64 exec, exec, s[6:7]
	v_or_b32_e32 v97, s98, v58
	v_add_u32_e32 v95, s80, v121
	v_cmp_le_i32_e64 s[6:7], s33, v97
	v_cmp_le_i32_e64 s[8:9], s28, v95
	v_cmp_gt_i32_e32 vcc, s33, v97
	s_or_b64 s[6:7], s[8:9], s[6:7]
	s_and_saveexec_b64 s[8:9], s[6:7]
	s_xor_b64 s[6:7], exec, s[8:9]
; %bb.49:                               ;   in Loop: Header=BB9_13 Depth=1
	ds_write_b32 v122, v31 offset:128
; %bb.50:                               ;   in Loop: Header=BB9_13 Depth=1
	s_andn2_saveexec_b64 s[6:7], s[6:7]
	s_cbranch_execz .LBB9_52
; %bb.51:                               ;   in Loop: Header=BB9_13 Depth=1
	v_mad_u64_u32 v[2:3], s[8:9], v95, s53, v[60:61]
	v_ashrrev_i32_e32 v3, 31, v2
	v_lshl_add_u64 v[2:3], v[2:3], 3, s[78:79]
	global_load_dwordx2 v[2:3], v[2:3], off
	s_waitcnt vmcnt(0)
	v_cvt_pk_f16_f32 v2, v2, v3
	v_pk_mul_f16 v2, v2, v133
	v_add_u32_e32 v3, v29, v63
	ds_write_b32 v3, v2 offset:128
.LBB9_52:                               ;   in Loop: Header=BB9_13 Depth=1
	s_or_b64 exec, exec, s[6:7]
	v_add_u32_e32 v69, s80, v123
	v_cmp_le_i32_e64 s[6:7], s28, v69
	s_xor_b64 s[8:9], vcc, -1
	s_or_b64 s[6:7], s[6:7], s[8:9]
	s_and_saveexec_b64 s[8:9], s[6:7]
	s_xor_b64 s[6:7], exec, s[8:9]
; %bb.53:                               ;   in Loop: Header=BB9_13 Depth=1
	ds_write_b32 v124, v31 offset:128
; %bb.54:                               ;   in Loop: Header=BB9_13 Depth=1
	s_andn2_saveexec_b64 s[6:7], s[6:7]
	s_cbranch_execz .LBB9_56
; %bb.55:                               ;   in Loop: Header=BB9_13 Depth=1
	v_mad_u64_u32 v[2:3], s[8:9], v69, s53, v[60:61]
	v_ashrrev_i32_e32 v3, 31, v2
	v_lshl_add_u64 v[2:3], v[2:3], 3, s[78:79]
	global_load_dwordx2 v[2:3], v[2:3], off
	s_waitcnt vmcnt(0)
	v_cvt_pk_f16_f32 v2, v2, v3
	v_pk_mul_f16 v2, v2, v133
	v_add_u32_e32 v3, v29, v63
	ds_write_b32 v3, v2 offset:5760
.LBB9_56:                               ;   in Loop: Header=BB9_13 Depth=1
	s_or_b64 exec, exec, s[6:7]
	s_waitcnt lgkmcnt(0)
	s_barrier
	ds_read2_b64 v[6:9], v134 offset1:4
	ds_read2_b64 v[2:5], v134 offset0:8 offset1:12
	ds_read_b64 v[78:79], v134 offset:128
	s_add_i32 s83, s10, -1
	v_add_u32_e32 v12, s80, v27
	v_add_u32_e32 v10, s80, v136
	s_mov_b64 s[6:7], -1
	s_cmp_lt_i32 s82, s83
	v_mul_hi_u32 v13, s40, v12
	v_mul_hi_u32 v11, s40, v10
	s_waitcnt lgkmcnt(0)
	s_barrier
                                        ; implicit-def: $vgpr80_vgpr81
                                        ; implicit-def: $vgpr82_vgpr83
	s_cbranch_scc1 .LBB9_58
; %bb.57:                               ;   in Loop: Header=BB9_13 Depth=1
	v_add_u32_e32 v14, v12, v13
	v_lshrrev_b32_e32 v14, s41, v14
	v_mul_lo_u32 v14, v14, s28
	v_sub_u32_e32 v14, v12, v14
	v_mad_i64_i32 v[80:81], s[6:7], v14, s42, 0
	v_add_u32_e32 v14, v10, v11
	v_lshrrev_b32_e32 v14, s41, v14
	v_mul_lo_u32 v14, v14, s28
	v_sub_u32_e32 v14, v10, v14
	v_mad_i64_i32 v[82:83], s[6:7], v14, s42, 0
	s_mov_b64 s[6:7], 0
.LBB9_58:                               ;   in Loop: Header=BB9_13 Depth=1
	s_andn2_b64 vcc, exec, s[6:7]
	s_cbranch_vccnz .LBB9_68
; %bb.59:                               ;   in Loop: Header=BB9_13 Depth=1
	v_add_u32_e32 v11, v10, v11
	v_lshrrev_b32_e32 v11, s41, v11
	v_mul_lo_u32 v11, v11, s28
	v_sub_u32_e32 v10, v10, v11
	v_mad_i64_i32 v[82:83], s[6:7], v10, s42, 0
	v_and_b32_e32 v10, 64, v157
	v_add_u32_e32 v10, 64, v10
	v_xor_b32_e32 v11, 32, v157
	v_add_u32_e32 v13, v12, v13
	v_cmp_lt_i32_e32 vcc, v11, v10
	v_lshrrev_b32_e32 v13, s41, v13
	v_mul_lo_u32 v13, v13, s28
	v_cndmask_b32_e32 v11, v157, v11, vcc
	v_lshlrev_b32_e32 v160, 2, v11
	v_xor_b32_e32 v11, 16, v157
	v_sub_u32_e32 v12, v12, v13
	v_cmp_lt_i32_e32 vcc, v11, v10
	v_lshlrev_b32_e32 v30, 1, v62
	v_mad_i64_i32 v[80:81], s[6:7], v12, s42, 0
	v_cndmask_b32_e32 v10, v157, v11, vcc
	v_lshl_add_u64 v[84:85], s[76:77], 0, v[30:31]
	v_lshlrev_b32_e32 v161, 2, v10
	s_lshl_b32 s6, s82, 6
	v_mov_b32_e32 v86, 0
	v_mov_b32_e32 v15, 0xfeffffff
	;; [unrolled: 1-line block ×12, first 2 shown]
.LBB9_60:                               ;   Parent Loop BB9_13 Depth=1
                                        ; =>  This Inner Loop Header: Depth=2
	s_ashr_i32 s7, s6, 31
	v_lshl_add_u64 v[10:11], s[6:7], 1, v[84:85]
	v_lshl_add_u64 v[12:13], v[80:81], 1, v[10:11]
	;; [unrolled: 1-line block ×3, first 2 shown]
	global_load_dword v12, v[12:13], off
	s_mul_hi_i32 s9, s6, s34
	global_load_dword v10, v[10:11], off
	s_mul_i32 s8, s6, s34
	s_lshl_b64 s[8:9], s[8:9], 2
	s_add_u32 s8, s5, s8
	v_add_u32_e32 v13, v137, v135
	s_addc_u32 s9, s4, s9
	s_waitcnt vmcnt(1)
	ds_write_b32 v13, v12 offset:11264
	s_waitcnt vmcnt(0)
	ds_write_b32 v13, v10 offset:12416
	s_and_saveexec_b64 s[80:81], s[0:1]
	s_cbranch_execz .LBB9_62
; %bb.61:                               ;   in Loop: Header=BB9_60 Depth=2
	v_lshl_add_u64 v[10:11], v[40:41], 2, s[8:9]
	v_lshlrev_b32_e32 v30, 2, v38
	v_lshl_add_u64 v[10:11], v[10:11], 0, v[30:31]
	global_load_dwordx4 v[10:13], v[10:11], off offset:128
	s_waitcnt vmcnt(0)
	ds_write_b128 v108, v[10:13]
.LBB9_62:                               ;   in Loop: Header=BB9_60 Depth=2
	s_or_b64 exec, exec, s[80:81]
	v_lshl_add_u64 v[10:11], v[34:35], 2, s[8:9]
	v_lshlrev_b32_e32 v30, 2, v32
	v_lshl_add_u64 v[10:11], v[10:11], 0, v[30:31]
	v_lshl_add_u64 v[12:13], v[36:37], 2, s[8:9]
	;; [unrolled: 1-line block ×3, first 2 shown]
	global_load_dwordx4 v[10:13], v[10:11], off
	v_add_u32_e32 v21, 0x800, v33
	s_mul_hi_i32 s9, s6, s30
	s_mul_i32 s8, s6, s30
	s_lshl_b64 s[8:9], s[8:9], 2
	s_add_u32 s8, s38, s8
	s_addc_u32 s9, s49, s9
	s_waitcnt vmcnt(0)
	ds_write_b128 v67, v[10:13]
	global_load_dwordx4 v[10:13], v[22:23], off
	s_waitcnt vmcnt(0)
	ds_write_b128 v107, v[10:13]
	s_waitcnt lgkmcnt(0)
	s_barrier
	ds_read2_b64 v[10:13], v33 offset1:4
	s_waitcnt lgkmcnt(0)
	v_mfma_f32_16x16x16_f16 v[22:25], v[10:11], v[6:7], 0
	v_mfma_f32_16x16x16_f16 v[10:13], v[12:13], v[8:9], v[22:25]
	s_nop 6
	ds_read2_b64 v[22:25], v33 offset0:8 offset1:12
	s_waitcnt lgkmcnt(0)
	v_mfma_f32_16x16x16_f16 v[10:13], v[22:23], v[2:3], v[10:13]
	ds_read_b64 v[22:23], v33 offset:128
	v_mfma_f32_16x16x16_f16 v[10:13], v[24:25], v[4:5], v[10:13]
	s_waitcnt lgkmcnt(0)
	v_mfma_f32_16x16x16_f16 v[162:165], v[22:23], v[78:79], v[10:13]
	s_nop 5
	ds_read2_b64 v[10:13], v21 offset0:96 offset1:100
	s_waitcnt lgkmcnt(0)
	v_mfma_f32_16x16x16_f16 v[22:25], v[10:11], v[6:7], 0
	v_mfma_f32_16x16x16_f16 v[10:13], v[12:13], v[8:9], v[22:25]
	s_nop 6
	ds_read2_b64 v[22:25], v21 offset0:104 offset1:108
	s_waitcnt lgkmcnt(0)
	v_mfma_f32_16x16x16_f16 v[10:13], v[22:23], v[2:3], v[10:13]
	ds_read_b64 v[22:23], v33 offset:2944
	v_add_u32_e32 v21, 0x1000, v33
	v_mfma_f32_16x16x16_f16 v[10:13], v[24:25], v[4:5], v[10:13]
	s_waitcnt lgkmcnt(0)
	v_mfma_f32_16x16x16_f16 v[166:169], v[22:23], v[78:79], v[10:13]
	s_nop 5
	ds_read2_b64 v[10:13], v21 offset0:192 offset1:196
	s_waitcnt lgkmcnt(0)
	v_mfma_f32_16x16x16_f16 v[22:25], v[10:11], v[6:7], 0
	v_mfma_f32_16x16x16_f16 v[10:13], v[12:13], v[8:9], v[22:25]
	s_nop 6
	ds_read2_b64 v[22:25], v21 offset0:200 offset1:204
	s_waitcnt lgkmcnt(0)
	v_mfma_f32_16x16x16_f16 v[10:13], v[22:23], v[2:3], v[10:13]
	ds_read_b64 v[22:23], v33 offset:5760
	v_add_u32_e32 v21, 0x2000, v33
	v_mfma_f32_16x16x16_f16 v[10:13], v[24:25], v[4:5], v[10:13]
	s_waitcnt lgkmcnt(0)
	v_mfma_f32_16x16x16_f16 v[170:173], v[22:23], v[78:79], v[10:13]
	s_nop 5
	ds_read2_b64 v[10:13], v21 offset0:32 offset1:36
	s_waitcnt lgkmcnt(0)
	v_mfma_f32_16x16x16_f16 v[22:25], v[10:11], v[6:7], 0
	v_mfma_f32_16x16x16_f16 v[10:13], v[12:13], v[8:9], v[22:25]
	s_nop 6
	ds_read2_b64 v[22:25], v21 offset0:40 offset1:44
	s_waitcnt lgkmcnt(0)
	v_mfma_f32_16x16x16_f16 v[10:13], v[22:23], v[2:3], v[10:13]
	ds_read_b64 v[22:23], v33 offset:8576
	s_waitcnt lgkmcnt(0)
	s_barrier
	ds_read_b32 v21, v109 offset:11264
	v_mfma_f32_16x16x16_f16 v[10:13], v[24:25], v[4:5], v[10:13]
	v_mfma_f32_16x16x16_f16 v[10:13], v[22:23], v[78:79], v[10:13]
	s_waitcnt lgkmcnt(0)
	v_cvt_f32_f16_e32 v22, v21
	v_cvt_f32_f16_sdwa v23, v21 dst_sel:DWORD dst_unused:UNUSED_PAD src0_sel:WORD_1
	v_add_f32_e32 v21, v162, v22
	ds_read_b32 v22, v110 offset:11264
	v_add_f32_e32 v24, v163, v23
	s_waitcnt lgkmcnt(0)
	v_cvt_f32_f16_e32 v23, v22
	v_cvt_f32_f16_sdwa v22, v22 dst_sel:DWORD dst_unused:UNUSED_PAD src0_sel:WORD_1
	v_add_f32_e32 v91, v164, v23
	v_add_f32_e32 v92, v165, v22
	v_add_u32_e32 v22, 0x2c00, v138
	ds_read2_b32 v[22:23], v22 offset1:1
	s_waitcnt lgkmcnt(0)
	v_cvt_f32_f16_e32 v25, v22
	v_cvt_f32_f16_sdwa v22, v22 dst_sel:DWORD dst_unused:UNUSED_PAD src0_sel:WORD_1
	v_add_f32_e32 v166, v166, v25
	v_add_f32_e32 v164, v167, v22
	v_cvt_f32_f16_e32 v22, v23
	v_cvt_f32_f16_sdwa v23, v23 dst_sel:DWORD dst_unused:UNUSED_PAD src0_sel:WORD_1
	v_add_f32_e32 v165, v168, v22
	v_add_u32_e32 v22, 0x2c00, v139
	v_add_f32_e32 v162, v169, v23
	ds_read2_b32 v[22:23], v22 offset1:1
	s_waitcnt lgkmcnt(0)
	v_cvt_f32_f16_e32 v25, v22
	v_cvt_f32_f16_sdwa v22, v22 dst_sel:DWORD dst_unused:UNUSED_PAD src0_sel:WORD_1
	v_cvt_f32_f16_sdwa v93, v23 dst_sel:DWORD dst_unused:UNUSED_PAD src0_sel:WORD_1
	v_add_f32_e32 v159, v170, v25
	v_add_f32_e32 v25, v171, v22
	v_cvt_f32_f16_e32 v22, v23
	v_add_f32_e32 v23, v172, v22
	v_add_f32_e32 v22, v173, v93
	v_add_u32_e32 v93, 0x2c00, v140
	ds_read2_b32 v[168:169], v93 offset1:1
	s_waitcnt lgkmcnt(0)
	v_cvt_f32_f16_e32 v93, v168
	v_cvt_f32_f16_sdwa v105, v168 dst_sel:DWORD dst_unused:UNUSED_PAD src0_sel:WORD_1
	v_add_f32_e32 v163, v10, v93
	v_add_f32_e32 v10, v11, v105
	v_cvt_f32_f16_e32 v11, v169
	v_cvt_f32_f16_sdwa v93, v169 dst_sel:DWORD dst_unused:UNUSED_PAD src0_sel:WORD_1
	v_add_f32_e32 v105, 0x40051340, v92
	v_add_f32_e32 v12, v12, v11
	;; [unrolled: 1-line block ×5, first 2 shown]
	v_max3_f32 v13, v15, v13, v93
	v_add_f32_e32 v93, 0x40051340, v91
	v_max3_f32 v13, v13, v93, v105
	v_add_f32_e32 v93, 0x40051340, v166
	v_add_f32_e32 v105, 0x40051340, v164
	v_max3_f32 v13, v13, v93, v105
	v_add_f32_e32 v93, 0x40051340, v165
	;; [unrolled: 3-line block ×6, first 2 shown]
	v_add_f32_e32 v105, 0x40051340, v11
	v_max3_f32 v13, v13, v93, v105
	ds_bpermute_b32 v93, v160, v13
	s_waitcnt lgkmcnt(0)
	v_max_f32_e32 v93, v93, v93
	v_max_f32_e32 v13, v13, v93
	ds_bpermute_b32 v93, v161, v13
	s_and_saveexec_b64 s[80:81], s[0:1]
	s_cbranch_execz .LBB9_64
; %bb.63:                               ;   in Loop: Header=BB9_60 Depth=2
	v_lshl_add_u64 v[168:169], v[42:43], 2, s[8:9]
	v_lshlrev_b32_e32 v170, 2, v38
	v_mov_b32_e32 v171, v31
	v_lshl_add_u64 v[168:169], v[168:169], 0, v[170:171]
	global_load_dwordx4 v[168:171], v[168:169], off offset:128
	s_waitcnt vmcnt(0)
	ds_write_b128 v108, v[168:171]
.LBB9_64:                               ;   in Loop: Header=BB9_60 Depth=2
	s_or_b64 exec, exec, s[80:81]
	s_waitcnt lgkmcnt(0)
	v_max_f32_e32 v93, v93, v93
	v_max_f32_e32 v13, v13, v13
	;; [unrolled: 1-line block ×3, first 2 shown]
	v_sub_f32_e32 v13, v21, v105
	v_mul_f32_e32 v21, 0x3fb8aa3b, v13
	v_fma_f32 v93, v13, s43, -v21
	v_rndne_f32_e32 v167, v21
	v_fmac_f32_e32 v93, 0x32a5705f, v13
	v_sub_f32_e32 v21, v21, v167
	v_add_f32_e32 v21, v21, v93
	v_exp_f32_e32 v21, v21
	v_cvt_i32_f32_e32 v93, v167
	v_cmp_ngt_f32_e32 vcc, s63, v13
	v_sub_f32_e32 v91, v91, v105
	v_sub_f32_e32 v92, v92, v105
	v_ldexp_f32 v21, v21, v93
	v_cndmask_b32_e32 v21, 0, v21, vcc
	v_cmp_nlt_f32_e32 vcc, s60, v13
	v_sub_f32_e32 v13, v24, v105
	v_mul_f32_e32 v24, 0x3fb8aa3b, v13
	v_fma_f32 v93, v13, s43, -v24
	v_rndne_f32_e32 v167, v24
	v_fmac_f32_e32 v93, 0x32a5705f, v13
	v_sub_f32_e32 v24, v24, v167
	v_add_f32_e32 v24, v24, v93
	v_exp_f32_e32 v24, v24
	v_cvt_i32_f32_e32 v93, v167
	v_cndmask_b32_e32 v21, v158, v21, vcc
	v_cmp_ngt_f32_e32 vcc, s63, v13
	v_sub_f32_e32 v164, v164, v105
	v_ldexp_f32 v24, v24, v93
	v_mul_f32_e32 v93, 0x3fb8aa3b, v91
	v_fma_f32 v167, v91, s43, -v93
	v_rndne_f32_e32 v168, v93
	v_fmac_f32_e32 v167, 0x32a5705f, v91
	v_sub_f32_e32 v93, v93, v168
	v_add_f32_e32 v93, v93, v167
	v_exp_f32_e32 v93, v93
	v_cvt_i32_f32_e32 v167, v168
	v_cndmask_b32_e32 v24, 0, v24, vcc
	v_cmp_nlt_f32_e32 vcc, s60, v13
	v_sub_f32_e32 v165, v165, v105
	v_ldexp_f32 v93, v93, v167
	v_cndmask_b32_e32 v24, v158, v24, vcc
	v_cmp_ngt_f32_e32 vcc, s63, v91
	v_sub_f32_e32 v162, v162, v105
	v_sub_f32_e32 v159, v159, v105
	v_cndmask_b32_e32 v93, 0, v93, vcc
	v_cmp_nlt_f32_e32 vcc, s60, v91
	v_sub_f32_e32 v25, v25, v105
	v_sub_f32_e32 v23, v23, v105
	v_cndmask_b32_e32 v91, v158, v93, vcc
	v_mul_f32_e32 v93, 0x3fb8aa3b, v92
	v_fma_f32 v167, v92, s43, -v93
	v_rndne_f32_e32 v168, v93
	v_fmac_f32_e32 v167, 0x32a5705f, v92
	v_sub_f32_e32 v93, v93, v168
	v_add_f32_e32 v93, v93, v167
	v_exp_f32_e32 v93, v93
	v_cvt_i32_f32_e32 v167, v168
	v_cmp_ngt_f32_e32 vcc, s63, v92
	v_sub_f32_e32 v22, v22, v105
	v_add_f32_e32 v13, v21, v24
	v_ldexp_f32 v93, v93, v167
	v_cndmask_b32_e32 v93, 0, v93, vcc
	v_cmp_nlt_f32_e32 vcc, s60, v92
	v_sub_f32_e32 v92, v166, v105
	v_mul_f32_e32 v166, 0x3fb8aa3b, v92
	v_fma_f32 v167, v92, s43, -v166
	v_rndne_f32_e32 v168, v166
	v_fmac_f32_e32 v167, 0x32a5705f, v92
	v_sub_f32_e32 v166, v166, v168
	v_add_f32_e32 v166, v166, v167
	v_exp_f32_e32 v166, v166
	v_cvt_i32_f32_e32 v167, v168
	v_cndmask_b32_e32 v93, v158, v93, vcc
	v_cmp_ngt_f32_e32 vcc, s63, v92
	v_sub_f32_e32 v10, v10, v105
	v_ldexp_f32 v166, v166, v167
	v_cndmask_b32_e32 v166, 0, v166, vcc
	v_cmp_nlt_f32_e32 vcc, s60, v92
	v_add_f32_e32 v13, v91, v13
	v_add_f32_e32 v13, v93, v13
	v_cndmask_b32_e32 v92, v158, v166, vcc
	v_mul_f32_e32 v166, 0x3fb8aa3b, v164
	v_fma_f32 v167, v164, s43, -v166
	v_rndne_f32_e32 v168, v166
	v_fmac_f32_e32 v167, 0x32a5705f, v164
	v_sub_f32_e32 v166, v166, v168
	v_add_f32_e32 v166, v166, v167
	v_exp_f32_e32 v166, v166
	v_cvt_i32_f32_e32 v167, v168
	v_cmp_ngt_f32_e32 vcc, s63, v164
	v_add_f32_e32 v13, v92, v13
	v_sub_f32_e32 v12, v12, v105
	v_ldexp_f32 v166, v166, v167
	v_cndmask_b32_e32 v166, 0, v166, vcc
	v_cmp_nlt_f32_e32 vcc, s60, v164
	v_sub_f32_e32 v11, v11, v105
	s_add_i32 s82, s82, 1
	v_cndmask_b32_e32 v164, v158, v166, vcc
	v_mul_f32_e32 v166, 0x3fb8aa3b, v165
	v_fma_f32 v167, v165, s43, -v166
	v_rndne_f32_e32 v168, v166
	v_fmac_f32_e32 v167, 0x32a5705f, v165
	v_sub_f32_e32 v166, v166, v168
	v_add_f32_e32 v166, v166, v167
	v_exp_f32_e32 v166, v166
	v_cvt_i32_f32_e32 v167, v168
	v_cmp_ngt_f32_e32 vcc, s63, v165
	v_add_f32_e32 v13, v164, v13
	s_add_i32 s6, s6, 64
	v_ldexp_f32 v166, v166, v167
	v_cndmask_b32_e32 v166, 0, v166, vcc
	v_cmp_nlt_f32_e32 vcc, s60, v165
	s_cmp_lt_i32 s82, s83
	s_nop 0
	v_cndmask_b32_e32 v165, v158, v166, vcc
	v_mul_f32_e32 v166, 0x3fb8aa3b, v162
	v_fma_f32 v167, v162, s43, -v166
	v_rndne_f32_e32 v168, v166
	v_fmac_f32_e32 v167, 0x32a5705f, v162
	v_sub_f32_e32 v166, v166, v168
	v_add_f32_e32 v166, v166, v167
	v_exp_f32_e32 v166, v166
	v_cvt_i32_f32_e32 v167, v168
	v_cmp_ngt_f32_e32 vcc, s63, v162
	v_add_f32_e32 v13, v165, v13
	v_ldexp_f32 v166, v166, v167
	v_cndmask_b32_e32 v166, 0, v166, vcc
	v_cmp_nlt_f32_e32 vcc, s60, v162
	v_mul_f32_e32 v162, 0x3fb8aa3b, v159
	v_fma_f32 v167, v159, s43, -v162
	v_rndne_f32_e32 v168, v162
	v_fmac_f32_e32 v167, 0x32a5705f, v159
	v_sub_f32_e32 v162, v162, v168
	v_add_f32_e32 v162, v162, v167
	v_exp_f32_e32 v162, v162
	v_cvt_i32_f32_e32 v167, v168
	v_cndmask_b32_e32 v166, v158, v166, vcc
	v_cmp_ngt_f32_e32 vcc, s63, v159
	v_add_f32_e32 v13, v166, v13
	v_ldexp_f32 v162, v162, v167
	v_cndmask_b32_e32 v162, 0, v162, vcc
	v_cmp_nlt_f32_e32 vcc, s60, v159
	v_mul_f32_e32 v159, 0x3fb8aa3b, v25
	v_rndne_f32_e32 v168, v159
	v_cndmask_b32_e32 v167, v158, v162, vcc
	v_fma_f32 v162, v25, s43, -v159
	v_fmac_f32_e32 v162, 0x32a5705f, v25
	v_sub_f32_e32 v159, v159, v168
	v_add_f32_e32 v159, v159, v162
	v_exp_f32_e32 v159, v159
	v_cvt_i32_f32_e32 v162, v168
	v_cmp_ngt_f32_e32 vcc, s63, v25
	v_add_f32_e32 v13, v167, v13
	v_ldexp_f32 v159, v159, v162
	v_cndmask_b32_e32 v159, 0, v159, vcc
	v_cmp_nlt_f32_e32 vcc, s60, v25
	v_mul_f32_e32 v25, 0x3fb8aa3b, v23
	v_rndne_f32_e32 v162, v25
	v_cndmask_b32_e32 v168, v158, v159, vcc
	v_fma_f32 v159, v23, s43, -v25
	v_fmac_f32_e32 v159, 0x32a5705f, v23
	v_sub_f32_e32 v25, v25, v162
	v_add_f32_e32 v25, v25, v159
	v_exp_f32_e32 v25, v25
	v_cvt_i32_f32_e32 v159, v162
	;; [unrolled: 14-line block ×3, first 2 shown]
	v_cmp_ngt_f32_e32 vcc, s63, v22
	v_add_f32_e32 v13, v169, v13
	v_ldexp_f32 v23, v23, v25
	v_cndmask_b32_e32 v23, 0, v23, vcc
	v_cmp_nlt_f32_e32 vcc, s60, v22
	v_sub_f32_e32 v22, v163, v105
	s_nop 0
	v_cndmask_b32_e32 v171, v158, v23, vcc
	v_mul_f32_e32 v23, 0x3fb8aa3b, v22
	v_fma_f32 v25, v22, s43, -v23
	v_rndne_f32_e32 v159, v23
	v_fmac_f32_e32 v25, 0x32a5705f, v22
	v_sub_f32_e32 v23, v23, v159
	v_add_f32_e32 v23, v23, v25
	v_exp_f32_e32 v23, v23
	v_cvt_i32_f32_e32 v25, v159
	v_cmp_ngt_f32_e32 vcc, s63, v22
	v_add_f32_e32 v13, v171, v13
	v_ldexp_f32 v23, v23, v25
	v_cndmask_b32_e32 v23, 0, v23, vcc
	v_cmp_nlt_f32_e32 vcc, s60, v22
	v_mul_f32_e32 v22, 0x3fb8aa3b, v10
	v_rndne_f32_e32 v25, v22
	v_cndmask_b32_e32 v170, v158, v23, vcc
	v_fma_f32 v23, v10, s43, -v22
	v_fmac_f32_e32 v23, 0x32a5705f, v10
	v_sub_f32_e32 v22, v22, v25
	v_add_f32_e32 v22, v22, v23
	v_exp_f32_e32 v22, v22
	v_cvt_i32_f32_e32 v23, v25
	v_cmp_ngt_f32_e32 vcc, s63, v10
	v_add_f32_e32 v13, v170, v13
	v_ldexp_f32 v22, v22, v23
	v_cndmask_b32_e32 v22, 0, v22, vcc
	v_cmp_nlt_f32_e32 vcc, s60, v10
	s_nop 1
	v_cndmask_b32_e32 v172, v158, v22, vcc
	v_add_f32_e32 v10, v172, v13
	v_mul_f32_e32 v13, 0x3fb8aa3b, v12
	v_fma_f32 v22, v12, s43, -v13
	v_rndne_f32_e32 v23, v13
	v_fmac_f32_e32 v22, 0x32a5705f, v12
	v_sub_f32_e32 v13, v13, v23
	v_add_f32_e32 v13, v13, v22
	v_exp_f32_e32 v13, v13
	v_cvt_i32_f32_e32 v22, v23
	v_cmp_ngt_f32_e32 vcc, s63, v12
	v_ldexp_f32 v13, v13, v22
	s_nop 0
	v_cndmask_b32_e32 v13, 0, v13, vcc
	v_cmp_nlt_f32_e32 vcc, s60, v12
	v_mul_f32_e32 v12, 0x3fb8aa3b, v11
	v_rndne_f32_e32 v22, v12
	v_cndmask_b32_e32 v173, v158, v13, vcc
	v_fma_f32 v13, v11, s43, -v12
	v_fmac_f32_e32 v13, 0x32a5705f, v11
	v_sub_f32_e32 v12, v12, v22
	v_add_f32_e32 v12, v12, v13
	v_exp_f32_e32 v12, v12
	v_cvt_i32_f32_e32 v13, v22
	v_cmp_ngt_f32_e32 vcc, s63, v11
	v_add_f32_e32 v10, v173, v10
	v_ldexp_f32 v12, v12, v13
	v_cndmask_b32_e32 v12, 0, v12, vcc
	v_cmp_nlt_f32_e32 vcc, s60, v11
	s_nop 1
	v_cndmask_b32_e32 v174, v158, v12, vcc
	v_add_f32_e32 v159, v174, v10
	v_sub_f32_e32 v10, v15, v105
	v_mul_f32_e32 v11, 0x3fb8aa3b, v10
	v_fma_f32 v12, v10, s43, -v11
	v_rndne_f32_e32 v13, v11
	v_fmac_f32_e32 v12, 0x32a5705f, v10
	v_sub_f32_e32 v11, v11, v13
	v_add_f32_e32 v11, v11, v12
	v_exp_f32_e32 v11, v11
	v_cvt_i32_f32_e32 v12, v13
	v_cmp_ngt_f32_e32 vcc, s63, v10
	v_ldexp_f32 v11, v11, v12
	s_nop 0
	v_cndmask_b32_e32 v11, 0, v11, vcc
	v_cmp_nlt_f32_e32 vcc, s60, v10
	s_nop 1
	v_cndmask_b32_e32 v11, v158, v11, vcc
	v_cmp_le_f32_e32 vcc, s61, v10
	s_nop 1
	v_cndmask_b32_e32 v10, 0, v11, vcc
	v_fmac_f32_e32 v159, v14, v10
	v_cvt_f16_f32_e32 v10, v10
	v_mul_u32_u24_e32 v10, 0x10001, v10
	v_pk_mul_f16 v90, v90, v10
	v_pk_mul_f16 v89, v89, v10
	;; [unrolled: 1-line block ×10, first 2 shown]
	v_lshl_add_u64 v[10:11], v[46:47], 2, s[8:9]
	v_lshl_add_u64 v[10:11], v[10:11], 0, v[30:31]
	global_load_dwordx4 v[10:13], v[10:11], off
	v_cvt_pk_f16_f32 v88, v21, v24
	v_cvt_pk_f16_f32 v87, v173, v174
	;; [unrolled: 1-line block ×3, first 2 shown]
	s_waitcnt vmcnt(0)
	ds_write_b128 v67, v[10:13]
	v_lshl_add_u64 v[10:11], v[44:45], 2, s[8:9]
	v_lshl_add_u64 v[10:11], v[10:11], 0, v[30:31]
	global_load_dwordx4 v[10:13], v[10:11], off
	s_waitcnt vmcnt(0)
	ds_write_b128 v107, v[10:13]
	s_waitcnt lgkmcnt(0)
	s_barrier
	ds_read_u16 v16, v111 offset:176
	ds_read_u16 v17, v112
	ds_read_u16 v30, v112 offset:32
	ds_read_u16 v18, v113
	ds_read_u16 v175, v113 offset:32
	v_cvt_f32_f16_e32 v10, v90
	v_cvt_f32_f16_sdwa v11, v90 dst_sel:DWORD dst_unused:UNUSED_PAD src0_sel:WORD_1
	v_cvt_f32_f16_e32 v12, v89
	s_waitcnt lgkmcnt(1)
	v_perm_b32 v17, v18, v17, s62
	ds_read_u16 v18, v111
	ds_read_u16 v176, v111 offset:32
	v_cvt_f32_f16_sdwa v13, v89 dst_sel:DWORD dst_unused:UNUSED_PAD src0_sel:WORD_1
	v_cvt_pk_f16_f32 v89, v91, v93
	v_cvt_pk_f16_f32 v91, v165, v166
	s_waitcnt lgkmcnt(1)
	v_perm_b32 v16, v16, v18, s62
	v_cvt_pk_f16_f32 v90, v92, v164
	v_cvt_pk_f16_f32 v93, v169, v171
	v_mfma_f32_16x16x16_f16 v[10:13], v[16:17], v[88:89], v[10:13]
	ds_read_u16 v16, v111 offset:2816
	ds_read_u16 v18, v111 offset:2992
	;; [unrolled: 1-line block ×4, first 2 shown]
	v_cvt_pk_f16_f32 v92, v167, v168
	v_cvt_f32_f16_e32 v164, v25
	s_nop 1
	v_cvt_f16_f32_e32 v10, v10
	v_cvt_f16_f32_e32 v11, v11
	;; [unrolled: 1-line block ×4, first 2 shown]
	s_waitcnt lgkmcnt(0)
	v_perm_b32 v17, v19, v17, s62
	v_perm_b32 v16, v18, v16, s62
	v_cvt_f32_f16_e32 v10, v10
	v_cvt_f32_f16_e32 v11, v11
	;; [unrolled: 1-line block ×4, first 2 shown]
	v_cvt_f32_f16_sdwa v165, v25 dst_sel:DWORD dst_unused:UNUSED_PAD src0_sel:WORD_1
	v_cvt_f32_f16_e32 v166, v20
	v_mfma_f32_16x16x16_f16 v[10:13], v[16:17], v[90:91], v[10:13]
	ds_read_u16 v16, v111 offset:5632
	ds_read_u16 v18, v111 offset:5808
	;; [unrolled: 1-line block ×4, first 2 shown]
	v_cvt_f32_f16_sdwa v167, v20 dst_sel:DWORD dst_unused:UNUSED_PAD src0_sel:WORD_1
	s_nop 2
	v_cvt_f16_f32_e32 v10, v10
	v_cvt_f16_f32_e32 v11, v11
	;; [unrolled: 1-line block ×4, first 2 shown]
	s_waitcnt lgkmcnt(0)
	v_perm_b32 v17, v19, v17, s62
	v_perm_b32 v16, v18, v16, s62
	v_cvt_f32_f16_e32 v10, v10
	v_cvt_f32_f16_e32 v11, v11
	;; [unrolled: 1-line block ×4, first 2 shown]
	s_nop 1
	v_mfma_f32_16x16x16_f16 v[10:13], v[16:17], v[92:93], v[10:13]
	ds_read_u16 v16, v111 offset:8448
	ds_read_u16 v18, v111 offset:8624
	;; [unrolled: 1-line block ×5, first 2 shown]
	s_nop 2
	v_cvt_f16_f32_e32 v10, v10
	v_cvt_f16_f32_e32 v11, v11
	;; [unrolled: 1-line block ×4, first 2 shown]
	s_waitcnt lgkmcnt(1)
	v_perm_b32 v17, v19, v17, s62
	v_perm_b32 v16, v18, v16, s62
	v_cvt_f32_f16_e32 v10, v10
	v_cvt_f32_f16_e32 v11, v11
	v_cvt_f32_f16_e32 v12, v12
	v_cvt_f32_f16_e32 v13, v13
	v_cvt_f32_f16_e32 v18, v14
	v_cvt_f32_f16_sdwa v19, v14 dst_sel:DWORD dst_unused:UNUSED_PAD src0_sel:WORD_1
	v_mfma_f32_16x16x16_f16 v[10:13], v[16:17], v[86:87], v[10:13]
	v_cvt_f32_f16_e32 v16, v15
	v_cvt_f32_f16_sdwa v17, v15 dst_sel:DWORD dst_unused:UNUSED_PAD src0_sel:WORD_1
	v_perm_b32 v15, v175, v30, s62
	s_waitcnt lgkmcnt(0)
	v_perm_b32 v14, v21, v176, s62
	s_nop 1
	v_mfma_f32_16x16x16_f16 v[14:17], v[14:15], v[88:89], v[16:19]
	s_nop 2
	ds_read_u16 v18, v111 offset:2848
	ds_read_u16 v21, v111 offset:3024
	ds_read_u16 v19, v112 offset:2848
	ds_read_u16 v24, v113 offset:2848
	s_nop 0
	v_cvt_f16_f32_e32 v14, v14
	v_cvt_f16_f32_e32 v15, v15
	v_cvt_f16_f32_e32 v16, v16
	v_cvt_f16_f32_e32 v17, v17
	s_waitcnt lgkmcnt(0)
	v_perm_b32 v19, v24, v19, s62
	v_perm_b32 v18, v21, v18, s62
	v_cvt_f32_f16_e32 v14, v14
	v_cvt_f32_f16_e32 v15, v15
	v_cvt_f32_f16_e32 v16, v16
	v_cvt_f32_f16_e32 v17, v17
	s_nop 1
	v_mfma_f32_16x16x16_f16 v[14:17], v[18:19], v[90:91], v[14:17]
	ds_read_u16 v18, v111 offset:5664
	ds_read_u16 v21, v111 offset:5840
	ds_read_u16 v19, v112 offset:5664
	ds_read_u16 v24, v113 offset:5664
	s_nop 3
	v_cvt_f16_f32_e32 v14, v14
	v_cvt_f16_f32_e32 v15, v15
	v_cvt_f16_f32_e32 v16, v16
	v_cvt_f16_f32_e32 v17, v17
	s_waitcnt lgkmcnt(0)
	v_perm_b32 v19, v24, v19, s62
	v_perm_b32 v18, v21, v18, s62
	v_cvt_f32_f16_e32 v14, v14
	v_cvt_f32_f16_e32 v15, v15
	v_cvt_f32_f16_e32 v16, v16
	v_cvt_f32_f16_e32 v17, v17
	s_nop 1
	v_mfma_f32_16x16x16_f16 v[14:17], v[18:19], v[92:93], v[14:17]
	;; [unrolled: 18-line block ×3, first 2 shown]
	ds_read_u16 v18, v111 offset:64
	ds_read_u16 v21, v111 offset:240
	;; [unrolled: 1-line block ×4, first 2 shown]
	s_waitcnt lgkmcnt(2)
	v_perm_b32 v18, v21, v18, s62
	s_waitcnt lgkmcnt(0)
	v_perm_b32 v19, v24, v19, s62
	s_nop 1
	v_mfma_f32_16x16x16_f16 v[18:21], v[18:19], v[88:89], v[164:167]
	ds_read_u16 v24, v111 offset:2880
	ds_read_u16 v30, v111 offset:3056
	;; [unrolled: 1-line block ×4, first 2 shown]
	v_cvt_f32_f16_sdwa v165, v23 dst_sel:DWORD dst_unused:UNUSED_PAD src0_sel:WORD_1
	v_cvt_f32_f16_e32 v166, v22
	s_nop 1
	v_cvt_f16_f32_e32 v18, v18
	v_cvt_f16_f32_e32 v19, v19
	;; [unrolled: 1-line block ×4, first 2 shown]
	s_waitcnt lgkmcnt(0)
	v_perm_b32 v25, v164, v25, s62
	v_perm_b32 v24, v30, v24, s62
	v_cvt_f32_f16_e32 v18, v18
	v_cvt_f32_f16_e32 v19, v19
	;; [unrolled: 1-line block ×4, first 2 shown]
	v_cvt_f32_f16_sdwa v167, v22 dst_sel:DWORD dst_unused:UNUSED_PAD src0_sel:WORD_1
	s_nop 0
	v_mfma_f32_16x16x16_f16 v[18:21], v[24:25], v[90:91], v[18:21]
	ds_read_u16 v24, v111 offset:5696
	ds_read_u16 v30, v111 offset:5872
	;; [unrolled: 1-line block ×4, first 2 shown]
	s_nop 3
	v_cvt_f16_f32_e32 v18, v18
	v_cvt_f16_f32_e32 v19, v19
	;; [unrolled: 1-line block ×4, first 2 shown]
	s_waitcnt lgkmcnt(0)
	v_perm_b32 v25, v164, v25, s62
	v_perm_b32 v24, v30, v24, s62
	v_cvt_f32_f16_e32 v18, v18
	v_cvt_f32_f16_e32 v19, v19
	;; [unrolled: 1-line block ×4, first 2 shown]
	s_nop 1
	v_mfma_f32_16x16x16_f16 v[18:21], v[24:25], v[92:93], v[18:21]
	ds_read_u16 v24, v111 offset:8512
	ds_read_u16 v30, v111 offset:8688
	ds_read_u16 v25, v112 offset:8512
	ds_read_u16 v164, v113 offset:8512
	s_nop 3
	v_cvt_f16_f32_e32 v18, v18
	v_cvt_f16_f32_e32 v19, v19
	;; [unrolled: 1-line block ×4, first 2 shown]
	s_waitcnt lgkmcnt(0)
	v_perm_b32 v25, v164, v25, s62
	v_perm_b32 v24, v30, v24, s62
	v_cvt_f32_f16_e32 v18, v18
	v_cvt_f32_f16_e32 v19, v19
	;; [unrolled: 1-line block ×5, first 2 shown]
	s_nop 0
	v_mfma_f32_16x16x16_f16 v[18:21], v[24:25], v[86:87], v[18:21]
	ds_read_u16 v24, v111 offset:96
	ds_read_u16 v25, v111 offset:272
	;; [unrolled: 1-line block ×4, first 2 shown]
	s_waitcnt lgkmcnt(2)
	v_perm_b32 v22, v25, v24, s62
	s_nop 1
	v_cvt_pk_f16_f32 v20, v20, v21
	s_waitcnt lgkmcnt(0)
	v_perm_b32 v23, v168, v30, s62
	s_nop 1
	v_mfma_f32_16x16x16_f16 v[22:25], v[22:23], v[88:89], v[164:167]
	ds_read_u16 v30, v111 offset:2912
	s_nop 1
	ds_read_u16 v164, v111 offset:3088
	ds_read_u16 v165, v112 offset:2912
	;; [unrolled: 1-line block ×3, first 2 shown]
	v_cvt_f32_f16_sdwa v167, v162 dst_sel:DWORD dst_unused:UNUSED_PAD src0_sel:WORD_1
	s_nop 0
	v_cvt_f16_f32_e32 v22, v22
	v_cvt_f16_f32_e32 v23, v23
	;; [unrolled: 1-line block ×4, first 2 shown]
	s_waitcnt lgkmcnt(0)
	v_perm_b32 v165, v166, v165, s62
	v_perm_b32 v164, v164, v30, s62
	v_cvt_f32_f16_e32 v22, v22
	v_cvt_f32_f16_e32 v23, v23
	;; [unrolled: 1-line block ×4, first 2 shown]
	s_nop 1
	v_mfma_f32_16x16x16_f16 v[22:25], v[164:165], v[90:91], v[22:25]
	ds_read_u16 v30, v111 offset:5728
	ds_read_u16 v164, v111 offset:5904
	;; [unrolled: 1-line block ×4, first 2 shown]
	s_nop 3
	v_cvt_f16_f32_e32 v22, v22
	v_cvt_f16_f32_e32 v23, v23
	;; [unrolled: 1-line block ×4, first 2 shown]
	s_waitcnt lgkmcnt(0)
	v_perm_b32 v165, v166, v165, s62
	v_perm_b32 v164, v164, v30, s62
	v_cvt_f32_f16_e32 v22, v22
	v_cvt_f32_f16_e32 v23, v23
	;; [unrolled: 1-line block ×4, first 2 shown]
	s_nop 1
	v_mfma_f32_16x16x16_f16 v[22:25], v[164:165], v[92:93], v[22:25]
	ds_read_u16 v30, v111 offset:8544
	ds_read_u16 v164, v111 offset:8720
	ds_read_u16 v165, v112 offset:8544
	ds_read_u16 v166, v113 offset:8544
	s_nop 3
	v_cvt_f16_f32_e32 v22, v22
	v_cvt_f16_f32_e32 v23, v23
	;; [unrolled: 1-line block ×4, first 2 shown]
	s_waitcnt lgkmcnt(0)
	v_perm_b32 v165, v166, v165, s62
	v_perm_b32 v164, v164, v30, s62
	ds_read_u16 v30, v111 offset:128
	ds_read_u16 v168, v111 offset:304
	;; [unrolled: 1-line block ×4, first 2 shown]
	v_cvt_f32_f16_e32 v22, v22
	v_cvt_f32_f16_e32 v23, v23
	;; [unrolled: 1-line block ×5, first 2 shown]
	s_waitcnt lgkmcnt(2)
	v_perm_b32 v162, v168, v30, s62
	v_mfma_f32_16x16x16_f16 v[22:25], v[164:165], v[86:87], v[22:25]
	v_cvt_f32_f16_e32 v164, v163
	v_cvt_f32_f16_sdwa v165, v163 dst_sel:DWORD dst_unused:UNUSED_PAD src0_sel:WORD_1
	s_waitcnt lgkmcnt(0)
	v_perm_b32 v163, v170, v169, s62
	s_nop 1
	v_mfma_f32_16x16x16_f16 v[162:165], v[162:163], v[88:89], v[164:167]
	s_nop 2
	ds_read_u16 v166, v111 offset:2944
	ds_read_u16 v167, v111 offset:3120
	;; [unrolled: 1-line block ×4, first 2 shown]
	s_nop 0
	v_cvt_f16_f32_e32 v88, v163
	v_cvt_f16_f32_e32 v89, v164
	;; [unrolled: 1-line block ×4, first 2 shown]
	v_cvt_f32_f16_e32 v163, v88
	v_cvt_f32_f16_e32 v164, v89
	s_waitcnt lgkmcnt(0)
	v_perm_b32 v89, v169, v168, s62
	v_perm_b32 v88, v167, v166, s62
	v_cvt_f32_f16_e32 v162, v30
	v_cvt_f32_f16_e32 v165, v165
	s_nop 1
	v_mfma_f32_16x16x16_f16 v[88:91], v[88:89], v[90:91], v[162:165]
	s_nop 2
	ds_read_u16 v162, v111 offset:5760
	ds_read_u16 v164, v111 offset:5936
	;; [unrolled: 1-line block ×4, first 2 shown]
	s_nop 0
	v_cvt_f16_f32_e32 v30, v88
	v_cvt_f16_f32_e32 v89, v89
	;; [unrolled: 1-line block ×4, first 2 shown]
	s_waitcnt lgkmcnt(0)
	v_perm_b32 v163, v165, v163, s62
	v_perm_b32 v162, v164, v162, s62
	v_cvt_f32_f16_e32 v88, v30
	v_cvt_f32_f16_e32 v89, v89
	;; [unrolled: 1-line block ×4, first 2 shown]
	s_nop 1
	v_mfma_f32_16x16x16_f16 v[90:93], v[162:163], v[92:93], v[88:91]
	s_nop 7
	v_cvt_f16_f32_e32 v89, v90
	v_cvt_f16_f32_e32 v90, v91
	;; [unrolled: 1-line block ×4, first 2 shown]
	ds_read_u16 v30, v111 offset:8576
	ds_read_u16 v88, v111 offset:8752
	;; [unrolled: 1-line block ×4, first 2 shown]
	v_cvt_f32_f16_e32 v164, v89
	v_cvt_f32_f16_e32 v165, v90
	s_waitcnt lgkmcnt(2)
	v_perm_b32 v88, v88, v30, s62
	v_cvt_f32_f16_e32 v166, v91
	s_waitcnt lgkmcnt(0)
	v_perm_b32 v89, v162, v93, s62
	v_cvt_f32_f16_e32 v167, v92
	v_cvt_pk_f16_f32 v90, v10, v11
	s_nop 0
	v_mfma_f32_16x16x16_f16 v[162:165], v[88:89], v[86:87], v[164:167]
	v_cvt_pk_f16_f32 v86, v14, v15
	v_cvt_pk_f16_f32 v87, v16, v17
	;; [unrolled: 1-line block ×6, first 2 shown]
	s_nop 1
	v_cvt_pk_f16_f32 v17, v162, v163
	v_cvt_pk_f16_f32 v16, v164, v165
	s_barrier
	s_cbranch_scc0 .LBB9_69
; %bb.65:                               ;   in Loop: Header=BB9_60 Depth=2
	v_mov_b32_e32 v14, v159
	v_mov_b32_e32 v15, v105
	s_branch .LBB9_60
.LBB9_66:                               ;   in Loop: Header=BB9_13 Depth=1
	s_mov_b64 s[8:9], 0
                                        ; implicit-def: $vgpr2_vgpr3
                                        ; implicit-def: $vgpr69
	s_cbranch_execnz .LBB9_124
.LBB9_67:                               ;   in Loop: Header=BB9_13 Depth=1
	v_readlane_b32 s55, v187, 31
	s_and_saveexec_b64 s[6:7], s[8:9]
	s_cbranch_execz .LBB9_12
	s_branch .LBB9_231
.LBB9_68:                               ;   in Loop: Header=BB9_13 Depth=1
	v_mov_b32_e32 v105, 0xfeffffff
	v_mov_b32_e32 v159, 0
	;; [unrolled: 1-line block ×12, first 2 shown]
.LBB9_69:                               ;   in Loop: Header=BB9_13 Depth=1
	s_lshl_b32 s6, s82, 6
	s_ashr_i32 s7, s6, 31
	s_lshl_b64 s[8:9], s[6:7], 1
	s_add_u32 s8, s76, s8
	s_addc_u32 s9, s77, s9
	v_lshlrev_b32_e32 v30, 1, v62
	v_lshl_add_u64 v[10:11], s[8:9], 0, v[30:31]
	v_lshl_add_u64 v[12:13], v[80:81], 1, v[10:11]
	;; [unrolled: 1-line block ×3, first 2 shown]
	global_load_dword v12, v[12:13], off
	s_nop 0
	global_load_dword v10, v[10:11], off
	s_mul_hi_i32 s9, s34, s6
	s_mul_i32 s8, s34, s6
	s_lshl_b64 s[8:9], s[8:9], 2
	s_add_u32 s8, s5, s8
	v_add_u32_e32 v11, v137, v135
	s_addc_u32 s9, s4, s9
	s_waitcnt vmcnt(1)
	ds_write_b32 v11, v12 offset:11264
	s_waitcnt vmcnt(0)
	ds_write_b32 v11, v10 offset:12416
	s_and_saveexec_b64 s[80:81], s[0:1]
	s_cbranch_execz .LBB9_71
; %bb.70:                               ;   in Loop: Header=BB9_13 Depth=1
	v_lshl_add_u64 v[10:11], v[40:41], 2, s[8:9]
	v_lshlrev_b32_e32 v30, 2, v38
	v_lshl_add_u64 v[10:11], v[10:11], 0, v[30:31]
	global_load_dwordx4 v[10:13], v[10:11], off offset:128
	s_waitcnt vmcnt(0)
	ds_write_b128 v108, v[10:13]
.LBB9_71:                               ;   in Loop: Header=BB9_13 Depth=1
	s_or_b64 exec, exec, s[80:81]
	v_lshl_add_u64 v[10:11], v[34:35], 2, s[8:9]
	v_lshlrev_b32_e32 v30, 2, v32
	v_lshl_add_u64 v[10:11], v[10:11], 0, v[30:31]
	v_lshl_add_u64 v[12:13], v[36:37], 2, s[8:9]
	;; [unrolled: 1-line block ×3, first 2 shown]
	global_load_dwordx4 v[10:13], v[10:11], off
	s_mul_hi_i32 s7, s6, s30
	s_mul_i32 s6, s6, s30
	s_lshl_b64 s[6:7], s[6:7], 2
	s_add_u32 s6, s38, s6
	s_addc_u32 s7, s49, s7
	s_waitcnt vmcnt(0)
	ds_write_b128 v67, v[10:13]
	global_load_dwordx4 v[10:13], v[14:15], off
	s_waitcnt vmcnt(0)
	ds_write_b128 v107, v[10:13]
	s_waitcnt lgkmcnt(0)
	s_barrier
	ds_read2_b64 v[10:13], v33 offset1:4
	s_waitcnt lgkmcnt(0)
	v_mfma_f32_16x16x16_f16 v[22:25], v[10:11], v[6:7], 0
	ds_read_b64 v[14:15], v33 offset:128
	v_mfma_f32_16x16x16_f16 v[10:13], v[12:13], v[8:9], v[22:25]
	s_nop 5
	ds_read2_b64 v[22:25], v33 offset0:8 offset1:12
	s_waitcnt lgkmcnt(0)
	v_mfma_f32_16x16x16_f16 v[10:13], v[22:23], v[2:3], v[10:13]
	v_mfma_f32_16x16x16_f16 v[10:13], v[24:25], v[4:5], v[10:13]
	;; [unrolled: 1-line block ×3, first 2 shown]
	v_add_u32_e32 v14, 0x800, v33
	ds_read2_b64 v[22:25], v14 offset0:96 offset1:100
	s_waitcnt lgkmcnt(0)
	v_mfma_f32_16x16x16_f16 v[80:83], v[22:23], v[6:7], 0
	v_mfma_f32_16x16x16_f16 v[22:25], v[24:25], v[8:9], v[80:83]
	s_nop 6
	ds_read2_b64 v[80:83], v14 offset0:104 offset1:108
	ds_read_b64 v[14:15], v33 offset:2944
	s_waitcnt lgkmcnt(1)
	v_mfma_f32_16x16x16_f16 v[22:25], v[80:81], v[2:3], v[22:25]
	v_mfma_f32_16x16x16_f16 v[22:25], v[82:83], v[4:5], v[22:25]
	s_waitcnt lgkmcnt(0)
	v_mfma_f32_16x16x16_f16 v[80:83], v[14:15], v[78:79], v[22:25]
	v_add_u32_e32 v14, 0x1000, v33
	s_nop 4
	ds_read2_b64 v[22:25], v14 offset0:192 offset1:196
	s_waitcnt lgkmcnt(0)
	v_mfma_f32_16x16x16_f16 v[160:163], v[22:23], v[6:7], 0
	v_mfma_f32_16x16x16_f16 v[22:25], v[24:25], v[8:9], v[160:163]
	s_nop 6
	ds_read2_b64 v[160:163], v14 offset0:200 offset1:204
	ds_read_b64 v[14:15], v33 offset:5760
	s_waitcnt lgkmcnt(1)
	v_mfma_f32_16x16x16_f16 v[22:25], v[160:161], v[2:3], v[22:25]
	v_mfma_f32_16x16x16_f16 v[22:25], v[162:163], v[4:5], v[22:25]
	s_waitcnt lgkmcnt(0)
	v_mfma_f32_16x16x16_f16 v[160:163], v[14:15], v[78:79], v[22:25]
	v_add_u32_e32 v14, 0x2000, v33
	s_nop 4
	ds_read2_b64 v[22:25], v14 offset0:32 offset1:36
	s_waitcnt lgkmcnt(0)
	v_mfma_f32_16x16x16_f16 v[164:167], v[22:23], v[6:7], 0
	v_mfma_f32_16x16x16_f16 v[6:9], v[24:25], v[8:9], v[164:167]
	ds_read2_b64 v[22:25], v14 offset0:40 offset1:44
	s_waitcnt lgkmcnt(0)
	v_mfma_f32_16x16x16_f16 v[6:9], v[22:23], v[2:3], v[6:9]
	v_mfma_f32_16x16x16_f16 v[2:5], v[24:25], v[4:5], v[6:9]
	s_nop 6
	ds_read_b64 v[6:7], v33 offset:8576
	s_waitcnt lgkmcnt(0)
	v_mfma_f32_16x16x16_f16 v[164:167], v[6:7], v[78:79], v[2:5]
	s_barrier
	s_nop 1
	ds_read_b32 v2, v109 offset:11264
	s_waitcnt lgkmcnt(0)
	v_cvt_f32_f16_e32 v3, v2
	v_cvt_f32_f16_sdwa v2, v2 dst_sel:DWORD dst_unused:UNUSED_PAD src0_sel:WORD_1
	v_add_f32_e32 v6, v10, v3
	v_add_f32_e32 v7, v11, v2
	ds_read_b32 v2, v110 offset:11264
	v_add_f32_e32 v15, 0x40051340, v7
	s_waitcnt lgkmcnt(0)
	v_cvt_f32_f16_e32 v3, v2
	v_cvt_f32_f16_sdwa v2, v2 dst_sel:DWORD dst_unused:UNUSED_PAD src0_sel:WORD_1
	v_add_f32_e32 v12, v12, v3
	v_add_f32_e32 v13, v13, v2
	v_add_u32_e32 v2, 0x2c00, v138
	ds_read2_b32 v[2:3], v2 offset1:1
	v_add_f32_e32 v21, 0x40051340, v13
	s_waitcnt lgkmcnt(0)
	v_cvt_f32_f16_e32 v4, v2
	v_cvt_f32_f16_sdwa v2, v2 dst_sel:DWORD dst_unused:UNUSED_PAD src0_sel:WORD_1
	v_add_f32_e32 v78, v80, v4
	v_add_f32_e32 v24, v81, v2
	v_cvt_f32_f16_e32 v2, v3
	v_cvt_f32_f16_sdwa v3, v3 dst_sel:DWORD dst_unused:UNUSED_PAD src0_sel:WORD_1
	v_add_f32_e32 v25, v82, v2
	v_add_u32_e32 v2, 0x2c00, v139
	v_add_f32_e32 v23, v83, v3
	ds_read2_b32 v[2:3], v2 offset1:1
	s_waitcnt lgkmcnt(0)
	v_cvt_f32_f16_e32 v4, v2
	v_cvt_f32_f16_sdwa v2, v2 dst_sel:DWORD dst_unused:UNUSED_PAD src0_sel:WORD_1
	v_add_f32_e32 v11, v160, v4
	v_add_f32_e32 v10, v161, v2
	v_cvt_f32_f16_e32 v2, v3
	v_cvt_f32_f16_sdwa v3, v3 dst_sel:DWORD dst_unused:UNUSED_PAD src0_sel:WORD_1
	v_add_f32_e32 v9, v162, v2
	v_add_u32_e32 v2, 0x2c00, v140
	v_add_f32_e32 v4, v163, v3
	ds_read2_b32 v[2:3], v2 offset1:1
	s_waitcnt lgkmcnt(0)
	v_cvt_f32_f16_e32 v5, v2
	v_cvt_f32_f16_sdwa v2, v2 dst_sel:DWORD dst_unused:UNUSED_PAD src0_sel:WORD_1
	v_cvt_f32_f16_sdwa v14, v3 dst_sel:DWORD dst_unused:UNUSED_PAD src0_sel:WORD_1
	v_add_f32_e32 v8, v164, v5
	v_add_f32_e32 v5, v165, v2
	v_cvt_f32_f16_e32 v2, v3
	v_add_f32_e32 v3, v166, v2
	v_add_f32_e32 v2, v167, v14
	;; [unrolled: 1-line block ×3, first 2 shown]
	v_max3_f32 v14, v105, v14, v15
	v_add_f32_e32 v15, 0x40051340, v12
	v_max3_f32 v14, v14, v15, v21
	v_add_f32_e32 v15, 0x40051340, v78
	v_add_f32_e32 v21, 0x40051340, v24
	v_max3_f32 v14, v14, v15, v21
	v_add_f32_e32 v15, 0x40051340, v25
	;; [unrolled: 3-line block ×6, first 2 shown]
	v_add_f32_e32 v21, 0x40051340, v2
	v_max3_f32 v14, v14, v15, v21
	v_and_b32_e32 v15, 64, v157
	v_add_u32_e32 v21, 64, v15
	v_xor_b32_e32 v15, 32, v157
	v_cmp_lt_i32_e32 vcc, v15, v21
	s_nop 1
	v_cndmask_b32_e32 v15, v157, v15, vcc
	v_lshlrev_b32_e32 v15, 2, v15
	ds_bpermute_b32 v22, v15, v14
	s_waitcnt lgkmcnt(0)
	v_max_f32_e32 v22, v22, v22
	v_max_f32_e32 v14, v14, v22
	v_xor_b32_e32 v22, 16, v157
	v_cmp_lt_i32_e32 vcc, v22, v21
	s_nop 1
	v_cndmask_b32_e32 v21, v157, v22, vcc
	v_lshlrev_b32_e32 v22, 2, v21
	ds_bpermute_b32 v21, v22, v14
	s_and_saveexec_b64 s[8:9], s[0:1]
	s_cbranch_execz .LBB9_73
; %bb.72:                               ;   in Loop: Header=BB9_13 Depth=1
	v_lshl_add_u64 v[80:81], v[42:43], 2, s[6:7]
	v_lshlrev_b32_e32 v82, 2, v38
	v_mov_b32_e32 v83, v31
	v_lshl_add_u64 v[80:81], v[80:81], 0, v[82:83]
	global_load_dwordx4 v[80:83], v[80:81], off offset:128
	s_waitcnt vmcnt(0)
	ds_write_b128 v108, v[80:83]
.LBB9_73:                               ;   in Loop: Header=BB9_13 Depth=1
	s_or_b64 exec, exec, s[8:9]
	s_waitcnt lgkmcnt(0)
	v_max_f32_e32 v21, v21, v21
	v_max_f32_e32 v14, v14, v14
	;; [unrolled: 1-line block ×3, first 2 shown]
	v_sub_f32_e32 v6, v6, v14
	v_mul_f32_e32 v21, 0x3fb8aa3b, v6
	v_fma_f32 v79, v6, s43, -v21
	v_rndne_f32_e32 v80, v21
	v_fmac_f32_e32 v79, 0x32a5705f, v6
	v_sub_f32_e32 v21, v21, v80
	v_add_f32_e32 v21, v21, v79
	v_exp_f32_e32 v21, v21
	v_cvt_i32_f32_e32 v79, v80
	v_cmp_ngt_f32_e32 vcc, s63, v6
	v_sub_f32_e32 v7, v7, v14
	v_sub_f32_e32 v12, v12, v14
	v_ldexp_f32 v21, v21, v79
	v_cndmask_b32_e32 v21, 0, v21, vcc
	v_cmp_nlt_f32_e32 vcc, s60, v6
	v_sub_f32_e32 v13, v13, v14
	v_sub_f32_e32 v24, v24, v14
	v_cndmask_b32_e32 v6, v158, v21, vcc
	v_mul_f32_e32 v21, 0x3fb8aa3b, v7
	v_fma_f32 v79, v7, s43, -v21
	v_rndne_f32_e32 v80, v21
	v_fmac_f32_e32 v79, 0x32a5705f, v7
	v_sub_f32_e32 v21, v21, v80
	v_add_f32_e32 v21, v21, v79
	v_exp_f32_e32 v21, v21
	v_cvt_i32_f32_e32 v79, v80
	v_cmp_ngt_f32_e32 vcc, s63, v7
	v_sub_f32_e32 v25, v25, v14
	v_sub_f32_e32 v23, v23, v14
	v_ldexp_f32 v21, v21, v79
	v_mul_f32_e32 v79, 0x3fb8aa3b, v12
	v_fma_f32 v80, v12, s43, -v79
	v_rndne_f32_e32 v81, v79
	v_fmac_f32_e32 v80, 0x32a5705f, v12
	v_sub_f32_e32 v79, v79, v81
	v_add_f32_e32 v79, v79, v80
	v_exp_f32_e32 v79, v79
	v_cvt_i32_f32_e32 v80, v81
	v_cndmask_b32_e32 v21, 0, v21, vcc
	v_cmp_nlt_f32_e32 vcc, s60, v7
	v_sub_f32_e32 v11, v11, v14
	v_ldexp_f32 v79, v79, v80
	v_cndmask_b32_e32 v7, v158, v21, vcc
	v_cmp_ngt_f32_e32 vcc, s63, v12
	v_add_f32_e32 v21, v6, v7
	v_sub_f32_e32 v10, v10, v14
	v_cndmask_b32_e32 v79, 0, v79, vcc
	v_cmp_nlt_f32_e32 vcc, s60, v12
	v_sub_f32_e32 v9, v9, v14
	v_sub_f32_e32 v4, v4, v14
	v_cndmask_b32_e32 v12, v158, v79, vcc
	v_add_f32_e32 v79, v12, v21
	v_mul_f32_e32 v21, 0x3fb8aa3b, v13
	v_fma_f32 v80, v13, s43, -v21
	v_rndne_f32_e32 v81, v21
	v_fmac_f32_e32 v80, 0x32a5705f, v13
	v_sub_f32_e32 v21, v21, v81
	v_add_f32_e32 v21, v21, v80
	v_exp_f32_e32 v21, v21
	v_cvt_i32_f32_e32 v80, v81
	v_cmp_ngt_f32_e32 vcc, s63, v13
	v_sub_f32_e32 v8, v8, v14
	v_sub_f32_e32 v5, v5, v14
	v_ldexp_f32 v21, v21, v80
	v_cndmask_b32_e32 v21, 0, v21, vcc
	v_cmp_nlt_f32_e32 vcc, s60, v13
	v_sub_f32_e32 v13, v78, v14
	v_mul_f32_e32 v78, 0x3fb8aa3b, v13
	v_fma_f32 v80, v13, s43, -v78
	v_rndne_f32_e32 v81, v78
	v_fmac_f32_e32 v80, 0x32a5705f, v13
	v_sub_f32_e32 v78, v78, v81
	v_add_f32_e32 v78, v78, v80
	v_exp_f32_e32 v78, v78
	v_cvt_i32_f32_e32 v80, v81
	v_cndmask_b32_e32 v21, v158, v21, vcc
	v_cmp_ngt_f32_e32 vcc, s63, v13
	v_add_f32_e32 v79, v21, v79
	v_ldexp_f32 v78, v78, v80
	v_cndmask_b32_e32 v78, 0, v78, vcc
	v_cmp_nlt_f32_e32 vcc, s60, v13
	v_sub_f32_e32 v3, v3, v14
	v_sub_f32_e32 v2, v2, v14
	v_cndmask_b32_e32 v13, v158, v78, vcc
	v_add_f32_e32 v78, v13, v79
	v_mul_f32_e32 v79, 0x3fb8aa3b, v24
	v_fma_f32 v80, v24, s43, -v79
	v_rndne_f32_e32 v81, v79
	v_fmac_f32_e32 v80, 0x32a5705f, v24
	v_sub_f32_e32 v79, v79, v81
	v_add_f32_e32 v79, v79, v80
	v_exp_f32_e32 v79, v79
	v_cvt_i32_f32_e32 v80, v81
	v_cmp_ngt_f32_e32 vcc, s63, v24
	s_cmp_eq_u64 s[74:75], 0
	v_ldexp_f32 v79, v79, v80
	v_cndmask_b32_e32 v79, 0, v79, vcc
	v_cmp_nlt_f32_e32 vcc, s60, v24
	s_nop 1
	v_cndmask_b32_e32 v24, v158, v79, vcc
	v_mul_f32_e32 v79, 0x3fb8aa3b, v25
	v_fma_f32 v80, v25, s43, -v79
	v_rndne_f32_e32 v81, v79
	v_fmac_f32_e32 v80, 0x32a5705f, v25
	v_sub_f32_e32 v79, v79, v81
	v_add_f32_e32 v79, v79, v80
	v_exp_f32_e32 v79, v79
	v_cvt_i32_f32_e32 v80, v81
	v_cmp_ngt_f32_e32 vcc, s63, v25
	v_add_f32_e32 v78, v24, v78
	v_ldexp_f32 v79, v79, v80
	v_cndmask_b32_e32 v79, 0, v79, vcc
	v_cmp_nlt_f32_e32 vcc, s60, v25
	s_nop 1
	v_cndmask_b32_e32 v25, v158, v79, vcc
	v_mul_f32_e32 v79, 0x3fb8aa3b, v23
	v_fma_f32 v80, v23, s43, -v79
	v_rndne_f32_e32 v81, v79
	v_fmac_f32_e32 v80, 0x32a5705f, v23
	v_sub_f32_e32 v79, v79, v81
	v_add_f32_e32 v79, v79, v80
	v_exp_f32_e32 v79, v79
	v_cvt_i32_f32_e32 v80, v81
	v_cmp_ngt_f32_e32 vcc, s63, v23
	v_add_f32_e32 v78, v25, v78
	v_ldexp_f32 v79, v79, v80
	v_cndmask_b32_e32 v79, 0, v79, vcc
	v_cmp_nlt_f32_e32 vcc, s60, v23
	s_nop 1
	v_cndmask_b32_e32 v80, v158, v79, vcc
	v_add_f32_e32 v23, v80, v78
	v_mul_f32_e32 v78, 0x3fb8aa3b, v11
	v_fma_f32 v79, v11, s43, -v78
	v_rndne_f32_e32 v81, v78
	v_fmac_f32_e32 v79, 0x32a5705f, v11
	v_sub_f32_e32 v78, v78, v81
	v_add_f32_e32 v78, v78, v79
	v_exp_f32_e32 v78, v78
	v_cvt_i32_f32_e32 v79, v81
	v_cmp_ngt_f32_e32 vcc, s63, v11
	v_ldexp_f32 v78, v78, v79
	s_nop 0
	v_cndmask_b32_e32 v78, 0, v78, vcc
	v_cmp_nlt_f32_e32 vcc, s60, v11
	s_nop 1
	v_cndmask_b32_e32 v81, v158, v78, vcc
	v_add_f32_e32 v11, v81, v23
	v_mul_f32_e32 v23, 0x3fb8aa3b, v10
	v_fma_f32 v78, v10, s43, -v23
	v_rndne_f32_e32 v79, v23
	v_fmac_f32_e32 v78, 0x32a5705f, v10
	v_sub_f32_e32 v23, v23, v79
	v_add_f32_e32 v23, v23, v78
	v_exp_f32_e32 v23, v23
	v_cvt_i32_f32_e32 v78, v79
	v_cmp_ngt_f32_e32 vcc, s63, v10
	v_ldexp_f32 v23, v23, v78
	s_nop 0
	v_cndmask_b32_e32 v23, 0, v23, vcc
	v_cmp_nlt_f32_e32 vcc, s60, v10
	s_nop 1
	v_cndmask_b32_e32 v82, v158, v23, vcc
	v_add_f32_e32 v10, v82, v11
	v_mul_f32_e32 v11, 0x3fb8aa3b, v9
	v_fma_f32 v23, v9, s43, -v11
	v_rndne_f32_e32 v78, v11
	v_fmac_f32_e32 v23, 0x32a5705f, v9
	v_sub_f32_e32 v11, v11, v78
	v_add_f32_e32 v11, v11, v23
	v_exp_f32_e32 v11, v11
	v_cvt_i32_f32_e32 v23, v78
	v_cmp_ngt_f32_e32 vcc, s63, v9
	v_ldexp_f32 v11, v11, v23
	s_nop 0
	v_cndmask_b32_e32 v11, 0, v11, vcc
	v_cmp_nlt_f32_e32 vcc, s60, v9
	s_nop 1
	v_cndmask_b32_e32 v83, v158, v11, vcc
	v_add_f32_e32 v9, v83, v10
	v_mul_f32_e32 v10, 0x3fb8aa3b, v4
	v_fma_f32 v11, v4, s43, -v10
	v_rndne_f32_e32 v23, v10
	v_fmac_f32_e32 v11, 0x32a5705f, v4
	v_sub_f32_e32 v10, v10, v23
	v_add_f32_e32 v10, v10, v11
	v_exp_f32_e32 v10, v10
	v_cvt_i32_f32_e32 v11, v23
	v_cmp_ngt_f32_e32 vcc, s63, v4
	v_ldexp_f32 v10, v10, v11
	s_nop 0
	v_cndmask_b32_e32 v10, 0, v10, vcc
	v_cmp_nlt_f32_e32 vcc, s60, v4
	s_nop 1
	v_cndmask_b32_e32 v85, v158, v10, vcc
	v_add_f32_e32 v4, v85, v9
	v_mul_f32_e32 v9, 0x3fb8aa3b, v8
	v_fma_f32 v10, v8, s43, -v9
	v_rndne_f32_e32 v11, v9
	v_fmac_f32_e32 v10, 0x32a5705f, v8
	v_sub_f32_e32 v9, v9, v11
	v_add_f32_e32 v9, v9, v10
	v_exp_f32_e32 v9, v9
	v_cvt_i32_f32_e32 v10, v11
	v_cmp_ngt_f32_e32 vcc, s63, v8
	v_ldexp_f32 v9, v9, v10
	s_nop 0
	v_cndmask_b32_e32 v9, 0, v9, vcc
	v_cmp_nlt_f32_e32 vcc, s60, v8
	v_mul_f32_e32 v8, 0x3fb8aa3b, v5
	v_rndne_f32_e32 v10, v8
	v_cndmask_b32_e32 v84, v158, v9, vcc
	v_fma_f32 v9, v5, s43, -v8
	v_fmac_f32_e32 v9, 0x32a5705f, v5
	v_sub_f32_e32 v8, v8, v10
	v_add_f32_e32 v8, v8, v9
	v_exp_f32_e32 v8, v8
	v_cvt_i32_f32_e32 v9, v10
	v_cmp_ngt_f32_e32 vcc, s63, v5
	v_add_f32_e32 v4, v84, v4
	v_ldexp_f32 v8, v8, v9
	v_cndmask_b32_e32 v8, 0, v8, vcc
	v_cmp_nlt_f32_e32 vcc, s60, v5
	v_mul_f32_e32 v5, 0x3fb8aa3b, v3
	v_rndne_f32_e32 v9, v5
	v_cndmask_b32_e32 v91, v158, v8, vcc
	v_fma_f32 v8, v3, s43, -v5
	v_fmac_f32_e32 v8, 0x32a5705f, v3
	v_sub_f32_e32 v5, v5, v9
	v_add_f32_e32 v5, v5, v8
	v_exp_f32_e32 v5, v5
	v_cvt_i32_f32_e32 v8, v9
	v_cmp_ngt_f32_e32 vcc, s63, v3
	v_add_f32_e32 v4, v91, v4
	v_ldexp_f32 v5, v5, v8
	v_cndmask_b32_e32 v5, 0, v5, vcc
	v_cmp_nlt_f32_e32 vcc, s60, v3
	s_nop 1
	v_cndmask_b32_e32 v92, v158, v5, vcc
	v_add_f32_e32 v3, v92, v4
	v_mul_f32_e32 v4, 0x3fb8aa3b, v2
	v_fma_f32 v5, v2, s43, -v4
	v_rndne_f32_e32 v8, v4
	v_fmac_f32_e32 v5, 0x32a5705f, v2
	v_sub_f32_e32 v4, v4, v8
	v_add_f32_e32 v4, v4, v5
	v_exp_f32_e32 v4, v4
	v_cvt_i32_f32_e32 v5, v8
	v_cmp_ngt_f32_e32 vcc, s63, v2
	v_ldexp_f32 v4, v4, v5
	s_nop 0
	v_cndmask_b32_e32 v4, 0, v4, vcc
	v_cmp_nlt_f32_e32 vcc, s60, v2
	v_sub_f32_e32 v2, v105, v14
	s_nop 0
	v_cndmask_b32_e32 v93, v158, v4, vcc
	v_add_f32_e32 v23, v93, v3
	v_mul_f32_e32 v3, 0x3fb8aa3b, v2
	v_fma_f32 v4, v2, s43, -v3
	v_rndne_f32_e32 v5, v3
	v_fmac_f32_e32 v4, 0x32a5705f, v2
	v_sub_f32_e32 v3, v3, v5
	v_add_f32_e32 v3, v3, v4
	v_exp_f32_e32 v3, v3
	v_cvt_i32_f32_e32 v4, v5
	v_cmp_ngt_f32_e32 vcc, s63, v2
	v_ldexp_f32 v3, v3, v4
	s_nop 0
	v_cndmask_b32_e32 v3, 0, v3, vcc
	v_cmp_nlt_f32_e32 vcc, s60, v2
	s_nop 1
	v_cndmask_b32_e32 v3, v158, v3, vcc
	v_cmp_le_f32_e32 vcc, s61, v2
	s_nop 1
	v_cndmask_b32_e32 v2, 0, v3, vcc
	v_fmac_f32_e32 v23, v159, v2
	v_cvt_f16_f32_e32 v2, v2
	v_mul_u32_u24_e32 v2, 0x10001, v2
	v_pk_mul_f16 v105, v90, v2
	v_pk_mul_f16 v90, v89, v2
	;; [unrolled: 1-line block ×10, first 2 shown]
	v_lshl_add_u64 v[2:3], v[46:47], 2, s[6:7]
	v_lshl_add_u64 v[2:3], v[2:3], 0, v[30:31]
	global_load_dwordx4 v[2:5], v[2:3], off
	v_cvt_pk_f16_f32 v20, v81, v82
	v_cvt_f32_f16_e32 v82, v8
	s_waitcnt vmcnt(0)
	ds_write_b128 v67, v[2:5]
	v_lshl_add_u64 v[2:3], v[44:45], 2, s[6:7]
	v_lshl_add_u64 v[2:3], v[2:3], 0, v[30:31]
	global_load_dwordx4 v[2:5], v[2:3], off
	s_waitcnt vmcnt(0)
	ds_write_b128 v107, v[2:5]
	s_waitcnt lgkmcnt(0)
	s_barrier
	ds_read_u16 v16, v111 offset:176
	ds_read_u16 v17, v112
	ds_read_u16 v30, v112 offset:32
	ds_read_u16 v18, v113
	ds_read_u16 v87, v113 offset:32
	v_cvt_f32_f16_e32 v2, v105
	v_cvt_f32_f16_sdwa v3, v105 dst_sel:DWORD dst_unused:UNUSED_PAD src0_sel:WORD_1
	v_cvt_f32_f16_e32 v4, v90
	s_waitcnt lgkmcnt(1)
	v_perm_b32 v19, v18, v17, s62
	ds_read_u16 v17, v111
	ds_read_u16 v88, v111 offset:32
	v_cvt_f32_f16_sdwa v5, v90 dst_sel:DWORD dst_unused:UNUSED_PAD src0_sel:WORD_1
	s_waitcnt lgkmcnt(2)
	v_perm_b32 v81, v87, v30, s62
	s_waitcnt lgkmcnt(1)
	v_perm_b32 v18, v16, v17, s62
	v_cvt_pk_f16_f32 v17, v12, v21
	v_cvt_pk_f16_f32 v16, v6, v7
	;; [unrolled: 1-line block ×3, first 2 shown]
	v_cvt_f32_f16_sdwa v83, v8 dst_sel:DWORD dst_unused:UNUSED_PAD src0_sel:WORD_1
	v_mfma_f32_16x16x16_f16 v[2:5], v[18:19], v[16:17], v[2:5]
	ds_read_u16 v6, v111 offset:2816
	ds_read_u16 v12, v111 offset:2992
	;; [unrolled: 1-line block ×4, first 2 shown]
	v_cvt_pk_f16_f32 v19, v25, v80
	s_nop 2
	v_cvt_f16_f32_e32 v2, v2
	v_cvt_f16_f32_e32 v3, v3
	v_cvt_f16_f32_e32 v4, v4
	v_cvt_f16_f32_e32 v5, v5
	s_waitcnt lgkmcnt(0)
	v_perm_b32 v7, v18, v7, s62
	v_perm_b32 v6, v12, v6, s62
	v_cvt_f32_f16_e32 v2, v2
	v_cvt_f32_f16_e32 v3, v3
	;; [unrolled: 1-line block ×4, first 2 shown]
	v_cvt_pk_f16_f32 v18, v13, v24
	s_nop 1
	v_mfma_f32_16x16x16_f16 v[2:5], v[6:7], v[18:19], v[2:5]
	ds_read_u16 v6, v111 offset:5632
	ds_read_u16 v12, v111 offset:5808
	;; [unrolled: 1-line block ×4, first 2 shown]
	s_waitcnt lgkmcnt(2)
	v_perm_b32 v6, v12, v6, s62
	s_nop 1
	v_cvt_f16_f32_e32 v2, v2
	v_cvt_f16_f32_e32 v3, v3
	v_cvt_f16_f32_e32 v4, v4
	v_cvt_f16_f32_e32 v5, v5
	s_waitcnt lgkmcnt(0)
	v_perm_b32 v7, v13, v7, s62
	v_cvt_f32_f16_e32 v2, v2
	v_cvt_f32_f16_e32 v3, v3
	;; [unrolled: 1-line block ×4, first 2 shown]
	s_nop 1
	v_mfma_f32_16x16x16_f16 v[2:5], v[6:7], v[20:21], v[2:5]
	ds_read_u16 v6, v111 offset:8448
	ds_read_u16 v12, v111 offset:8624
	;; [unrolled: 1-line block ×5, first 2 shown]
	s_nop 2
	v_cvt_f16_f32_e32 v2, v2
	v_cvt_f16_f32_e32 v3, v3
	;; [unrolled: 1-line block ×4, first 2 shown]
	s_waitcnt lgkmcnt(1)
	v_perm_b32 v7, v13, v7, s62
	v_perm_b32 v6, v12, v6, s62
	v_cvt_f32_f16_e32 v2, v2
	v_cvt_f32_f16_e32 v3, v3
	;; [unrolled: 1-line block ×4, first 2 shown]
	v_cvt_pk_f16_f32 v13, v92, v93
	v_cvt_pk_f16_f32 v12, v84, v91
	s_waitcnt lgkmcnt(0)
	v_perm_b32 v80, v25, v88, s62
	v_mfma_f32_16x16x16_f16 v[2:5], v[6:7], v[12:13], v[2:5]
	v_cvt_f32_f16_e32 v6, v86
	v_cvt_f32_f16_sdwa v7, v86 dst_sel:DWORD dst_unused:UNUSED_PAD src0_sel:WORD_1
	s_nop 5
	v_cvt_f16_f32_e32 v4, v4
	v_cvt_f16_f32_e32 v5, v5
	v_perm_b32 v24, v5, v4, s62
	v_cvt_f32_f16_e32 v4, v89
	v_cvt_f32_f16_sdwa v5, v89 dst_sel:DWORD dst_unused:UNUSED_PAD src0_sel:WORD_1
	s_nop 1
	v_mfma_f32_16x16x16_f16 v[4:7], v[80:81], v[16:17], v[4:7]
	ds_read_u16 v25, v111 offset:2848
	ds_read_u16 v30, v111 offset:3024
	ds_read_u16 v80, v112 offset:2848
	ds_read_u16 v81, v113 offset:2848
	s_nop 3
	v_cvt_f16_f32_e32 v4, v4
	v_cvt_f16_f32_e32 v5, v5
	v_cvt_f16_f32_e32 v6, v6
	v_cvt_f16_f32_e32 v7, v7
	s_waitcnt lgkmcnt(0)
	v_perm_b32 v81, v81, v80, s62
	v_perm_b32 v80, v30, v25, s62
	v_cvt_f32_f16_e32 v4, v4
	v_cvt_f32_f16_e32 v5, v5
	v_cvt_f32_f16_e32 v6, v6
	v_cvt_f32_f16_e32 v7, v7
	s_nop 1
	v_mfma_f32_16x16x16_f16 v[4:7], v[80:81], v[18:19], v[4:7]
	ds_read_u16 v25, v111 offset:5664
	ds_read_u16 v30, v111 offset:5840
	ds_read_u16 v80, v112 offset:5664
	ds_read_u16 v81, v113 offset:5664
	s_nop 3
	v_cvt_f16_f32_e32 v4, v4
	v_cvt_f16_f32_e32 v5, v5
	v_cvt_f16_f32_e32 v6, v6
	v_cvt_f16_f32_e32 v7, v7
	s_waitcnt lgkmcnt(0)
	v_perm_b32 v81, v81, v80, s62
	v_perm_b32 v80, v30, v25, s62
	v_cvt_f32_f16_e32 v4, v4
	v_cvt_f32_f16_e32 v5, v5
	v_cvt_f32_f16_e32 v6, v6
	v_cvt_f32_f16_e32 v7, v7
	;; [unrolled: 18-line block ×3, first 2 shown]
	s_nop 1
	v_mfma_f32_16x16x16_f16 v[4:7], v[80:81], v[12:13], v[4:7]
	v_cvt_f32_f16_e32 v80, v9
	v_cvt_f32_f16_sdwa v81, v9 dst_sel:DWORD dst_unused:UNUSED_PAD src0_sel:WORD_1
	s_nop 5
	v_cvt_f16_f32_e32 v6, v6
	v_cvt_f16_f32_e32 v7, v7
	v_perm_b32 v25, v7, v6, s62
	ds_read_u16 v6, v111 offset:64
	ds_read_u16 v30, v111 offset:240
	;; [unrolled: 1-line block ×4, first 2 shown]
	s_waitcnt lgkmcnt(2)
	v_perm_b32 v6, v30, v6, s62
	s_waitcnt lgkmcnt(0)
	v_perm_b32 v7, v84, v7, s62
	s_nop 1
	v_mfma_f32_16x16x16_f16 v[6:9], v[6:7], v[16:17], v[80:83]
	ds_read_u16 v30, v111 offset:2880
	s_nop 1
	ds_read_u16 v80, v111 offset:3056
	ds_read_u16 v81, v112 offset:2880
	;; [unrolled: 1-line block ×3, first 2 shown]
	v_cvt_f32_f16_sdwa v83, v10 dst_sel:DWORD dst_unused:UNUSED_PAD src0_sel:WORD_1
	s_nop 0
	v_cvt_f16_f32_e32 v6, v6
	v_cvt_f16_f32_e32 v7, v7
	v_cvt_f16_f32_e32 v8, v8
	v_cvt_f16_f32_e32 v9, v9
	s_waitcnt lgkmcnt(0)
	v_perm_b32 v81, v82, v81, s62
	v_perm_b32 v80, v80, v30, s62
	v_cvt_f32_f16_e32 v6, v6
	v_cvt_f32_f16_e32 v7, v7
	;; [unrolled: 1-line block ×4, first 2 shown]
	s_nop 1
	v_mfma_f32_16x16x16_f16 v[6:9], v[80:81], v[18:19], v[6:9]
	ds_read_u16 v30, v111 offset:5696
	ds_read_u16 v80, v111 offset:5872
	;; [unrolled: 1-line block ×4, first 2 shown]
	s_nop 3
	v_cvt_f16_f32_e32 v6, v6
	v_cvt_f16_f32_e32 v7, v7
	;; [unrolled: 1-line block ×4, first 2 shown]
	s_waitcnt lgkmcnt(0)
	v_perm_b32 v81, v82, v81, s62
	v_perm_b32 v80, v80, v30, s62
	v_cvt_f32_f16_e32 v6, v6
	v_cvt_f32_f16_e32 v7, v7
	;; [unrolled: 1-line block ×4, first 2 shown]
	s_nop 1
	v_mfma_f32_16x16x16_f16 v[6:9], v[80:81], v[20:21], v[6:9]
	ds_read_u16 v30, v111 offset:8512
	ds_read_u16 v80, v111 offset:8688
	;; [unrolled: 1-line block ×4, first 2 shown]
	s_nop 3
	v_cvt_f16_f32_e32 v6, v6
	v_cvt_f16_f32_e32 v7, v7
	;; [unrolled: 1-line block ×4, first 2 shown]
	s_waitcnt lgkmcnt(0)
	v_perm_b32 v81, v82, v81, s62
	v_perm_b32 v80, v80, v30, s62
	v_cvt_f32_f16_e32 v6, v6
	v_cvt_f32_f16_e32 v7, v7
	;; [unrolled: 1-line block ×5, first 2 shown]
	s_nop 0
	v_mfma_f32_16x16x16_f16 v[6:9], v[80:81], v[12:13], v[6:9]
	v_cvt_f32_f16_e32 v80, v11
	v_cvt_f32_f16_sdwa v81, v11 dst_sel:DWORD dst_unused:UNUSED_PAD src0_sel:WORD_1
	s_nop 5
	v_cvt_f16_f32_e32 v8, v8
	v_cvt_f16_f32_e32 v9, v9
	v_perm_b32 v30, v9, v8, s62
	ds_read_u16 v8, v111 offset:96
	ds_read_u16 v84, v111 offset:272
	;; [unrolled: 1-line block ×4, first 2 shown]
	s_waitcnt lgkmcnt(2)
	v_perm_b32 v8, v84, v8, s62
	v_cvt_f32_f16_e32 v84, v78
	s_waitcnt lgkmcnt(0)
	v_perm_b32 v9, v85, v9, s62
	v_cvt_f32_f16_sdwa v85, v78 dst_sel:DWORD dst_unused:UNUSED_PAD src0_sel:WORD_1
	s_nop 0
	v_mfma_f32_16x16x16_f16 v[8:11], v[8:9], v[16:17], v[80:83]
	s_nop 2
	ds_read_u16 v80, v111 offset:2912
	ds_read_u16 v82, v111 offset:3088
	;; [unrolled: 1-line block ×4, first 2 shown]
	s_nop 0
	v_cvt_f16_f32_e32 v8, v8
	v_cvt_f16_f32_e32 v9, v9
	;; [unrolled: 1-line block ×4, first 2 shown]
	s_waitcnt lgkmcnt(0)
	v_perm_b32 v81, v83, v81, s62
	v_perm_b32 v80, v82, v80, s62
	v_cvt_f32_f16_e32 v8, v8
	v_cvt_f32_f16_e32 v9, v9
	;; [unrolled: 1-line block ×4, first 2 shown]
	s_nop 1
	v_mfma_f32_16x16x16_f16 v[8:11], v[80:81], v[18:19], v[8:11]
	ds_read_u16 v80, v111 offset:5728
	ds_read_u16 v82, v111 offset:5904
	;; [unrolled: 1-line block ×4, first 2 shown]
	s_nop 3
	v_cvt_f16_f32_e32 v8, v8
	v_cvt_f16_f32_e32 v9, v9
	v_cvt_f16_f32_e32 v10, v10
	v_cvt_f16_f32_e32 v11, v11
	s_waitcnt lgkmcnt(0)
	v_perm_b32 v81, v83, v81, s62
	v_perm_b32 v80, v82, v80, s62
	v_cvt_f32_f16_e32 v8, v8
	v_cvt_f32_f16_e32 v9, v9
	;; [unrolled: 1-line block ×4, first 2 shown]
	s_nop 1
	v_mfma_f32_16x16x16_f16 v[8:11], v[80:81], v[20:21], v[8:11]
	ds_read_u16 v80, v111 offset:8544
	ds_read_u16 v82, v111 offset:8720
	;; [unrolled: 1-line block ×4, first 2 shown]
	s_nop 3
	v_cvt_f16_f32_e32 v8, v8
	v_cvt_f16_f32_e32 v9, v9
	;; [unrolled: 1-line block ×4, first 2 shown]
	s_waitcnt lgkmcnt(0)
	v_perm_b32 v81, v83, v81, s62
	v_perm_b32 v80, v82, v80, s62
	v_cvt_f32_f16_e32 v8, v8
	v_cvt_f32_f16_e32 v9, v9
	;; [unrolled: 1-line block ×5, first 2 shown]
	v_cvt_f32_f16_sdwa v83, v79 dst_sel:DWORD dst_unused:UNUSED_PAD src0_sel:WORD_1
	v_mfma_f32_16x16x16_f16 v[8:11], v[80:81], v[12:13], v[8:11]
	s_nop 7
	v_cvt_f16_f32_e32 v10, v10
	v_cvt_f16_f32_e32 v11, v11
	v_perm_b32 v80, v11, v10, s62
	ds_read_u16 v10, v111 offset:128
	ds_read_u16 v81, v111 offset:304
	;; [unrolled: 1-line block ×4, first 2 shown]
	s_waitcnt lgkmcnt(2)
	v_perm_b32 v10, v81, v10, s62
	s_waitcnt lgkmcnt(0)
	v_perm_b32 v11, v86, v11, s62
	ds_read_u16 v78, v111 offset:2944
	ds_read_u16 v79, v111 offset:3120
	ds_read_u16 v81, v112 offset:2944
	ds_read_u16 v86, v113 offset:2944
	v_mfma_f32_16x16x16_f16 v[82:85], v[10:11], v[16:17], v[82:85]
	s_nop 7
	v_cvt_f16_f32_e32 v10, v82
	v_cvt_f16_f32_e32 v11, v83
	v_cvt_f16_f32_e32 v16, v84
	v_cvt_f16_f32_e32 v17, v85
	v_cvt_f32_f16_e32 v82, v10
	v_cvt_f32_f16_e32 v83, v11
	s_waitcnt lgkmcnt(0)
	v_perm_b32 v11, v86, v81, s62
	v_perm_b32 v10, v79, v78, s62
	v_cvt_f32_f16_e32 v84, v16
	v_cvt_f32_f16_e32 v85, v17
	s_nop 1
	v_mfma_f32_16x16x16_f16 v[16:19], v[10:11], v[18:19], v[82:85]
	ds_read_u16 v78, v111 offset:5760
	ds_read_u16 v79, v111 offset:5936
	;; [unrolled: 1-line block ×4, first 2 shown]
	s_nop 3
	v_cvt_f16_f32_e32 v10, v16
	v_cvt_f16_f32_e32 v11, v17
	;; [unrolled: 1-line block ×4, first 2 shown]
	v_cvt_f32_f16_e32 v16, v10
	v_cvt_f32_f16_e32 v17, v11
	s_waitcnt lgkmcnt(0)
	v_perm_b32 v11, v82, v81, s62
	v_perm_b32 v10, v79, v78, s62
	v_cvt_f32_f16_e32 v18, v18
	v_cvt_f32_f16_e32 v19, v19
	s_nop 1
	v_mfma_f32_16x16x16_f16 v[16:19], v[10:11], v[20:21], v[16:19]
	ds_read_u16 v10, v111 offset:8576
	ds_read_u16 v11, v111 offset:8752
	ds_read_u16 v20, v112 offset:8576
	ds_read_u16 v21, v113 offset:8576
	s_waitcnt lgkmcnt(0)
	s_barrier
	s_nop 1
	v_cvt_f16_f32_e32 v16, v16
	v_cvt_f16_f32_e32 v17, v17
	;; [unrolled: 1-line block ×4, first 2 shown]
	v_perm_b32 v21, v21, v20, s62
	v_perm_b32 v20, v11, v10, s62
	v_cvt_f32_f16_e32 v16, v16
	v_cvt_f32_f16_e32 v17, v17
	;; [unrolled: 1-line block ×4, first 2 shown]
	s_nop 1
	v_mfma_f32_16x16x16_f16 v[10:13], v[20:21], v[12:13], v[16:19]
	s_nop 7
	v_cvt_f16_f32_e32 v12, v12
	v_cvt_f16_f32_e32 v13, v13
	v_perm_b32 v12, v13, v12, s62
	ds_bpermute_b32 v13, v15, v23
	s_waitcnt lgkmcnt(0)
	v_add_f32_e32 v13, v23, v13
	ds_bpermute_b32 v15, v22, v13
	s_waitcnt lgkmcnt(0)
	v_add_f32_e32 v15, v13, v15
	s_cbranch_scc1 .LBB9_75
; %bb.74:                               ;   in Loop: Header=BB9_13 Depth=1
	v_cvt_pk_f16_f32 v3, v2, v3
	v_lshlrev_b32_e32 v2, 2, v64
	v_cvt_pk_f16_f32 v4, v4, v5
	global_load_dword v5, v2, s[74:75]
	v_cvt_pk_f16_f32 v6, v6, v7
	v_cvt_pk_f16_f32 v7, v8, v9
	v_max_f32_e32 v9, v14, v14
	v_cvt_pk_f16_f32 v8, v10, v11
	s_waitcnt vmcnt(0)
	v_max_f32_e32 v2, v5, v5
	v_max_f32_e32 v2, v9, v2
	v_sub_f32_e32 v9, v14, v2
	v_mul_f32_e32 v10, 0x3fb8aa3b, v9
	v_fma_f32 v11, v9, s43, -v10
	v_rndne_f32_e32 v13, v10
	v_fmac_f32_e32 v11, 0x32a5705f, v9
	v_sub_f32_e32 v10, v10, v13
	v_add_f32_e32 v10, v10, v11
	v_exp_f32_e32 v10, v10
	v_cvt_i32_f32_e32 v11, v13
	v_cmp_ngt_f32_e32 vcc, s63, v9
	v_ldexp_f32 v10, v10, v11
	s_nop 0
	v_cndmask_b32_e32 v10, 0, v10, vcc
	v_cmp_nlt_f32_e32 vcc, s60, v9
	s_nop 1
	v_cndmask_b32_e32 v10, v158, v10, vcc
	v_cmp_le_f32_e32 vcc, s61, v9
	s_nop 1
	v_cndmask_b32_e32 v9, 0, v10, vcc
	v_sub_f32_e32 v10, v5, v2
	v_cvt_f16_f32_e32 v5, v9
	v_cmp_ngt_f32_e32 vcc, s63, v10
	v_mul_u32_u24_e32 v11, 0x10001, v5
	v_pk_mul_f16 v5, v3, v11
	v_mul_f32_e32 v3, 0x3fb8aa3b, v10
	v_pk_mul_f16 v24, v24, v11
	v_pk_mul_f16 v4, v4, v11
	;; [unrolled: 1-line block ×9, first 2 shown]
	v_fma_f32 v11, v10, s43, -v3
	v_rndne_f32_e32 v13, v3
	v_fmac_f32_e32 v11, 0x32a5705f, v10
	v_sub_f32_e32 v3, v3, v13
	v_add_f32_e32 v3, v3, v11
	v_exp_f32_e32 v3, v3
	v_cvt_i32_f32_e32 v11, v13
	v_ldexp_f32 v3, v3, v11
	v_cndmask_b32_e32 v3, 0, v3, vcc
	v_cmp_nlt_f32_e32 vcc, s60, v10
	s_nop 1
	v_cndmask_b32_e32 v3, v158, v3, vcc
	v_fmac_f32_e32 v3, v15, v9
	v_mov_b64_e32 v[14:15], v[2:3]
	s_branch .LBB9_76
.LBB9_75:                               ;   in Loop: Header=BB9_13 Depth=1
	v_cvt_f16_f32_e32 v2, v2
	v_cvt_f16_f32_e32 v3, v3
	;; [unrolled: 1-line block ×10, first 2 shown]
	v_perm_b32 v4, v5, v4, s62
	v_perm_b32 v5, v3, v2, s62
	;; [unrolled: 1-line block ×5, first 2 shown]
.LBB9_76:                               ;   in Loop: Header=BB9_13 Depth=1
	s_barrier
	s_mov_b64 s[6:7], exec
	v_readlane_b32 s8, v187, 18
	v_readlane_b32 s9, v187, 19
	s_and_b64 s[8:9], s[6:7], s[8:9]
	s_mov_b64 exec, s[8:9]
	s_cbranch_execz .LBB9_78
; %bb.77:                               ;   in Loop: Header=BB9_13 Depth=1
	global_store_dwordx2 v[48:49], v[14:15], off
.LBB9_78:                               ;   in Loop: Header=BB9_13 Depth=1
	s_or_b64 exec, exec, s[6:7]
	v_cmp_gt_i32_e64 s[6:7], s28, v104
	v_cmp_gt_i32_e64 s[8:9], s33, v94
	v_cmp_le_i32_e32 vcc, s33, v94
	s_and_b64 s[8:9], s[6:7], s[8:9]
	v_mov_b32_e32 v2, 50
	ds_write2_b32 v114, v5, v24 offset1:1
	ds_write2_b32 v114, v4, v25 offset0:8 offset1:9
	ds_write2_b32 v114, v6, v30 offset0:16 offset1:17
	;; [unrolled: 1-line block ×4, first 2 shown]
	s_waitcnt lgkmcnt(0)
	s_barrier
	s_and_saveexec_b64 s[6:7], s[8:9]
	s_cbranch_execz .LBB9_80
; %bb.79:                               ;   in Loop: Header=BB9_13 Depth=1
	v_add_u32_e32 v2, v128, v142
	ds_read_b32 v5, v2
	v_mad_u64_u32 v[2:3], s[8:9], v104, s29, v[66:67]
	v_mad_u64_u32 v[2:3], s[8:9], v2, 40, v[26:27]
	s_waitcnt lgkmcnt(0)
	v_cvt_f32_f16_e32 v4, v5
	v_cvt_f32_f16_sdwa v5, v5 dst_sel:DWORD dst_unused:UNUSED_PAD src0_sel:WORD_1
	v_ashrrev_i32_e32 v3, 31, v2
	v_lshl_add_u64 v[2:3], v[2:3], 3, s[72:73]
	v_pk_add_f32 v[4:5], v[4:5], 0 op_sel_hi:[1,0]
	global_store_dwordx2 v[2:3], v[4:5], off
	v_mov_b32_e32 v2, 0
.LBB9_80:                               ;   in Loop: Header=BB9_13 Depth=1
	s_or_b64 exec, exec, s[6:7]
	v_cmp_gt_i32_e64 s[6:7], 50, v2
	s_mov_b64 s[80:81], -1
	s_and_saveexec_b64 s[8:9], s[6:7]
; %bb.81:                               ;   in Loop: Header=BB9_13 Depth=1
	v_cmp_eq_u32_e64 s[6:7], 0, v2
	s_orn2_b64 s[80:81], s[6:7], exec
; %bb.82:                               ;   in Loop: Header=BB9_13 Depth=1
	s_or_b64 exec, exec, s[8:9]
	s_and_saveexec_b64 s[8:9], s[80:81]
	s_cbranch_execz .LBB9_115
; %bb.83:                               ;   in Loop: Header=BB9_13 Depth=1
	v_cmp_gt_i32_e64 s[6:7], s28, v103
	s_xor_b64 s[80:81], vcc, -1
	s_and_b64 s[82:83], s[6:7], s[80:81]
	v_mov_b32_e32 v2, 50
	s_and_saveexec_b64 s[6:7], s[82:83]
	s_cbranch_execz .LBB9_85
; %bb.84:                               ;   in Loop: Header=BB9_13 Depth=1
	v_add_u32_e32 v2, v128, v142
	ds_read_b32 v5, v2 offset:1408
	v_mad_u64_u32 v[2:3], s[82:83], v103, s29, v[66:67]
	v_mad_u64_u32 v[2:3], s[82:83], v2, 40, v[26:27]
	s_waitcnt lgkmcnt(0)
	v_cvt_f32_f16_e32 v4, v5
	v_cvt_f32_f16_sdwa v5, v5 dst_sel:DWORD dst_unused:UNUSED_PAD src0_sel:WORD_1
	v_ashrrev_i32_e32 v3, 31, v2
	v_lshl_add_u64 v[2:3], v[2:3], 3, s[72:73]
	v_pk_add_f32 v[4:5], v[4:5], 0 op_sel_hi:[1,0]
	global_store_dwordx2 v[2:3], v[4:5], off
	v_mov_b32_e32 v2, 0
.LBB9_85:                               ;   in Loop: Header=BB9_13 Depth=1
	s_or_b64 exec, exec, s[6:7]
	v_cmp_gt_i32_e32 vcc, 50, v2
	s_mov_b64 s[6:7], -1
	s_and_saveexec_b64 s[82:83], vcc
; %bb.86:                               ;   in Loop: Header=BB9_13 Depth=1
	v_cmp_eq_u32_e32 vcc, 0, v2
	s_orn2_b64 s[6:7], vcc, exec
; %bb.87:                               ;   in Loop: Header=BB9_13 Depth=1
	s_or_b64 exec, exec, s[82:83]
	s_and_b64 exec, exec, s[6:7]
	s_cbranch_execz .LBB9_115
; %bb.88:                               ;   in Loop: Header=BB9_13 Depth=1
	v_cmp_gt_i32_e32 vcc, s28, v102
	s_and_b64 s[82:83], vcc, s[80:81]
	v_mov_b32_e32 v2, 50
	s_and_saveexec_b64 s[6:7], s[82:83]
	s_cbranch_execz .LBB9_90
; %bb.89:                               ;   in Loop: Header=BB9_13 Depth=1
	ds_read_b32 v5, v129
	v_mad_u64_u32 v[2:3], s[82:83], v102, s29, v[66:67]
	v_mad_u64_u32 v[2:3], s[82:83], v2, 40, v[26:27]
	s_waitcnt lgkmcnt(0)
	v_cvt_f32_f16_e32 v4, v5
	v_cvt_f32_f16_sdwa v5, v5 dst_sel:DWORD dst_unused:UNUSED_PAD src0_sel:WORD_1
	v_ashrrev_i32_e32 v3, 31, v2
	v_lshl_add_u64 v[2:3], v[2:3], 3, s[72:73]
	v_pk_add_f32 v[4:5], v[4:5], 0 op_sel_hi:[1,0]
	global_store_dwordx2 v[2:3], v[4:5], off
	v_mov_b32_e32 v2, 0
.LBB9_90:                               ;   in Loop: Header=BB9_13 Depth=1
	s_or_b64 exec, exec, s[6:7]
	v_cmp_gt_i32_e32 vcc, 50, v2
	s_mov_b64 s[6:7], -1
	s_and_saveexec_b64 s[82:83], vcc
; %bb.91:                               ;   in Loop: Header=BB9_13 Depth=1
	v_cmp_eq_u32_e32 vcc, 0, v2
	s_orn2_b64 s[6:7], vcc, exec
; %bb.92:                               ;   in Loop: Header=BB9_13 Depth=1
	s_or_b64 exec, exec, s[82:83]
	s_and_b64 exec, exec, s[6:7]
	s_cbranch_execz .LBB9_115
; %bb.93:                               ;   in Loop: Header=BB9_13 Depth=1
	v_cmp_gt_i32_e32 vcc, s28, v101
	s_and_b64 s[82:83], vcc, s[80:81]
	v_mov_b32_e32 v2, 50
	s_and_saveexec_b64 s[6:7], s[82:83]
	s_cbranch_execz .LBB9_95
; %bb.94:                               ;   in Loop: Header=BB9_13 Depth=1
	v_add_u32_e32 v2, v128, v142
	ds_read_b32 v5, v2 offset:4224
	v_mad_u64_u32 v[2:3], s[82:83], v101, s29, v[66:67]
	v_mad_u64_u32 v[2:3], s[82:83], v2, 40, v[26:27]
	s_waitcnt lgkmcnt(0)
	v_cvt_f32_f16_e32 v4, v5
	v_cvt_f32_f16_sdwa v5, v5 dst_sel:DWORD dst_unused:UNUSED_PAD src0_sel:WORD_1
	v_ashrrev_i32_e32 v3, 31, v2
	v_lshl_add_u64 v[2:3], v[2:3], 3, s[72:73]
	v_pk_add_f32 v[4:5], v[4:5], 0 op_sel_hi:[1,0]
	global_store_dwordx2 v[2:3], v[4:5], off
	v_mov_b32_e32 v2, 0
.LBB9_95:                               ;   in Loop: Header=BB9_13 Depth=1
	s_or_b64 exec, exec, s[6:7]
	v_cmp_gt_i32_e32 vcc, 50, v2
	s_mov_b64 s[6:7], -1
	s_and_saveexec_b64 s[82:83], vcc
; %bb.96:                               ;   in Loop: Header=BB9_13 Depth=1
	v_cmp_eq_u32_e32 vcc, 0, v2
	s_orn2_b64 s[6:7], vcc, exec
; %bb.97:                               ;   in Loop: Header=BB9_13 Depth=1
	s_or_b64 exec, exec, s[82:83]
	s_and_b64 exec, exec, s[6:7]
	s_cbranch_execz .LBB9_115
; %bb.98:                               ;   in Loop: Header=BB9_13 Depth=1
	v_cmp_gt_i32_e32 vcc, s28, v100
	s_and_b64 s[82:83], vcc, s[80:81]
	v_mov_b32_e32 v2, 50
	s_and_saveexec_b64 s[6:7], s[82:83]
	s_cbranch_execz .LBB9_100
; %bb.99:                               ;   in Loop: Header=BB9_13 Depth=1
	ds_read_b32 v5, v130
	v_mad_u64_u32 v[2:3], s[82:83], v100, s29, v[66:67]
	v_mad_u64_u32 v[2:3], s[82:83], v2, 40, v[26:27]
	s_waitcnt lgkmcnt(0)
	v_cvt_f32_f16_e32 v4, v5
	v_cvt_f32_f16_sdwa v5, v5 dst_sel:DWORD dst_unused:UNUSED_PAD src0_sel:WORD_1
	v_ashrrev_i32_e32 v3, 31, v2
	v_lshl_add_u64 v[2:3], v[2:3], 3, s[72:73]
	v_pk_add_f32 v[4:5], v[4:5], 0 op_sel_hi:[1,0]
	global_store_dwordx2 v[2:3], v[4:5], off
	v_mov_b32_e32 v2, 0
.LBB9_100:                              ;   in Loop: Header=BB9_13 Depth=1
	s_or_b64 exec, exec, s[6:7]
	v_cmp_gt_i32_e32 vcc, 50, v2
	s_mov_b64 s[6:7], -1
	s_and_saveexec_b64 s[82:83], vcc
; %bb.101:                              ;   in Loop: Header=BB9_13 Depth=1
	v_cmp_eq_u32_e32 vcc, 0, v2
	s_orn2_b64 s[6:7], vcc, exec
; %bb.102:                              ;   in Loop: Header=BB9_13 Depth=1
	s_or_b64 exec, exec, s[82:83]
	s_and_b64 exec, exec, s[6:7]
	s_cbranch_execz .LBB9_115
; %bb.103:                              ;   in Loop: Header=BB9_13 Depth=1
	v_cmp_gt_i32_e32 vcc, s28, v99
	s_and_b64 s[82:83], vcc, s[80:81]
	v_mov_b32_e32 v2, 50
	s_and_saveexec_b64 s[6:7], s[82:83]
	s_cbranch_execz .LBB9_105
; %bb.104:                              ;   in Loop: Header=BB9_13 Depth=1
	v_add_u32_e32 v2, v128, v142
	ds_read_b32 v5, v2 offset:7040
	v_mad_u64_u32 v[2:3], s[82:83], v99, s29, v[66:67]
	v_mad_u64_u32 v[2:3], s[82:83], v2, 40, v[26:27]
	s_waitcnt lgkmcnt(0)
	v_cvt_f32_f16_e32 v4, v5
	v_cvt_f32_f16_sdwa v5, v5 dst_sel:DWORD dst_unused:UNUSED_PAD src0_sel:WORD_1
	v_ashrrev_i32_e32 v3, 31, v2
	v_lshl_add_u64 v[2:3], v[2:3], 3, s[72:73]
	v_pk_add_f32 v[4:5], v[4:5], 0 op_sel_hi:[1,0]
	global_store_dwordx2 v[2:3], v[4:5], off
	v_mov_b32_e32 v2, 0
.LBB9_105:                              ;   in Loop: Header=BB9_13 Depth=1
	s_or_b64 exec, exec, s[6:7]
	v_cmp_gt_i32_e32 vcc, 50, v2
	s_mov_b64 s[6:7], -1
	s_and_saveexec_b64 s[82:83], vcc
; %bb.106:                              ;   in Loop: Header=BB9_13 Depth=1
	v_cmp_eq_u32_e32 vcc, 0, v2
	s_orn2_b64 s[6:7], vcc, exec
; %bb.107:                              ;   in Loop: Header=BB9_13 Depth=1
	s_or_b64 exec, exec, s[82:83]
	s_and_b64 exec, exec, s[6:7]
	s_cbranch_execz .LBB9_115
; %bb.108:                              ;   in Loop: Header=BB9_13 Depth=1
	v_cmp_gt_i32_e32 vcc, s28, v98
	s_and_b64 s[82:83], vcc, s[80:81]
	v_mov_b32_e32 v2, 50
	s_and_saveexec_b64 s[6:7], s[82:83]
	s_cbranch_execz .LBB9_110
; %bb.109:                              ;   in Loop: Header=BB9_13 Depth=1
	ds_read_b32 v5, v131
	v_mad_u64_u32 v[2:3], s[82:83], v98, s29, v[66:67]
	v_mad_u64_u32 v[2:3], s[82:83], v2, 40, v[26:27]
	s_waitcnt lgkmcnt(0)
	v_cvt_f32_f16_e32 v4, v5
	v_cvt_f32_f16_sdwa v5, v5 dst_sel:DWORD dst_unused:UNUSED_PAD src0_sel:WORD_1
	v_ashrrev_i32_e32 v3, 31, v2
	v_lshl_add_u64 v[2:3], v[2:3], 3, s[72:73]
	v_pk_add_f32 v[4:5], v[4:5], 0 op_sel_hi:[1,0]
	global_store_dwordx2 v[2:3], v[4:5], off
	v_mov_b32_e32 v2, 0
.LBB9_110:                              ;   in Loop: Header=BB9_13 Depth=1
	s_or_b64 exec, exec, s[6:7]
	v_cmp_gt_i32_e32 vcc, 50, v2
	s_mov_b64 s[6:7], -1
	s_and_saveexec_b64 s[82:83], vcc
; %bb.111:                              ;   in Loop: Header=BB9_13 Depth=1
	v_cmp_eq_u32_e32 vcc, 0, v2
	s_orn2_b64 s[6:7], vcc, exec
; %bb.112:                              ;   in Loop: Header=BB9_13 Depth=1
	s_or_b64 exec, exec, s[82:83]
	s_and_b64 exec, exec, s[6:7]
	s_cbranch_execz .LBB9_115
; %bb.113:                              ;   in Loop: Header=BB9_13 Depth=1
	v_cmp_gt_i32_e32 vcc, s28, v96
	s_and_b64 s[6:7], vcc, s[80:81]
	s_and_b64 exec, exec, s[6:7]
	s_cbranch_execz .LBB9_115
; %bb.114:                              ;   in Loop: Header=BB9_13 Depth=1
	v_add_u32_e32 v2, v128, v142
	ds_read_b32 v5, v2 offset:9856
	v_mad_u64_u32 v[2:3], s[6:7], v96, s29, v[66:67]
	v_mad_u64_u32 v[2:3], s[6:7], v2, 40, v[26:27]
	s_waitcnt lgkmcnt(0)
	v_cvt_f32_f16_e32 v4, v5
	v_cvt_f32_f16_sdwa v5, v5 dst_sel:DWORD dst_unused:UNUSED_PAD src0_sel:WORD_1
	v_ashrrev_i32_e32 v3, 31, v2
	v_lshl_add_u64 v[2:3], v[2:3], 3, s[72:73]
	v_pk_add_f32 v[4:5], v[4:5], 0 op_sel_hi:[1,0]
	global_store_dwordx2 v[2:3], v[4:5], off
.LBB9_115:                              ;   in Loop: Header=BB9_13 Depth=1
	s_or_b64 exec, exec, s[8:9]
	v_cmp_gt_i32_e64 s[6:7], s33, v97
	v_cmp_gt_i32_e64 s[8:9], s28, v95
	v_cmp_le_i32_e32 vcc, s33, v97
	s_and_b64 s[8:9], s[8:9], s[6:7]
	v_mov_b32_e32 v2, 50
	s_and_saveexec_b64 s[6:7], s[8:9]
	s_cbranch_execz .LBB9_117
; %bb.116:                              ;   in Loop: Header=BB9_13 Depth=1
	v_add_u32_e32 v2, v29, v63
	ds_read_b32 v4, v2 offset:128
	v_mad_u64_u32 v[2:3], s[8:9], v95, s29, v[58:59]
	v_mul_lo_u32 v6, v2, 40
	v_ashrrev_i32_e32 v5, 31, v6
	s_waitcnt lgkmcnt(0)
	v_cvt_f32_f16_e32 v2, v4
	v_cvt_f32_f16_sdwa v3, v4 dst_sel:DWORD dst_unused:UNUSED_PAD src0_sel:WORD_1
	v_or_b32_e32 v4, v6, v28
	v_lshl_add_u64 v[4:5], v[4:5], 3, s[72:73]
	v_pk_add_f32 v[2:3], v[2:3], 0 op_sel_hi:[1,0]
	global_store_dwordx2 v[4:5], v[2:3], off offset:256
	v_mov_b32_e32 v2, 0
.LBB9_117:                              ;   in Loop: Header=BB9_13 Depth=1
	s_or_b64 exec, exec, s[6:7]
	v_cmp_gt_i32_e64 s[6:7], 50, v2
	s_mov_b64 s[84:85], -1
	s_and_saveexec_b64 s[8:9], s[6:7]
; %bb.118:                              ;   in Loop: Header=BB9_13 Depth=1
	v_cmp_eq_u32_e64 s[6:7], 0, v2
	s_orn2_b64 s[84:85], s[6:7], exec
; %bb.119:                              ;   in Loop: Header=BB9_13 Depth=1
	s_or_b64 exec, exec, s[8:9]
	s_mov_b64 s[80:81], 0
	s_mov_b64 s[8:9], 0
                                        ; implicit-def: $vgpr2_vgpr3
	s_and_saveexec_b64 s[82:83], s[84:85]
	s_cbranch_execz .LBB9_123
; %bb.120:                              ;   in Loop: Header=BB9_13 Depth=1
	v_cmp_gt_i32_e64 s[6:7], s28, v69
	s_xor_b64 s[8:9], vcc, -1
	s_and_b64 s[8:9], s[6:7], s[8:9]
	s_mov_b64 s[6:7], 0
                                        ; implicit-def: $vgpr2_vgpr3
	s_and_saveexec_b64 s[84:85], s[8:9]
	s_xor_b64 s[8:9], exec, s[84:85]
	s_cbranch_execz .LBB9_122
; %bb.121:                              ;   in Loop: Header=BB9_13 Depth=1
	v_add_u32_e32 v2, v29, v63
	ds_read_b32 v3, v2 offset:5760
	s_mov_b64 s[6:7], exec
	s_waitcnt lgkmcnt(0)
	v_cvt_f32_f16_e32 v2, v3
	v_cvt_f32_f16_sdwa v3, v3 dst_sel:DWORD dst_unused:UNUSED_PAD src0_sel:WORD_1
	v_pk_add_f32 v[2:3], v[2:3], 0 op_sel_hi:[1,0]
.LBB9_122:                              ;   in Loop: Header=BB9_13 Depth=1
	s_or_b64 exec, exec, s[8:9]
	s_and_b64 s[8:9], s[6:7], exec
.LBB9_123:                              ;   in Loop: Header=BB9_13 Depth=1
	s_or_b64 exec, exec, s[82:83]
	s_and_b64 vcc, exec, s[80:81]
	s_cbranch_vccz .LBB9_67
.LBB9_124:                              ;   in Loop: Header=BB9_13 Depth=1
	s_lshl_b32 s82, s90, 4
	v_add_u32_e32 v166, s82, v141
	v_cmp_gt_i32_e64 s[6:7], s28, v166
	v_cmp_gt_i32_e32 vcc, s33, v94
	s_and_b64 s[96:97], s[6:7], vcc
	s_xor_b64 s[6:7], s[96:97], -1
	s_and_saveexec_b64 s[80:81], s[6:7]
	s_xor_b64 s[6:7], exec, s[80:81]
; %bb.125:                              ;   in Loop: Header=BB9_13 Depth=1
	v_add_u32_e32 v2, v128, v142
	ds_write_b32 v2, v31
; %bb.126:                              ;   in Loop: Header=BB9_13 Depth=1
	s_andn2_saveexec_b64 s[6:7], s[6:7]
	s_cbranch_execz .LBB9_128
; %bb.127:                              ;   in Loop: Header=BB9_13 Depth=1
	v_mad_u64_u32 v[2:3], s[80:81], v166, s53, v[68:69]
	v_ashrrev_i32_e32 v3, 31, v2
	v_lshl_add_u64 v[2:3], v[2:3], 3, s[78:79]
	global_load_dwordx2 v[2:3], v[2:3], off
	s_waitcnt vmcnt(0)
	v_cvt_pk_f16_f32 v2, v2, v3
	v_pk_mul_f16 v2, v2, v133
	v_add_u32_e32 v3, v128, v142
	ds_write_b32 v3, v2
.LBB9_128:                              ;   in Loop: Header=BB9_13 Depth=1
	s_or_b64 exec, exec, s[6:7]
	v_add_u32_e32 v165, s82, v143
	v_cmp_gt_i32_e64 s[6:7], s28, v165
	s_and_b64 s[94:95], s[6:7], vcc
	s_xor_b64 s[6:7], s[94:95], -1
	s_and_saveexec_b64 s[80:81], s[6:7]
	s_xor_b64 s[6:7], exec, s[80:81]
; %bb.129:                              ;   in Loop: Header=BB9_13 Depth=1
	v_add_u32_e32 v2, v128, v142
	ds_write_b32 v2, v31 offset:1408
; %bb.130:                              ;   in Loop: Header=BB9_13 Depth=1
	s_andn2_saveexec_b64 s[6:7], s[6:7]
	s_cbranch_execz .LBB9_132
; %bb.131:                              ;   in Loop: Header=BB9_13 Depth=1
	v_mad_u64_u32 v[2:3], s[80:81], v165, s53, v[68:69]
	v_ashrrev_i32_e32 v3, 31, v2
	v_lshl_add_u64 v[2:3], v[2:3], 3, s[78:79]
	global_load_dwordx2 v[2:3], v[2:3], off
	s_waitcnt vmcnt(0)
	v_cvt_pk_f16_f32 v2, v2, v3
	v_pk_mul_f16 v2, v2, v133
	v_add_u32_e32 v3, v128, v142
	ds_write_b32 v3, v2 offset:1408
.LBB9_132:                              ;   in Loop: Header=BB9_13 Depth=1
	s_or_b64 exec, exec, s[6:7]
	v_add_u32_e32 v164, s82, v115
	v_cmp_gt_i32_e64 s[6:7], s28, v164
	s_and_b64 s[92:93], s[6:7], vcc
	s_xor_b64 s[6:7], s[92:93], -1
	s_and_saveexec_b64 s[80:81], s[6:7]
	s_xor_b64 s[6:7], exec, s[80:81]
; %bb.133:                              ;   in Loop: Header=BB9_13 Depth=1
	v_add_u32_e32 v2, v128, v142
	ds_write_b32 v2, v31 offset:2816
; %bb.134:                              ;   in Loop: Header=BB9_13 Depth=1
	s_andn2_saveexec_b64 s[6:7], s[6:7]
	s_cbranch_execz .LBB9_136
; %bb.135:                              ;   in Loop: Header=BB9_13 Depth=1
	v_mad_u64_u32 v[2:3], s[80:81], v164, s53, v[68:69]
	v_ashrrev_i32_e32 v3, 31, v2
	v_lshl_add_u64 v[2:3], v[2:3], 3, s[78:79]
	global_load_dwordx2 v[2:3], v[2:3], off
	s_waitcnt vmcnt(0)
	v_cvt_pk_f16_f32 v2, v2, v3
	v_pk_mul_f16 v2, v2, v133
	v_add_u32_e32 v3, v128, v142
	ds_write_b32 v3, v2 offset:2816
.LBB9_136:                              ;   in Loop: Header=BB9_13 Depth=1
	;; [unrolled: 24-line block ×3, first 2 shown]
	s_or_b64 exec, exec, s[6:7]
	v_add_u32_e32 v162, s82, v117
	v_cmp_gt_i32_e64 s[6:7], s28, v162
	s_and_b64 s[6:7], s[6:7], vcc
	s_nop 0
	v_writelane_b32 v187, s6, 32
	s_nop 1
	v_writelane_b32 v187, s7, 33
	s_xor_b64 s[6:7], s[6:7], -1
	s_and_saveexec_b64 s[80:81], s[6:7]
	s_xor_b64 s[6:7], exec, s[80:81]
; %bb.141:                              ;   in Loop: Header=BB9_13 Depth=1
	v_add_u32_e32 v2, v128, v142
	ds_write_b32 v2, v31 offset:5632
; %bb.142:                              ;   in Loop: Header=BB9_13 Depth=1
	s_andn2_saveexec_b64 s[6:7], s[6:7]
	s_cbranch_execz .LBB9_144
; %bb.143:                              ;   in Loop: Header=BB9_13 Depth=1
	v_mad_u64_u32 v[2:3], s[80:81], v162, s53, v[68:69]
	v_ashrrev_i32_e32 v3, 31, v2
	v_lshl_add_u64 v[2:3], v[2:3], 3, s[78:79]
	global_load_dwordx2 v[2:3], v[2:3], off
	s_waitcnt vmcnt(0)
	v_cvt_pk_f16_f32 v2, v2, v3
	v_pk_mul_f16 v2, v2, v133
	v_add_u32_e32 v3, v128, v142
	ds_write_b32 v3, v2 offset:5632
.LBB9_144:                              ;   in Loop: Header=BB9_13 Depth=1
	s_or_b64 exec, exec, s[6:7]
	v_add_u32_e32 v161, s82, v118
	v_cmp_gt_i32_e64 s[6:7], s28, v161
	s_and_b64 s[6:7], s[6:7], vcc
	s_nop 0
	v_writelane_b32 v187, s6, 34
	s_nop 1
	v_writelane_b32 v187, s7, 35
	s_xor_b64 s[6:7], s[6:7], -1
	s_and_saveexec_b64 s[80:81], s[6:7]
	s_xor_b64 s[6:7], exec, s[80:81]
; %bb.145:                              ;   in Loop: Header=BB9_13 Depth=1
	v_add_u32_e32 v2, v128, v142
	ds_write_b32 v2, v31 offset:7040
; %bb.146:                              ;   in Loop: Header=BB9_13 Depth=1
	s_andn2_saveexec_b64 s[6:7], s[6:7]
	s_cbranch_execz .LBB9_148
; %bb.147:                              ;   in Loop: Header=BB9_13 Depth=1
	v_mad_u64_u32 v[2:3], s[80:81], v161, s53, v[68:69]
	v_ashrrev_i32_e32 v3, 31, v2
	v_lshl_add_u64 v[2:3], v[2:3], 3, s[78:79]
	global_load_dwordx2 v[2:3], v[2:3], off
	s_waitcnt vmcnt(0)
	v_cvt_pk_f16_f32 v2, v2, v3
	v_pk_mul_f16 v2, v2, v133
	v_add_u32_e32 v3, v128, v142
	ds_write_b32 v3, v2 offset:7040
.LBB9_148:                              ;   in Loop: Header=BB9_13 Depth=1
	;; [unrolled: 28-line block ×4, first 2 shown]
	s_or_b64 exec, exec, s[6:7]
	v_or_b32_e32 v2, s98, v58
	v_add_u32_e32 v81, s82, v121
	v_cmp_gt_i32_e32 vcc, s33, v2
	v_cmp_gt_i32_e64 s[6:7], s28, v81
	s_and_b64 s[80:81], s[6:7], vcc
	s_xor_b64 s[6:7], s[80:81], -1
	s_and_saveexec_b64 s[84:85], s[6:7]
	s_xor_b64 s[6:7], exec, s[84:85]
; %bb.157:                              ;   in Loop: Header=BB9_13 Depth=1
	ds_write_b32 v122, v31 offset:128
; %bb.158:                              ;   in Loop: Header=BB9_13 Depth=1
	s_andn2_saveexec_b64 s[6:7], s[6:7]
	s_cbranch_execz .LBB9_160
; %bb.159:                              ;   in Loop: Header=BB9_13 Depth=1
	v_mad_u64_u32 v[2:3], s[84:85], v81, s53, v[60:61]
	v_ashrrev_i32_e32 v3, 31, v2
	v_lshl_add_u64 v[2:3], v[2:3], 3, s[78:79]
	global_load_dwordx2 v[2:3], v[2:3], off
	s_waitcnt vmcnt(0)
	v_cvt_pk_f16_f32 v2, v2, v3
	v_pk_mul_f16 v2, v2, v133
	v_add_u32_e32 v3, v29, v63
	ds_write_b32 v3, v2 offset:128
.LBB9_160:                              ;   in Loop: Header=BB9_13 Depth=1
	s_or_b64 exec, exec, s[6:7]
	v_add_u32_e32 v69, s82, v123
	v_cmp_gt_i32_e64 s[6:7], s28, v69
	s_and_b64 s[6:7], s[6:7], vcc
	s_xor_b64 s[84:85], s[6:7], -1
	s_and_saveexec_b64 s[98:99], s[84:85]
	s_xor_b64 s[98:99], exec, s[98:99]
; %bb.161:                              ;   in Loop: Header=BB9_13 Depth=1
	ds_write_b32 v124, v31 offset:128
; %bb.162:                              ;   in Loop: Header=BB9_13 Depth=1
	s_andn2_saveexec_b64 s[98:99], s[98:99]
	s_cbranch_execz .LBB9_164
; %bb.163:                              ;   in Loop: Header=BB9_13 Depth=1
	v_mad_u64_u32 v[2:3], s[84:85], v69, s53, v[60:61]
	v_ashrrev_i32_e32 v3, 31, v2
	v_lshl_add_u64 v[2:3], v[2:3], 3, s[78:79]
	global_load_dwordx2 v[2:3], v[2:3], off
	s_waitcnt vmcnt(0)
	v_cvt_pk_f16_f32 v2, v2, v3
	v_pk_mul_f16 v2, v2, v133
	v_add_u32_e32 v3, v29, v63
	ds_write_b32 v3, v2 offset:5760
.LBB9_164:                              ;   in Loop: Header=BB9_13 Depth=1
	s_or_b64 exec, exec, s[98:99]
	s_waitcnt lgkmcnt(0)
	s_barrier
	ds_read2_b64 v[6:9], v134 offset1:4
	ds_read2_b64 v[2:5], v134 offset0:8 offset1:12
	ds_read_b64 v[78:79], v134 offset:128
	s_cmp_gt_i32 s10, 1
	s_mov_b64 s[78:79], -1
	s_waitcnt lgkmcnt(0)
	s_barrier
                                        ; implicit-def: $vgpr10_vgpr11
                                        ; implicit-def: $vgpr12_vgpr13
	s_cbranch_scc1 .LBB9_166
; %bb.165:                              ;   in Loop: Header=BB9_13 Depth=1
	v_add_u32_e32 v10, s82, v27
	v_add_u32_e32 v12, s82, v136
	v_mul_hi_u32 v11, s40, v10
	v_mul_hi_u32 v13, s40, v12
	v_add_u32_e32 v11, v10, v11
	v_add_u32_e32 v13, v12, v13
	v_lshrrev_b32_e32 v11, s41, v11
	v_lshrrev_b32_e32 v13, s41, v13
	v_mul_lo_u32 v11, v11, s28
	v_mul_lo_u32 v13, v13, s28
	v_sub_u32_e32 v10, v10, v11
	v_sub_u32_e32 v12, v12, v13
	v_mad_i64_i32 v[10:11], s[78:79], v10, s42, 0
	v_mad_i64_i32 v[12:13], s[78:79], v12, s42, 0
	s_mov_b64 s[78:79], 0
.LBB9_166:                              ;   in Loop: Header=BB9_13 Depth=1
	s_andn2_b64 vcc, exec, s[78:79]
	s_cbranch_vccnz .LBB9_174
; %bb.167:                              ;   in Loop: Header=BB9_13 Depth=1
	v_add_u32_e32 v10, s82, v27
	v_mul_hi_u32 v11, s40, v10
	v_add_u32_e32 v11, v10, v11
	v_lshrrev_b32_e32 v11, s41, v11
	v_mul_lo_u32 v11, v11, s28
	v_sub_u32_e32 v30, v10, v11
	v_add_u32_e32 v10, s82, v136
	v_mul_hi_u32 v11, s40, v10
	v_add_u32_e32 v11, v10, v11
	v_lshrrev_b32_e32 v11, s41, v11
	v_mul_lo_u32 v11, v11, s28
	v_sub_u32_e32 v80, v10, v11
	v_and_b32_e32 v10, 64, v157
	v_add_u32_e32 v10, 64, v10
	v_xor_b32_e32 v11, 32, v157
	v_cmp_lt_i32_e32 vcc, v11, v10
	s_add_i32 s10, s10, -1
	s_add_u32 s78, s18, s86
	v_cndmask_b32_e32 v11, v157, v11, vcc
	v_lshlrev_b32_e32 v169, 2, v11
	v_xor_b32_e32 v11, 16, v157
	v_cmp_lt_i32_e32 vcc, v11, v10
	s_addc_u32 s79, s19, s48
	v_mov_b32_e32 v98, 0
	v_cndmask_b32_e32 v10, v157, v11, vcc
	v_lshlrev_b32_e32 v170, 2, v10
	v_mov_b64_e32 v[10:11], s[78:79]
	v_readlane_b32 s78, v187, 29
	v_readlane_b32 s79, v187, 30
	s_mov_b32 s48, s78
	v_mad_i64_i32 v[82:83], s[78:79], s48, v30, v[10:11]
	v_mad_i64_i32 v[84:85], s[78:79], s48, v80, v[10:11]
	s_add_u32 s78, s87, s88
	s_addc_u32 s79, s58, s89
	s_add_u32 s50, s55, s50
	s_addc_u32 s51, s11, s51
	v_lshl_add_u64 v[86:87], v[52:53], 0, s[78:79]
	v_lshl_add_u64 v[88:89], v[70:71], 0, s[78:79]
	;; [unrolled: 1-line block ×6, first 2 shown]
	v_mov_b32_e32 v21, 0xfeffffff
	v_mov_b32_e32 v15, 0
	s_mov_b32 s11, s10
	v_mov_b32_e32 v99, 0
	v_mov_b32_e32 v102, 0
	;; [unrolled: 1-line block ×9, first 2 shown]
	v_readlane_b32 s55, v187, 31
.LBB9_168:                              ;   Parent Loop BB9_13 Depth=1
                                        ; =>  This Inner Loop Header: Depth=2
	v_lshl_add_u64 v[10:11], v[82:83], 0, v[50:51]
	global_load_dword v12, v[10:11], off
	v_lshl_add_u64 v[10:11], v[84:85], 0, v[50:51]
	global_load_dword v10, v[10:11], off
	v_add_u32_e32 v11, v137, v135
	s_waitcnt vmcnt(1)
	ds_write_b32 v11, v12 offset:11264
	s_waitcnt vmcnt(0)
	ds_write_b32 v11, v10 offset:12416
	s_and_saveexec_b64 s[78:79], s[0:1]
	s_cbranch_execz .LBB9_170
; %bb.169:                              ;   in Loop: Header=BB9_168 Depth=2
	global_load_dwordx4 v[10:13], v[96:97], off
	s_waitcnt vmcnt(0)
	ds_write_b128 v108, v[10:13]
.LBB9_170:                              ;   in Loop: Header=BB9_168 Depth=2
	s_or_b64 exec, exec, s[78:79]
	v_lshl_add_u64 v[10:11], v[92:93], 0, v[54:55]
	global_load_dwordx4 v[10:13], v[10:11], off
	v_lshl_add_u64 v[22:23], v[94:95], 0, v[54:55]
	v_add_u32_e32 v14, 0x800, v33
	s_waitcnt vmcnt(0)
	ds_write_b128 v67, v[10:13]
	global_load_dwordx4 v[10:13], v[22:23], off
	s_waitcnt vmcnt(0)
	ds_write_b128 v107, v[10:13]
	s_waitcnt lgkmcnt(0)
	s_barrier
	ds_read2_b64 v[10:13], v33 offset1:4
	s_waitcnt lgkmcnt(0)
	v_mfma_f32_16x16x16_f16 v[22:25], v[10:11], v[6:7], 0
	v_mfma_f32_16x16x16_f16 v[10:13], v[12:13], v[8:9], v[22:25]
	s_nop 6
	ds_read2_b64 v[22:25], v33 offset0:8 offset1:12
	s_waitcnt lgkmcnt(0)
	v_mfma_f32_16x16x16_f16 v[10:13], v[22:23], v[2:3], v[10:13]
	ds_read_b64 v[22:23], v33 offset:128
	v_mfma_f32_16x16x16_f16 v[10:13], v[24:25], v[4:5], v[10:13]
	s_waitcnt lgkmcnt(0)
	v_mfma_f32_16x16x16_f16 v[172:175], v[22:23], v[78:79], v[10:13]
	s_nop 5
	ds_read2_b64 v[10:13], v14 offset0:96 offset1:100
	s_waitcnt lgkmcnt(0)
	v_mfma_f32_16x16x16_f16 v[22:25], v[10:11], v[6:7], 0
	v_mfma_f32_16x16x16_f16 v[10:13], v[12:13], v[8:9], v[22:25]
	s_nop 6
	ds_read2_b64 v[22:25], v14 offset0:104 offset1:108
	s_waitcnt lgkmcnt(0)
	v_mfma_f32_16x16x16_f16 v[10:13], v[22:23], v[2:3], v[10:13]
	ds_read_b64 v[22:23], v33 offset:2944
	v_add_u32_e32 v14, 0x1000, v33
	v_mfma_f32_16x16x16_f16 v[10:13], v[24:25], v[4:5], v[10:13]
	s_waitcnt lgkmcnt(0)
	v_mfma_f32_16x16x16_f16 v[176:179], v[22:23], v[78:79], v[10:13]
	s_nop 5
	ds_read2_b64 v[10:13], v14 offset0:192 offset1:196
	s_waitcnt lgkmcnt(0)
	v_mfma_f32_16x16x16_f16 v[22:25], v[10:11], v[6:7], 0
	v_mfma_f32_16x16x16_f16 v[10:13], v[12:13], v[8:9], v[22:25]
	s_nop 6
	ds_read2_b64 v[22:25], v14 offset0:200 offset1:204
	s_waitcnt lgkmcnt(0)
	v_mfma_f32_16x16x16_f16 v[10:13], v[22:23], v[2:3], v[10:13]
	ds_read_b64 v[22:23], v33 offset:5760
	v_add_u32_e32 v14, 0x2000, v33
	v_mfma_f32_16x16x16_f16 v[10:13], v[24:25], v[4:5], v[10:13]
	s_waitcnt lgkmcnt(0)
	v_mfma_f32_16x16x16_f16 v[180:183], v[22:23], v[78:79], v[10:13]
	s_nop 5
	ds_read2_b64 v[10:13], v14 offset0:32 offset1:36
	s_waitcnt lgkmcnt(0)
	v_mfma_f32_16x16x16_f16 v[22:25], v[10:11], v[6:7], 0
	v_mfma_f32_16x16x16_f16 v[10:13], v[12:13], v[8:9], v[22:25]
	s_nop 6
	ds_read2_b64 v[22:25], v14 offset0:40 offset1:44
	s_waitcnt lgkmcnt(0)
	v_mfma_f32_16x16x16_f16 v[10:13], v[22:23], v[2:3], v[10:13]
	ds_read_b64 v[22:23], v33 offset:8576
	s_waitcnt lgkmcnt(0)
	s_barrier
	ds_read_b32 v14, v109 offset:11264
	v_mfma_f32_16x16x16_f16 v[10:13], v[24:25], v[4:5], v[10:13]
	v_mfma_f32_16x16x16_f16 v[10:13], v[22:23], v[78:79], v[10:13]
	s_waitcnt lgkmcnt(0)
	v_cvt_f32_f16_e32 v22, v14
	v_cvt_f32_f16_sdwa v23, v14 dst_sel:DWORD dst_unused:UNUSED_PAD src0_sel:WORD_1
	v_add_f32_e32 v14, v172, v22
	ds_read_b32 v22, v110 offset:11264
	v_add_f32_e32 v24, v173, v23
	s_waitcnt lgkmcnt(0)
	v_cvt_f32_f16_e32 v23, v22
	v_cvt_f32_f16_sdwa v22, v22 dst_sel:DWORD dst_unused:UNUSED_PAD src0_sel:WORD_1
	v_add_f32_e32 v25, v174, v23
	v_add_f32_e32 v103, v175, v22
	v_add_u32_e32 v22, 0x2c00, v138
	ds_read2_b32 v[22:23], v22 offset1:1
	s_waitcnt lgkmcnt(0)
	v_cvt_f32_f16_e32 v104, v22
	v_cvt_f32_f16_sdwa v22, v22 dst_sel:DWORD dst_unused:UNUSED_PAD src0_sel:WORD_1
	v_add_f32_e32 v104, v176, v104
	v_add_f32_e32 v105, v177, v22
	v_cvt_f32_f16_e32 v22, v23
	v_cvt_f32_f16_sdwa v23, v23 dst_sel:DWORD dst_unused:UNUSED_PAD src0_sel:WORD_1
	v_add_f32_e32 v173, v178, v22
	v_add_u32_e32 v22, 0x2c00, v139
	v_add_f32_e32 v172, v179, v23
	ds_read2_b32 v[22:23], v22 offset1:1
	s_waitcnt lgkmcnt(0)
	v_cvt_f32_f16_e32 v167, v22
	v_cvt_f32_f16_sdwa v22, v22 dst_sel:DWORD dst_unused:UNUSED_PAD src0_sel:WORD_1
	v_add_f32_e32 v171, v180, v167
	v_add_f32_e32 v168, v181, v22
	v_cvt_f32_f16_e32 v22, v23
	v_cvt_f32_f16_sdwa v167, v23 dst_sel:DWORD dst_unused:UNUSED_PAD src0_sel:WORD_1
	v_add_f32_e32 v23, v182, v22
	v_add_f32_e32 v22, v183, v167
	v_add_u32_e32 v167, 0x2c00, v140
	ds_read2_b32 v[174:175], v167 offset1:1
	s_waitcnt lgkmcnt(0)
	v_cvt_f32_f16_e32 v167, v174
	v_cvt_f32_f16_sdwa v174, v174 dst_sel:DWORD dst_unused:UNUSED_PAD src0_sel:WORD_1
	v_add_f32_e32 v178, v10, v167
	v_add_f32_e32 v10, v11, v174
	v_cvt_f32_f16_e32 v11, v175
	v_cvt_f32_f16_sdwa v167, v175 dst_sel:DWORD dst_unused:UNUSED_PAD src0_sel:WORD_1
	v_add_f32_e32 v174, 0x40051340, v103
	v_add_f32_e32 v12, v12, v11
	;; [unrolled: 1-line block ×5, first 2 shown]
	v_max3_f32 v13, v21, v13, v167
	v_add_f32_e32 v167, 0x40051340, v25
	v_max3_f32 v13, v13, v167, v174
	v_add_f32_e32 v167, 0x40051340, v104
	v_add_f32_e32 v174, 0x40051340, v105
	v_max3_f32 v13, v13, v167, v174
	v_add_f32_e32 v167, 0x40051340, v173
	;; [unrolled: 3-line block ×6, first 2 shown]
	v_add_f32_e32 v174, 0x40051340, v11
	v_max3_f32 v13, v13, v167, v174
	ds_bpermute_b32 v167, v169, v13
	s_waitcnt lgkmcnt(0)
	v_max_f32_e32 v167, v167, v167
	v_max_f32_e32 v13, v13, v167
	ds_bpermute_b32 v167, v170, v13
	s_and_saveexec_b64 s[78:79], s[0:1]
	s_cbranch_execz .LBB9_172
; %bb.171:                              ;   in Loop: Header=BB9_168 Depth=2
	global_load_dwordx4 v[174:177], v[86:87], off
	s_waitcnt vmcnt(0)
	ds_write_b128 v108, v[174:177]
.LBB9_172:                              ;   in Loop: Header=BB9_168 Depth=2
	s_or_b64 exec, exec, s[78:79]
	s_waitcnt lgkmcnt(0)
	v_max_f32_e32 v167, v167, v167
	v_max_f32_e32 v13, v13, v13
	;; [unrolled: 1-line block ×3, first 2 shown]
	v_sub_f32_e32 v13, v14, v167
	v_mul_f32_e32 v14, 0x3fb8aa3b, v13
	v_fma_f32 v174, v13, s43, -v14
	v_rndne_f32_e32 v175, v14
	v_fmac_f32_e32 v174, 0x32a5705f, v13
	v_sub_f32_e32 v14, v14, v175
	v_add_f32_e32 v14, v14, v174
	v_exp_f32_e32 v14, v14
	v_cvt_i32_f32_e32 v174, v175
	v_cmp_ngt_f32_e32 vcc, s63, v13
	v_sub_f32_e32 v25, v25, v167
	v_sub_f32_e32 v103, v103, v167
	v_ldexp_f32 v14, v14, v174
	v_cndmask_b32_e32 v14, 0, v14, vcc
	v_cmp_nlt_f32_e32 vcc, s60, v13
	v_sub_f32_e32 v13, v24, v167
	v_mul_f32_e32 v24, 0x3fb8aa3b, v13
	v_fma_f32 v174, v13, s43, -v24
	v_rndne_f32_e32 v175, v24
	v_fmac_f32_e32 v174, 0x32a5705f, v13
	v_sub_f32_e32 v24, v24, v175
	v_add_f32_e32 v24, v24, v174
	v_exp_f32_e32 v24, v24
	v_cvt_i32_f32_e32 v174, v175
	v_cndmask_b32_e32 v14, v158, v14, vcc
	v_cmp_ngt_f32_e32 vcc, s63, v13
	v_sub_f32_e32 v104, v104, v167
	v_ldexp_f32 v24, v24, v174
	v_mul_f32_e32 v174, 0x3fb8aa3b, v25
	v_fma_f32 v175, v25, s43, -v174
	v_rndne_f32_e32 v176, v174
	v_fmac_f32_e32 v175, 0x32a5705f, v25
	v_sub_f32_e32 v174, v174, v176
	v_add_f32_e32 v174, v174, v175
	v_exp_f32_e32 v174, v174
	v_cvt_i32_f32_e32 v175, v176
	v_cndmask_b32_e32 v24, 0, v24, vcc
	v_cmp_nlt_f32_e32 vcc, s60, v13
	v_sub_f32_e32 v105, v105, v167
	v_ldexp_f32 v174, v174, v175
	v_cndmask_b32_e32 v24, v158, v24, vcc
	v_cmp_ngt_f32_e32 vcc, s63, v25
	v_sub_f32_e32 v173, v173, v167
	v_sub_f32_e32 v172, v172, v167
	v_cndmask_b32_e32 v174, 0, v174, vcc
	v_cmp_nlt_f32_e32 vcc, s60, v25
	v_sub_f32_e32 v171, v171, v167
	v_sub_f32_e32 v168, v168, v167
	v_cndmask_b32_e32 v25, v158, v174, vcc
	v_mul_f32_e32 v174, 0x3fb8aa3b, v103
	v_fma_f32 v175, v103, s43, -v174
	v_rndne_f32_e32 v176, v174
	v_fmac_f32_e32 v175, 0x32a5705f, v103
	v_sub_f32_e32 v174, v174, v176
	v_add_f32_e32 v174, v174, v175
	v_exp_f32_e32 v174, v174
	v_cvt_i32_f32_e32 v175, v176
	v_cmp_ngt_f32_e32 vcc, s63, v103
	v_sub_f32_e32 v23, v23, v167
	v_sub_f32_e32 v22, v22, v167
	v_ldexp_f32 v174, v174, v175
	v_cndmask_b32_e32 v174, 0, v174, vcc
	v_cmp_nlt_f32_e32 vcc, s60, v103
	v_add_f32_e32 v13, v14, v24
	v_sub_f32_e32 v10, v10, v167
	v_cndmask_b32_e32 v103, v158, v174, vcc
	v_mul_f32_e32 v174, 0x3fb8aa3b, v104
	v_fma_f32 v175, v104, s43, -v174
	v_rndne_f32_e32 v176, v174
	v_fmac_f32_e32 v175, 0x32a5705f, v104
	v_sub_f32_e32 v174, v174, v176
	v_add_f32_e32 v174, v174, v175
	v_exp_f32_e32 v174, v174
	v_cvt_i32_f32_e32 v175, v176
	v_cmp_ngt_f32_e32 vcc, s63, v104
	v_add_f32_e32 v13, v25, v13
	v_add_f32_e32 v13, v103, v13
	v_ldexp_f32 v174, v174, v175
	v_cndmask_b32_e32 v174, 0, v174, vcc
	v_cmp_nlt_f32_e32 vcc, s60, v104
	v_sub_f32_e32 v12, v12, v167
	v_sub_f32_e32 v11, v11, v167
	v_cndmask_b32_e32 v104, v158, v174, vcc
	v_mul_f32_e32 v174, 0x3fb8aa3b, v105
	v_fma_f32 v175, v105, s43, -v174
	v_rndne_f32_e32 v176, v174
	v_fmac_f32_e32 v175, 0x32a5705f, v105
	v_sub_f32_e32 v174, v174, v176
	v_add_f32_e32 v174, v174, v175
	v_exp_f32_e32 v174, v174
	v_cvt_i32_f32_e32 v175, v176
	v_cmp_ngt_f32_e32 vcc, s63, v105
	v_add_f32_e32 v13, v104, v13
	s_add_i32 s11, s11, -1
	v_ldexp_f32 v174, v174, v175
	v_cndmask_b32_e32 v174, 0, v174, vcc
	v_cmp_nlt_f32_e32 vcc, s60, v105
	v_lshl_add_u64 v[82:83], v[82:83], 0, s[66:67]
	v_lshl_add_u64 v[84:85], v[84:85], 0, s[66:67]
	v_cndmask_b32_e32 v105, v158, v174, vcc
	v_mul_f32_e32 v174, 0x3fb8aa3b, v173
	v_fma_f32 v175, v173, s43, -v174
	v_rndne_f32_e32 v176, v174
	v_fmac_f32_e32 v175, 0x32a5705f, v173
	v_sub_f32_e32 v174, v174, v176
	v_add_f32_e32 v174, v174, v175
	v_exp_f32_e32 v174, v174
	v_cvt_i32_f32_e32 v175, v176
	v_cmp_ngt_f32_e32 vcc, s63, v173
	v_add_f32_e32 v13, v105, v13
	v_lshl_add_u64 v[86:87], v[86:87], 0, s[68:69]
	v_ldexp_f32 v174, v174, v175
	v_cndmask_b32_e32 v174, 0, v174, vcc
	v_cmp_nlt_f32_e32 vcc, s60, v173
	v_lshl_add_u64 v[92:93], v[92:93], 0, s[70:71]
	v_lshl_add_u64 v[94:95], v[94:95], 0, s[70:71]
	v_cndmask_b32_e32 v173, v158, v174, vcc
	v_mul_f32_e32 v174, 0x3fb8aa3b, v172
	v_fma_f32 v175, v172, s43, -v174
	v_rndne_f32_e32 v176, v174
	v_fmac_f32_e32 v175, 0x32a5705f, v172
	v_sub_f32_e32 v174, v174, v176
	v_add_f32_e32 v174, v174, v175
	v_exp_f32_e32 v174, v174
	v_cvt_i32_f32_e32 v175, v176
	v_cmp_ngt_f32_e32 vcc, s63, v172
	v_add_f32_e32 v13, v173, v13
	v_lshl_add_u64 v[96:97], v[96:97], 0, s[70:71]
	v_ldexp_f32 v174, v174, v175
	v_cndmask_b32_e32 v174, 0, v174, vcc
	v_cmp_nlt_f32_e32 vcc, s60, v172
	v_mul_f32_e32 v172, 0x3fb8aa3b, v171
	v_fma_f32 v175, v171, s43, -v172
	v_rndne_f32_e32 v176, v172
	v_fmac_f32_e32 v175, 0x32a5705f, v171
	v_sub_f32_e32 v172, v172, v176
	v_add_f32_e32 v172, v172, v175
	v_exp_f32_e32 v172, v172
	v_cvt_i32_f32_e32 v175, v176
	v_cndmask_b32_e32 v174, v158, v174, vcc
	v_cmp_ngt_f32_e32 vcc, s63, v171
	v_add_f32_e32 v13, v174, v13
	v_ldexp_f32 v172, v172, v175
	v_cndmask_b32_e32 v172, 0, v172, vcc
	v_cmp_nlt_f32_e32 vcc, s60, v171
	v_mul_f32_e32 v171, 0x3fb8aa3b, v168
	v_rndne_f32_e32 v176, v171
	v_cndmask_b32_e32 v175, v158, v172, vcc
	v_fma_f32 v172, v168, s43, -v171
	v_fmac_f32_e32 v172, 0x32a5705f, v168
	v_sub_f32_e32 v171, v171, v176
	v_add_f32_e32 v171, v171, v172
	v_exp_f32_e32 v171, v171
	v_cvt_i32_f32_e32 v172, v176
	v_cmp_ngt_f32_e32 vcc, s63, v168
	v_add_f32_e32 v13, v175, v13
	s_cmp_lg_u32 s11, 0
	v_ldexp_f32 v171, v171, v172
	v_cndmask_b32_e32 v171, 0, v171, vcc
	v_cmp_nlt_f32_e32 vcc, s60, v168
	v_mul_f32_e32 v168, 0x3fb8aa3b, v23
	v_rndne_f32_e32 v172, v168
	v_cndmask_b32_e32 v176, v158, v171, vcc
	v_fma_f32 v171, v23, s43, -v168
	v_fmac_f32_e32 v171, 0x32a5705f, v23
	v_sub_f32_e32 v168, v168, v172
	v_add_f32_e32 v168, v168, v171
	v_exp_f32_e32 v168, v168
	v_cvt_i32_f32_e32 v171, v172
	v_cmp_ngt_f32_e32 vcc, s63, v23
	v_add_f32_e32 v13, v176, v13
	v_ldexp_f32 v168, v168, v171
	v_cndmask_b32_e32 v168, 0, v168, vcc
	v_cmp_nlt_f32_e32 vcc, s60, v23
	v_mul_f32_e32 v23, 0x3fb8aa3b, v22
	v_rndne_f32_e32 v171, v23
	v_cndmask_b32_e32 v177, v158, v168, vcc
	v_fma_f32 v168, v22, s43, -v23
	v_fmac_f32_e32 v168, 0x32a5705f, v22
	v_sub_f32_e32 v23, v23, v171
	v_add_f32_e32 v23, v23, v168
	v_exp_f32_e32 v23, v23
	v_cvt_i32_f32_e32 v168, v171
	v_cmp_ngt_f32_e32 vcc, s63, v22
	v_add_f32_e32 v13, v177, v13
	v_ldexp_f32 v23, v23, v168
	v_cndmask_b32_e32 v23, 0, v23, vcc
	v_cmp_nlt_f32_e32 vcc, s60, v22
	v_sub_f32_e32 v22, v178, v167
	s_nop 0
	v_cndmask_b32_e32 v179, v158, v23, vcc
	v_mul_f32_e32 v23, 0x3fb8aa3b, v22
	v_fma_f32 v168, v22, s43, -v23
	v_rndne_f32_e32 v171, v23
	v_fmac_f32_e32 v168, 0x32a5705f, v22
	v_sub_f32_e32 v23, v23, v171
	v_add_f32_e32 v23, v23, v168
	v_exp_f32_e32 v23, v23
	v_cvt_i32_f32_e32 v168, v171
	v_cmp_ngt_f32_e32 vcc, s63, v22
	v_add_f32_e32 v13, v179, v13
	v_ldexp_f32 v23, v23, v168
	v_cndmask_b32_e32 v23, 0, v23, vcc
	v_cmp_nlt_f32_e32 vcc, s60, v22
	v_mul_f32_e32 v22, 0x3fb8aa3b, v10
	v_rndne_f32_e32 v168, v22
	v_cndmask_b32_e32 v178, v158, v23, vcc
	v_fma_f32 v23, v10, s43, -v22
	v_fmac_f32_e32 v23, 0x32a5705f, v10
	v_sub_f32_e32 v22, v22, v168
	v_add_f32_e32 v22, v22, v23
	v_exp_f32_e32 v22, v22
	v_cvt_i32_f32_e32 v23, v168
	v_cmp_ngt_f32_e32 vcc, s63, v10
	v_add_f32_e32 v13, v178, v13
	v_ldexp_f32 v22, v22, v23
	v_cndmask_b32_e32 v22, 0, v22, vcc
	v_cmp_nlt_f32_e32 vcc, s60, v10
	s_nop 1
	v_cndmask_b32_e32 v180, v158, v22, vcc
	v_add_f32_e32 v10, v180, v13
	v_mul_f32_e32 v13, 0x3fb8aa3b, v12
	v_fma_f32 v22, v12, s43, -v13
	v_rndne_f32_e32 v23, v13
	v_fmac_f32_e32 v22, 0x32a5705f, v12
	v_sub_f32_e32 v13, v13, v23
	v_add_f32_e32 v13, v13, v22
	v_exp_f32_e32 v13, v13
	v_cvt_i32_f32_e32 v22, v23
	v_cmp_ngt_f32_e32 vcc, s63, v12
	v_ldexp_f32 v13, v13, v22
	s_nop 0
	v_cndmask_b32_e32 v13, 0, v13, vcc
	v_cmp_nlt_f32_e32 vcc, s60, v12
	v_mul_f32_e32 v12, 0x3fb8aa3b, v11
	v_rndne_f32_e32 v22, v12
	v_cndmask_b32_e32 v181, v158, v13, vcc
	v_fma_f32 v13, v11, s43, -v12
	v_fmac_f32_e32 v13, 0x32a5705f, v11
	v_sub_f32_e32 v12, v12, v22
	v_add_f32_e32 v12, v12, v13
	v_exp_f32_e32 v12, v12
	v_cvt_i32_f32_e32 v13, v22
	v_cmp_ngt_f32_e32 vcc, s63, v11
	v_add_f32_e32 v10, v181, v10
	v_ldexp_f32 v12, v12, v13
	v_cndmask_b32_e32 v12, 0, v12, vcc
	v_cmp_nlt_f32_e32 vcc, s60, v11
	s_nop 1
	v_cndmask_b32_e32 v182, v158, v12, vcc
	v_add_f32_e32 v168, v182, v10
	v_sub_f32_e32 v10, v21, v167
	v_mul_f32_e32 v11, 0x3fb8aa3b, v10
	v_fma_f32 v12, v10, s43, -v11
	v_rndne_f32_e32 v13, v11
	v_fmac_f32_e32 v12, 0x32a5705f, v10
	v_sub_f32_e32 v11, v11, v13
	v_add_f32_e32 v11, v11, v12
	v_exp_f32_e32 v11, v11
	v_cvt_i32_f32_e32 v12, v13
	v_cmp_ngt_f32_e32 vcc, s63, v10
	v_ldexp_f32 v11, v11, v12
	s_nop 0
	v_cndmask_b32_e32 v11, 0, v11, vcc
	v_cmp_nlt_f32_e32 vcc, s60, v10
	s_nop 1
	v_cndmask_b32_e32 v11, v158, v11, vcc
	v_cmp_le_f32_e32 vcc, s61, v10
	s_nop 1
	v_cndmask_b32_e32 v10, 0, v11, vcc
	v_fmac_f32_e32 v168, v15, v10
	v_cvt_f16_f32_e32 v10, v10
	v_mul_u32_u24_e32 v10, 0x10001, v10
	v_pk_mul_f16 v102, v102, v10
	v_pk_mul_f16 v101, v101, v10
	;; [unrolled: 1-line block ×10, first 2 shown]
	v_lshl_add_u64 v[10:11], v[88:89], 0, v[54:55]
	global_load_dwordx4 v[10:13], v[10:11], off
	v_cvt_pk_f16_f32 v100, v14, v24
	v_cvt_pk_f16_f32 v99, v181, v182
	v_cvt_pk_f16_f32 v98, v178, v180
	v_cvt_f32_f16_sdwa v19, v15 dst_sel:DWORD dst_unused:UNUSED_PAD src0_sel:WORD_1
	v_lshl_add_u64 v[88:89], v[88:89], 0, s[68:69]
	s_waitcnt vmcnt(0)
	ds_write_b128 v67, v[10:13]
	v_lshl_add_u64 v[10:11], v[90:91], 0, v[54:55]
	global_load_dwordx4 v[10:13], v[10:11], off
	v_lshl_add_u64 v[90:91], v[90:91], 0, s[68:69]
	s_waitcnt vmcnt(0)
	ds_write_b128 v107, v[10:13]
	s_waitcnt lgkmcnt(0)
	s_barrier
	ds_read_u16 v16, v111 offset:176
	ds_read_u16 v17, v112
	ds_read_u16 v184, v112 offset:32
	ds_read_u16 v18, v113
	ds_read_u16 v185, v113 offset:32
	v_cvt_f32_f16_e32 v10, v102
	v_cvt_f32_f16_sdwa v11, v102 dst_sel:DWORD dst_unused:UNUSED_PAD src0_sel:WORD_1
	v_cvt_f32_f16_e32 v12, v101
	s_waitcnt lgkmcnt(1)
	v_perm_b32 v17, v18, v17, s62
	ds_read_u16 v18, v111
	ds_read_u16 v186, v111 offset:32
	v_cvt_f32_f16_sdwa v13, v101 dst_sel:DWORD dst_unused:UNUSED_PAD src0_sel:WORD_1
	v_cvt_pk_f16_f32 v101, v25, v103
	v_cvt_pk_f16_f32 v103, v173, v174
	s_waitcnt lgkmcnt(1)
	v_perm_b32 v16, v16, v18, s62
	v_cvt_pk_f16_f32 v102, v104, v105
	v_cvt_pk_f16_f32 v105, v177, v179
	v_mfma_f32_16x16x16_f16 v[10:13], v[16:17], v[100:101], v[10:13]
	ds_read_u16 v14, v111 offset:2816
	ds_read_u16 v16, v111 offset:2992
	;; [unrolled: 1-line block ×4, first 2 shown]
	v_cvt_pk_f16_f32 v104, v175, v176
	v_cvt_f32_f16_e32 v174, v21
	s_nop 1
	v_cvt_f16_f32_e32 v10, v10
	v_cvt_f16_f32_e32 v11, v11
	;; [unrolled: 1-line block ×4, first 2 shown]
	s_waitcnt lgkmcnt(0)
	v_perm_b32 v17, v18, v17, s62
	v_perm_b32 v16, v16, v14, s62
	v_cvt_f32_f16_e32 v10, v10
	v_cvt_f32_f16_e32 v11, v11
	;; [unrolled: 1-line block ×4, first 2 shown]
	v_cvt_f32_f16_sdwa v175, v21 dst_sel:DWORD dst_unused:UNUSED_PAD src0_sel:WORD_1
	v_cvt_f32_f16_e32 v176, v20
	v_mfma_f32_16x16x16_f16 v[10:13], v[16:17], v[102:103], v[10:13]
	ds_read_u16 v14, v111 offset:5632
	ds_read_u16 v16, v111 offset:5808
	;; [unrolled: 1-line block ×4, first 2 shown]
	v_cvt_f32_f16_sdwa v177, v20 dst_sel:DWORD dst_unused:UNUSED_PAD src0_sel:WORD_1
	s_nop 2
	v_cvt_f16_f32_e32 v10, v10
	v_cvt_f16_f32_e32 v11, v11
	;; [unrolled: 1-line block ×4, first 2 shown]
	s_waitcnt lgkmcnt(0)
	v_perm_b32 v17, v18, v17, s62
	v_perm_b32 v16, v16, v14, s62
	v_cvt_f32_f16_e32 v10, v10
	v_cvt_f32_f16_e32 v11, v11
	;; [unrolled: 1-line block ×4, first 2 shown]
	s_nop 1
	v_mfma_f32_16x16x16_f16 v[10:13], v[16:17], v[104:105], v[10:13]
	ds_read_u16 v14, v111 offset:8448
	ds_read_u16 v16, v111 offset:8624
	;; [unrolled: 1-line block ×4, first 2 shown]
	s_nop 3
	v_cvt_f16_f32_e32 v10, v10
	v_cvt_f16_f32_e32 v11, v11
	;; [unrolled: 1-line block ×4, first 2 shown]
	s_waitcnt lgkmcnt(2)
	v_perm_b32 v16, v16, v14, s62
	ds_read_u16 v14, v111 offset:208
	s_waitcnt lgkmcnt(1)
	v_perm_b32 v17, v18, v17, s62
	v_cvt_f32_f16_e32 v10, v10
	v_cvt_f32_f16_e32 v11, v11
	;; [unrolled: 1-line block ×5, first 2 shown]
	v_perm_b32 v15, v185, v184, s62
	s_waitcnt lgkmcnt(0)
	v_perm_b32 v14, v14, v186, s62
	v_mfma_f32_16x16x16_f16 v[10:13], v[16:17], v[98:99], v[10:13]
	v_cvt_f32_f16_e32 v16, v183
	v_cvt_f32_f16_sdwa v17, v183 dst_sel:DWORD dst_unused:UNUSED_PAD src0_sel:WORD_1
	s_nop 1
	v_mfma_f32_16x16x16_f16 v[14:17], v[14:15], v[100:101], v[16:19]
	s_nop 2
	ds_read_u16 v18, v111 offset:2848
	ds_read_u16 v24, v111 offset:3024
	ds_read_u16 v19, v112 offset:2848
	ds_read_u16 v25, v113 offset:2848
	s_nop 0
	v_cvt_f16_f32_e32 v14, v14
	v_cvt_f16_f32_e32 v15, v15
	v_cvt_f16_f32_e32 v16, v16
	v_cvt_f16_f32_e32 v17, v17
	s_waitcnt lgkmcnt(0)
	v_perm_b32 v19, v25, v19, s62
	v_perm_b32 v18, v24, v18, s62
	v_cvt_f32_f16_e32 v14, v14
	v_cvt_f32_f16_e32 v15, v15
	v_cvt_f32_f16_e32 v16, v16
	v_cvt_f32_f16_e32 v17, v17
	s_nop 1
	v_mfma_f32_16x16x16_f16 v[14:17], v[18:19], v[102:103], v[14:17]
	ds_read_u16 v18, v111 offset:5664
	ds_read_u16 v24, v111 offset:5840
	ds_read_u16 v19, v112 offset:5664
	ds_read_u16 v25, v113 offset:5664
	s_nop 3
	v_cvt_f16_f32_e32 v14, v14
	v_cvt_f16_f32_e32 v15, v15
	v_cvt_f16_f32_e32 v16, v16
	v_cvt_f16_f32_e32 v17, v17
	s_waitcnt lgkmcnt(0)
	v_perm_b32 v19, v25, v19, s62
	v_perm_b32 v18, v24, v18, s62
	v_cvt_f32_f16_e32 v14, v14
	v_cvt_f32_f16_e32 v15, v15
	v_cvt_f32_f16_e32 v16, v16
	v_cvt_f32_f16_e32 v17, v17
	s_nop 1
	v_mfma_f32_16x16x16_f16 v[14:17], v[18:19], v[104:105], v[14:17]
	;; [unrolled: 18-line block ×3, first 2 shown]
	ds_read_u16 v18, v111 offset:64
	ds_read_u16 v24, v111 offset:240
	ds_read_u16 v19, v112 offset:64
	ds_read_u16 v25, v113 offset:64
	s_waitcnt lgkmcnt(2)
	v_perm_b32 v18, v24, v18, s62
	s_waitcnt lgkmcnt(0)
	v_perm_b32 v19, v25, v19, s62
	s_nop 1
	v_mfma_f32_16x16x16_f16 v[18:21], v[18:19], v[100:101], v[174:177]
	ds_read_u16 v24, v111 offset:2880
	ds_read_u16 v173, v111 offset:3056
	;; [unrolled: 1-line block ×4, first 2 shown]
	v_cvt_f32_f16_sdwa v175, v23 dst_sel:DWORD dst_unused:UNUSED_PAD src0_sel:WORD_1
	v_cvt_f32_f16_e32 v176, v22
	s_nop 1
	v_cvt_f16_f32_e32 v18, v18
	v_cvt_f16_f32_e32 v19, v19
	v_cvt_f16_f32_e32 v20, v20
	v_cvt_f16_f32_e32 v21, v21
	s_waitcnt lgkmcnt(0)
	v_perm_b32 v25, v174, v25, s62
	v_perm_b32 v24, v173, v24, s62
	v_cvt_f32_f16_e32 v18, v18
	v_cvt_f32_f16_e32 v19, v19
	;; [unrolled: 1-line block ×4, first 2 shown]
	v_cvt_f32_f16_sdwa v177, v22 dst_sel:DWORD dst_unused:UNUSED_PAD src0_sel:WORD_1
	s_nop 0
	v_mfma_f32_16x16x16_f16 v[18:21], v[24:25], v[102:103], v[18:21]
	ds_read_u16 v24, v111 offset:5696
	ds_read_u16 v173, v111 offset:5872
	;; [unrolled: 1-line block ×4, first 2 shown]
	s_nop 3
	v_cvt_f16_f32_e32 v18, v18
	v_cvt_f16_f32_e32 v19, v19
	;; [unrolled: 1-line block ×4, first 2 shown]
	s_waitcnt lgkmcnt(0)
	v_perm_b32 v25, v174, v25, s62
	v_perm_b32 v24, v173, v24, s62
	v_cvt_f32_f16_e32 v18, v18
	v_cvt_f32_f16_e32 v19, v19
	;; [unrolled: 1-line block ×4, first 2 shown]
	s_nop 1
	v_mfma_f32_16x16x16_f16 v[18:21], v[24:25], v[104:105], v[18:21]
	ds_read_u16 v24, v111 offset:8512
	ds_read_u16 v173, v111 offset:8688
	;; [unrolled: 1-line block ×4, first 2 shown]
	s_nop 3
	v_cvt_f16_f32_e32 v18, v18
	v_cvt_f16_f32_e32 v19, v19
	;; [unrolled: 1-line block ×4, first 2 shown]
	s_waitcnt lgkmcnt(0)
	v_perm_b32 v25, v174, v25, s62
	v_perm_b32 v24, v173, v24, s62
	v_cvt_f32_f16_e32 v18, v18
	v_cvt_f32_f16_e32 v19, v19
	;; [unrolled: 1-line block ×5, first 2 shown]
	s_nop 0
	v_mfma_f32_16x16x16_f16 v[18:21], v[24:25], v[98:99], v[18:21]
	ds_read_u16 v24, v111 offset:96
	ds_read_u16 v25, v111 offset:272
	;; [unrolled: 1-line block ×4, first 2 shown]
	s_waitcnt lgkmcnt(2)
	v_perm_b32 v22, v25, v24, s62
	s_nop 1
	v_cvt_pk_f16_f32 v20, v20, v21
	s_waitcnt lgkmcnt(0)
	v_perm_b32 v23, v178, v173, s62
	s_nop 1
	v_mfma_f32_16x16x16_f16 v[22:25], v[22:23], v[100:101], v[174:177]
	ds_read_u16 v173, v111 offset:2912
	s_nop 1
	ds_read_u16 v174, v111 offset:3088
	ds_read_u16 v175, v112 offset:2912
	;; [unrolled: 1-line block ×3, first 2 shown]
	v_cvt_f32_f16_sdwa v177, v171 dst_sel:DWORD dst_unused:UNUSED_PAD src0_sel:WORD_1
	s_nop 0
	v_cvt_f16_f32_e32 v22, v22
	v_cvt_f16_f32_e32 v23, v23
	;; [unrolled: 1-line block ×4, first 2 shown]
	s_waitcnt lgkmcnt(0)
	v_perm_b32 v175, v176, v175, s62
	v_perm_b32 v174, v174, v173, s62
	v_cvt_f32_f16_e32 v22, v22
	v_cvt_f32_f16_e32 v23, v23
	;; [unrolled: 1-line block ×4, first 2 shown]
	s_nop 1
	v_mfma_f32_16x16x16_f16 v[22:25], v[174:175], v[102:103], v[22:25]
	ds_read_u16 v173, v111 offset:5728
	ds_read_u16 v174, v111 offset:5904
	;; [unrolled: 1-line block ×4, first 2 shown]
	s_nop 3
	v_cvt_f16_f32_e32 v22, v22
	v_cvt_f16_f32_e32 v23, v23
	;; [unrolled: 1-line block ×4, first 2 shown]
	s_waitcnt lgkmcnt(0)
	v_perm_b32 v175, v176, v175, s62
	v_perm_b32 v174, v174, v173, s62
	v_cvt_f32_f16_e32 v22, v22
	v_cvt_f32_f16_e32 v23, v23
	;; [unrolled: 1-line block ×4, first 2 shown]
	s_nop 1
	v_mfma_f32_16x16x16_f16 v[22:25], v[174:175], v[104:105], v[22:25]
	ds_read_u16 v173, v111 offset:8544
	ds_read_u16 v174, v111 offset:8720
	;; [unrolled: 1-line block ×4, first 2 shown]
	s_nop 3
	v_cvt_f16_f32_e32 v22, v22
	v_cvt_f16_f32_e32 v23, v23
	;; [unrolled: 1-line block ×4, first 2 shown]
	s_waitcnt lgkmcnt(0)
	v_perm_b32 v175, v176, v175, s62
	v_perm_b32 v174, v174, v173, s62
	ds_read_u16 v178, v111 offset:128
	ds_read_u16 v179, v111 offset:304
	;; [unrolled: 1-line block ×4, first 2 shown]
	v_cvt_f32_f16_e32 v22, v22
	v_cvt_f32_f16_e32 v23, v23
	;; [unrolled: 1-line block ×4, first 2 shown]
	s_waitcnt lgkmcnt(0)
	v_perm_b32 v173, v180, v173, s62
	v_cvt_f32_f16_e32 v176, v171
	v_mfma_f32_16x16x16_f16 v[22:25], v[174:175], v[98:99], v[22:25]
	v_cvt_f32_f16_e32 v174, v172
	v_cvt_f32_f16_sdwa v175, v172 dst_sel:DWORD dst_unused:UNUSED_PAD src0_sel:WORD_1
	v_perm_b32 v172, v179, v178, s62
	s_nop 1
	v_mfma_f32_16x16x16_f16 v[172:175], v[172:173], v[100:101], v[174:177]
	s_nop 2
	ds_read_u16 v176, v111 offset:2944
	ds_read_u16 v177, v111 offset:3120
	;; [unrolled: 1-line block ×4, first 2 shown]
	s_nop 0
	v_cvt_f16_f32_e32 v100, v172
	v_cvt_f16_f32_e32 v101, v173
	;; [unrolled: 1-line block ×4, first 2 shown]
	v_cvt_f32_f16_e32 v172, v100
	v_cvt_f32_f16_e32 v173, v101
	s_waitcnt lgkmcnt(0)
	v_perm_b32 v101, v179, v178, s62
	v_perm_b32 v100, v177, v176, s62
	v_cvt_f32_f16_e32 v174, v171
	v_cvt_f32_f16_e32 v175, v175
	s_nop 1
	v_mfma_f32_16x16x16_f16 v[100:103], v[100:101], v[102:103], v[172:175]
	ds_read_u16 v171, v111 offset:5760
	s_nop 1
	ds_read_u16 v172, v111 offset:5936
	ds_read_u16 v173, v112 offset:5760
	;; [unrolled: 1-line block ×3, first 2 shown]
	s_nop 1
	v_cvt_f16_f32_e32 v100, v100
	v_cvt_f16_f32_e32 v101, v101
	;; [unrolled: 1-line block ×4, first 2 shown]
	s_waitcnt lgkmcnt(0)
	v_perm_b32 v173, v174, v173, s62
	v_perm_b32 v172, v172, v171, s62
	v_cvt_f32_f16_e32 v100, v100
	v_cvt_f32_f16_e32 v101, v101
	;; [unrolled: 1-line block ×4, first 2 shown]
	s_nop 1
	v_mfma_f32_16x16x16_f16 v[102:105], v[172:173], v[104:105], v[100:103]
	s_nop 2
	ds_read_u16 v100, v111 offset:8576
	ds_read_u16 v101, v111 offset:8752
	;; [unrolled: 1-line block ×4, first 2 shown]
	s_waitcnt lgkmcnt(0)
	s_barrier
	v_cvt_f16_f32_e32 v102, v102
	v_cvt_f16_f32_e32 v103, v103
	;; [unrolled: 1-line block ×4, first 2 shown]
	v_perm_b32 v173, v172, v171, s62
	v_perm_b32 v172, v101, v100, s62
	v_cvt_f32_f16_e32 v102, v102
	v_cvt_f32_f16_e32 v103, v103
	;; [unrolled: 1-line block ×4, first 2 shown]
	v_cvt_pk_f16_f32 v101, v12, v13
	v_cvt_pk_f16_f32 v100, v18, v19
	v_mfma_f32_16x16x16_f16 v[172:175], v[172:173], v[98:99], v[102:105]
	v_cvt_pk_f16_f32 v98, v14, v15
	v_cvt_pk_f16_f32 v99, v16, v17
	s_nop 0
	v_cvt_pk_f16_f32 v102, v10, v11
	v_cvt_pk_f16_f32 v19, v22, v23
	;; [unrolled: 1-line block ×3, first 2 shown]
	s_nop 1
	v_cvt_pk_f16_f32 v17, v172, v173
	v_cvt_pk_f16_f32 v16, v174, v175
	s_cbranch_scc0 .LBB9_175
; %bb.173:                              ;   in Loop: Header=BB9_168 Depth=2
	v_mov_b32_e32 v15, v168
	v_mov_b32_e32 v21, v167
	s_branch .LBB9_168
.LBB9_174:                              ;   in Loop: Header=BB9_13 Depth=1
	v_mov_b32_e32 v167, 0xfeffffff
	v_mov_b32_e32 v168, 0
	s_mov_b64 s[78:79], 0
	v_mov_b32_e32 v16, 0
	v_mov_b32_e32 v17, 0
	;; [unrolled: 1-line block ×10, first 2 shown]
	v_readlane_b32 s55, v187, 31
	s_branch .LBB9_176
.LBB9_175:                              ;   in Loop: Header=BB9_13 Depth=1
	s_lshl_b32 s58, s10, 6
	v_mad_i64_i32 v[10:11], s[50:51], v30, s42, 0
	v_mad_i64_i32 v[12:13], s[50:51], v80, s42, 0
	s_mov_b64 s[78:79], s[58:59]
.LBB9_176:                              ;   in Loop: Header=BB9_13 Depth=1
	s_lshl_b64 s[10:11], s[78:79], 1
	s_add_u32 s10, s76, s10
	s_addc_u32 s11, s77, s11
	v_lshlrev_b32_e32 v30, 1, v62
	v_lshl_add_u64 v[14:15], s[10:11], 0, v[30:31]
	v_lshl_add_u64 v[10:11], v[10:11], 1, v[14:15]
	;; [unrolled: 1-line block ×3, first 2 shown]
	global_load_dword v10, v[10:11], off
	s_nop 0
	global_load_dword v11, v[12:13], off
	s_mul_i32 s11, s78, s35
	s_mul_hi_u32 s48, s78, s34
	s_mul_i32 s10, s78, s34
	s_add_i32 s11, s48, s11
	s_lshl_b64 s[10:11], s[10:11], 2
	s_add_u32 s76, s5, s10
	v_add_u32_e32 v12, v137, v135
	s_addc_u32 s77, s4, s11
	s_waitcnt vmcnt(1)
	ds_write_b32 v12, v10 offset:11264
	s_waitcnt vmcnt(0)
	ds_write_b32 v12, v11 offset:12416
	s_and_saveexec_b64 s[98:99], s[0:1]
	s_cbranch_execz .LBB9_178
; %bb.177:                              ;   in Loop: Header=BB9_13 Depth=1
	v_lshl_add_u64 v[10:11], v[40:41], 2, s[76:77]
	v_lshlrev_b32_e32 v30, 2, v38
	v_lshl_add_u64 v[10:11], v[10:11], 0, v[30:31]
	global_load_dwordx4 v[10:13], v[10:11], off offset:128
	s_waitcnt vmcnt(0)
	ds_write_b128 v108, v[10:13]
.LBB9_178:                              ;   in Loop: Header=BB9_13 Depth=1
	s_or_b64 exec, exec, s[98:99]
	v_lshl_add_u64 v[10:11], v[34:35], 2, s[76:77]
	v_lshlrev_b32_e32 v30, 2, v32
	v_lshl_add_u64 v[10:11], v[10:11], 0, v[30:31]
	v_lshl_add_u64 v[12:13], v[36:37], 2, s[76:77]
	;; [unrolled: 1-line block ×3, first 2 shown]
	global_load_dwordx4 v[10:13], v[10:11], off
	s_mul_i32 s4, s78, s31
	s_mul_hi_u32 s5, s78, s30
	s_add_i32 s5, s5, s4
	s_mul_i32 s4, s78, s30
	s_lshl_b64 s[4:5], s[4:5], 2
	s_add_u32 s76, s38, s4
	s_addc_u32 s77, s49, s5
	s_waitcnt vmcnt(0)
	ds_write_b128 v67, v[10:13]
	global_load_dwordx4 v[10:13], v[14:15], off
	s_waitcnt vmcnt(0)
	ds_write_b128 v107, v[10:13]
	s_waitcnt lgkmcnt(0)
	s_barrier
	ds_read2_b64 v[10:13], v33 offset1:4
	s_waitcnt lgkmcnt(0)
	v_mfma_f32_16x16x16_f16 v[22:25], v[10:11], v[6:7], 0
	ds_read_b64 v[14:15], v33 offset:128
	v_mfma_f32_16x16x16_f16 v[10:13], v[12:13], v[8:9], v[22:25]
	s_nop 5
	ds_read2_b64 v[22:25], v33 offset0:8 offset1:12
	s_waitcnt lgkmcnt(0)
	v_mfma_f32_16x16x16_f16 v[10:13], v[22:23], v[2:3], v[10:13]
	v_mfma_f32_16x16x16_f16 v[10:13], v[24:25], v[4:5], v[10:13]
	;; [unrolled: 1-line block ×3, first 2 shown]
	v_add_u32_e32 v14, 0x800, v33
	ds_read2_b64 v[22:25], v14 offset0:96 offset1:100
	s_waitcnt lgkmcnt(0)
	v_mfma_f32_16x16x16_f16 v[82:85], v[22:23], v[6:7], 0
	v_mfma_f32_16x16x16_f16 v[22:25], v[24:25], v[8:9], v[82:85]
	s_nop 6
	ds_read2_b64 v[82:85], v14 offset0:104 offset1:108
	ds_read_b64 v[14:15], v33 offset:2944
	s_waitcnt lgkmcnt(1)
	v_mfma_f32_16x16x16_f16 v[22:25], v[82:83], v[2:3], v[22:25]
	v_mfma_f32_16x16x16_f16 v[22:25], v[84:85], v[4:5], v[22:25]
	s_waitcnt lgkmcnt(0)
	v_mfma_f32_16x16x16_f16 v[82:85], v[14:15], v[78:79], v[22:25]
	v_add_u32_e32 v14, 0x1000, v33
	s_nop 4
	ds_read2_b64 v[22:25], v14 offset0:192 offset1:196
	s_waitcnt lgkmcnt(0)
	v_mfma_f32_16x16x16_f16 v[86:89], v[22:23], v[6:7], 0
	v_mfma_f32_16x16x16_f16 v[22:25], v[24:25], v[8:9], v[86:89]
	s_nop 6
	ds_read2_b64 v[86:89], v14 offset0:200 offset1:204
	ds_read_b64 v[14:15], v33 offset:5760
	s_waitcnt lgkmcnt(1)
	v_mfma_f32_16x16x16_f16 v[22:25], v[86:87], v[2:3], v[22:25]
	v_mfma_f32_16x16x16_f16 v[22:25], v[88:89], v[4:5], v[22:25]
	s_waitcnt lgkmcnt(0)
	v_mfma_f32_16x16x16_f16 v[86:89], v[14:15], v[78:79], v[22:25]
	v_add_u32_e32 v14, 0x2000, v33
	s_nop 4
	ds_read2_b64 v[22:25], v14 offset0:32 offset1:36
	s_waitcnt lgkmcnt(0)
	v_mfma_f32_16x16x16_f16 v[90:93], v[22:23], v[6:7], 0
	v_mfma_f32_16x16x16_f16 v[6:9], v[24:25], v[8:9], v[90:93]
	ds_read2_b64 v[22:25], v14 offset0:40 offset1:44
	s_waitcnt lgkmcnt(0)
	v_mfma_f32_16x16x16_f16 v[6:9], v[22:23], v[2:3], v[6:9]
	v_mfma_f32_16x16x16_f16 v[2:5], v[24:25], v[4:5], v[6:9]
	s_nop 6
	ds_read_b64 v[6:7], v33 offset:8576
	s_waitcnt lgkmcnt(0)
	v_mfma_f32_16x16x16_f16 v[90:93], v[6:7], v[78:79], v[2:5]
	s_barrier
	s_nop 1
	ds_read_b32 v2, v109 offset:11264
	s_waitcnt lgkmcnt(0)
	v_cvt_f32_f16_e32 v3, v2
	v_cvt_f32_f16_sdwa v2, v2 dst_sel:DWORD dst_unused:UNUSED_PAD src0_sel:WORD_1
	v_add_f32_e32 v6, v10, v3
	v_add_f32_e32 v7, v11, v2
	ds_read_b32 v2, v110 offset:11264
	s_waitcnt lgkmcnt(0)
	v_cvt_f32_f16_e32 v3, v2
	v_cvt_f32_f16_sdwa v2, v2 dst_sel:DWORD dst_unused:UNUSED_PAD src0_sel:WORD_1
	v_add_f32_e32 v12, v12, v3
	v_add_f32_e32 v13, v13, v2
	v_add_u32_e32 v2, 0x2c00, v138
	ds_read2_b32 v[2:3], v2 offset1:1
	v_add_f32_e32 v21, 0x40051340, v13
	s_waitcnt lgkmcnt(0)
	v_cvt_f32_f16_e32 v4, v2
	v_cvt_f32_f16_sdwa v2, v2 dst_sel:DWORD dst_unused:UNUSED_PAD src0_sel:WORD_1
	v_add_f32_e32 v78, v82, v4
	v_add_f32_e32 v24, v83, v2
	v_cvt_f32_f16_e32 v2, v3
	v_cvt_f32_f16_sdwa v3, v3 dst_sel:DWORD dst_unused:UNUSED_PAD src0_sel:WORD_1
	v_add_f32_e32 v25, v84, v2
	v_add_u32_e32 v2, 0x2c00, v139
	v_add_f32_e32 v23, v85, v3
	ds_read2_b32 v[2:3], v2 offset1:1
	s_waitcnt lgkmcnt(0)
	v_cvt_f32_f16_e32 v4, v2
	v_cvt_f32_f16_sdwa v2, v2 dst_sel:DWORD dst_unused:UNUSED_PAD src0_sel:WORD_1
	v_add_f32_e32 v11, v86, v4
	v_add_f32_e32 v10, v87, v2
	v_cvt_f32_f16_e32 v2, v3
	v_cvt_f32_f16_sdwa v3, v3 dst_sel:DWORD dst_unused:UNUSED_PAD src0_sel:WORD_1
	v_add_f32_e32 v9, v88, v2
	v_add_u32_e32 v2, 0x2c00, v140
	ds_read2_b32 v[14:15], v2 offset1:1
	v_add_f32_e32 v3, v89, v3
	s_waitcnt lgkmcnt(0)
	v_cvt_f32_f16_e32 v2, v14
	v_cvt_f32_f16_sdwa v4, v14 dst_sel:DWORD dst_unused:UNUSED_PAD src0_sel:WORD_1
	v_cvt_f32_f16_sdwa v14, v15 dst_sel:DWORD dst_unused:UNUSED_PAD src0_sel:WORD_1
	v_add_f32_e32 v8, v90, v2
	v_cvt_f32_f16_e32 v2, v15
	v_add_f32_e32 v5, v91, v4
	v_add_f32_e32 v15, 0x40051340, v7
	;; [unrolled: 1-line block ×5, first 2 shown]
	v_max3_f32 v14, v167, v14, v15
	v_add_f32_e32 v15, 0x40051340, v12
	v_max3_f32 v14, v14, v15, v21
	v_add_f32_e32 v15, 0x40051340, v78
	v_add_f32_e32 v21, 0x40051340, v24
	v_max3_f32 v14, v14, v15, v21
	v_add_f32_e32 v15, 0x40051340, v25
	;; [unrolled: 3-line block ×6, first 2 shown]
	v_add_f32_e32 v21, 0x40051340, v2
	v_max3_f32 v14, v14, v15, v21
	v_and_b32_e32 v15, 64, v157
	v_add_u32_e32 v21, 64, v15
	v_xor_b32_e32 v15, 32, v157
	v_cmp_lt_i32_e32 vcc, v15, v21
	s_nop 1
	v_cndmask_b32_e32 v15, v157, v15, vcc
	v_lshlrev_b32_e32 v15, 2, v15
	ds_bpermute_b32 v22, v15, v14
	s_waitcnt lgkmcnt(0)
	v_max_f32_e32 v22, v22, v22
	v_max_f32_e32 v14, v14, v22
	v_xor_b32_e32 v22, 16, v157
	v_cmp_lt_i32_e32 vcc, v22, v21
	s_nop 1
	v_cndmask_b32_e32 v21, v157, v22, vcc
	v_lshlrev_b32_e32 v22, 2, v21
	ds_bpermute_b32 v21, v22, v14
	s_and_saveexec_b64 s[78:79], s[0:1]
	s_cbranch_execz .LBB9_180
; %bb.179:                              ;   in Loop: Header=BB9_13 Depth=1
	v_lshl_add_u64 v[82:83], v[42:43], 2, s[76:77]
	v_lshlrev_b32_e32 v84, 2, v38
	v_mov_b32_e32 v85, v31
	v_lshl_add_u64 v[82:83], v[82:83], 0, v[84:85]
	global_load_dwordx4 v[82:85], v[82:83], off offset:128
	s_waitcnt vmcnt(0)
	ds_write_b128 v108, v[82:85]
.LBB9_180:                              ;   in Loop: Header=BB9_13 Depth=1
	s_or_b64 exec, exec, s[78:79]
	s_waitcnt lgkmcnt(0)
	v_max_f32_e32 v21, v21, v21
	v_max_f32_e32 v14, v14, v14
	;; [unrolled: 1-line block ×3, first 2 shown]
	v_sub_f32_e32 v6, v6, v14
	v_mul_f32_e32 v21, 0x3fb8aa3b, v6
	v_fma_f32 v79, v6, s43, -v21
	v_rndne_f32_e32 v80, v21
	v_fmac_f32_e32 v79, 0x32a5705f, v6
	v_sub_f32_e32 v21, v21, v80
	v_add_f32_e32 v21, v21, v79
	v_exp_f32_e32 v21, v21
	v_cvt_i32_f32_e32 v79, v80
	v_cmp_ngt_f32_e32 vcc, s63, v6
	v_sub_f32_e32 v7, v7, v14
	v_sub_f32_e32 v12, v12, v14
	v_ldexp_f32 v21, v21, v79
	v_cndmask_b32_e32 v21, 0, v21, vcc
	v_cmp_nlt_f32_e32 vcc, s60, v6
	v_sub_f32_e32 v13, v13, v14
	v_sub_f32_e32 v24, v24, v14
	v_cndmask_b32_e32 v6, v158, v21, vcc
	v_mul_f32_e32 v21, 0x3fb8aa3b, v7
	v_fma_f32 v79, v7, s43, -v21
	v_rndne_f32_e32 v80, v21
	v_fmac_f32_e32 v79, 0x32a5705f, v7
	v_sub_f32_e32 v21, v21, v80
	v_add_f32_e32 v21, v21, v79
	v_exp_f32_e32 v21, v21
	v_cvt_i32_f32_e32 v79, v80
	v_cmp_ngt_f32_e32 vcc, s63, v7
	v_sub_f32_e32 v25, v25, v14
	v_sub_f32_e32 v23, v23, v14
	v_ldexp_f32 v21, v21, v79
	v_mul_f32_e32 v79, 0x3fb8aa3b, v12
	v_fma_f32 v80, v12, s43, -v79
	v_rndne_f32_e32 v82, v79
	v_fmac_f32_e32 v80, 0x32a5705f, v12
	v_sub_f32_e32 v79, v79, v82
	v_add_f32_e32 v79, v79, v80
	v_exp_f32_e32 v79, v79
	v_cvt_i32_f32_e32 v80, v82
	v_cndmask_b32_e32 v21, 0, v21, vcc
	v_cmp_nlt_f32_e32 vcc, s60, v7
	v_sub_f32_e32 v11, v11, v14
	v_ldexp_f32 v79, v79, v80
	v_cndmask_b32_e32 v7, v158, v21, vcc
	v_cmp_ngt_f32_e32 vcc, s63, v12
	v_add_f32_e32 v21, v6, v7
	v_sub_f32_e32 v10, v10, v14
	v_cndmask_b32_e32 v79, 0, v79, vcc
	v_cmp_nlt_f32_e32 vcc, s60, v12
	v_sub_f32_e32 v9, v9, v14
	v_sub_f32_e32 v3, v3, v14
	v_cndmask_b32_e32 v12, v158, v79, vcc
	v_add_f32_e32 v79, v12, v21
	v_mul_f32_e32 v21, 0x3fb8aa3b, v13
	v_fma_f32 v80, v13, s43, -v21
	v_rndne_f32_e32 v82, v21
	v_fmac_f32_e32 v80, 0x32a5705f, v13
	v_sub_f32_e32 v21, v21, v82
	v_add_f32_e32 v21, v21, v80
	v_exp_f32_e32 v21, v21
	v_cvt_i32_f32_e32 v80, v82
	v_cmp_ngt_f32_e32 vcc, s63, v13
	v_sub_f32_e32 v8, v8, v14
	v_sub_f32_e32 v5, v5, v14
	v_ldexp_f32 v21, v21, v80
	v_cndmask_b32_e32 v21, 0, v21, vcc
	v_cmp_nlt_f32_e32 vcc, s60, v13
	v_sub_f32_e32 v13, v78, v14
	v_mul_f32_e32 v78, 0x3fb8aa3b, v13
	v_fma_f32 v80, v13, s43, -v78
	v_rndne_f32_e32 v82, v78
	v_fmac_f32_e32 v80, 0x32a5705f, v13
	v_sub_f32_e32 v78, v78, v82
	v_add_f32_e32 v78, v78, v80
	v_exp_f32_e32 v78, v78
	v_cvt_i32_f32_e32 v80, v82
	v_cndmask_b32_e32 v21, v158, v21, vcc
	v_cmp_ngt_f32_e32 vcc, s63, v13
	v_add_f32_e32 v79, v21, v79
	v_ldexp_f32 v78, v78, v80
	v_cndmask_b32_e32 v78, 0, v78, vcc
	v_cmp_nlt_f32_e32 vcc, s60, v13
	v_sub_f32_e32 v4, v4, v14
	v_sub_f32_e32 v2, v2, v14
	v_cndmask_b32_e32 v13, v158, v78, vcc
	v_add_f32_e32 v78, v13, v79
	v_mul_f32_e32 v79, 0x3fb8aa3b, v24
	v_fma_f32 v80, v24, s43, -v79
	v_rndne_f32_e32 v82, v79
	v_fmac_f32_e32 v80, 0x32a5705f, v24
	v_sub_f32_e32 v79, v79, v82
	v_add_f32_e32 v79, v79, v80
	v_exp_f32_e32 v79, v79
	v_cvt_i32_f32_e32 v80, v82
	v_cmp_ngt_f32_e32 vcc, s63, v24
	s_cmp_eq_u64 s[74:75], 0
	v_ldexp_f32 v79, v79, v80
	v_cndmask_b32_e32 v79, 0, v79, vcc
	v_cmp_nlt_f32_e32 vcc, s60, v24
	s_nop 1
	v_cndmask_b32_e32 v24, v158, v79, vcc
	v_mul_f32_e32 v79, 0x3fb8aa3b, v25
	v_fma_f32 v80, v25, s43, -v79
	v_rndne_f32_e32 v82, v79
	v_fmac_f32_e32 v80, 0x32a5705f, v25
	v_sub_f32_e32 v79, v79, v82
	v_add_f32_e32 v79, v79, v80
	v_exp_f32_e32 v79, v79
	v_cvt_i32_f32_e32 v80, v82
	v_cmp_ngt_f32_e32 vcc, s63, v25
	v_add_f32_e32 v78, v24, v78
	v_ldexp_f32 v79, v79, v80
	v_cndmask_b32_e32 v79, 0, v79, vcc
	v_cmp_nlt_f32_e32 vcc, s60, v25
	s_nop 1
	v_cndmask_b32_e32 v25, v158, v79, vcc
	v_mul_f32_e32 v79, 0x3fb8aa3b, v23
	v_fma_f32 v80, v23, s43, -v79
	v_rndne_f32_e32 v82, v79
	v_fmac_f32_e32 v80, 0x32a5705f, v23
	v_sub_f32_e32 v79, v79, v82
	v_add_f32_e32 v79, v79, v80
	v_exp_f32_e32 v79, v79
	v_cvt_i32_f32_e32 v80, v82
	v_cmp_ngt_f32_e32 vcc, s63, v23
	v_add_f32_e32 v78, v25, v78
	v_ldexp_f32 v79, v79, v80
	v_cndmask_b32_e32 v79, 0, v79, vcc
	v_cmp_nlt_f32_e32 vcc, s60, v23
	s_nop 1
	v_cndmask_b32_e32 v80, v158, v79, vcc
	v_add_f32_e32 v23, v80, v78
	v_mul_f32_e32 v78, 0x3fb8aa3b, v11
	v_fma_f32 v79, v11, s43, -v78
	v_rndne_f32_e32 v82, v78
	v_fmac_f32_e32 v79, 0x32a5705f, v11
	v_sub_f32_e32 v78, v78, v82
	v_add_f32_e32 v78, v78, v79
	v_exp_f32_e32 v78, v78
	v_cvt_i32_f32_e32 v79, v82
	v_cmp_ngt_f32_e32 vcc, s63, v11
	v_ldexp_f32 v78, v78, v79
	s_nop 0
	v_cndmask_b32_e32 v78, 0, v78, vcc
	v_cmp_nlt_f32_e32 vcc, s60, v11
	s_nop 1
	v_cndmask_b32_e32 v82, v158, v78, vcc
	v_add_f32_e32 v11, v82, v23
	v_mul_f32_e32 v23, 0x3fb8aa3b, v10
	v_fma_f32 v78, v10, s43, -v23
	v_rndne_f32_e32 v79, v23
	v_fmac_f32_e32 v78, 0x32a5705f, v10
	v_sub_f32_e32 v23, v23, v79
	v_add_f32_e32 v23, v23, v78
	v_exp_f32_e32 v23, v23
	v_cvt_i32_f32_e32 v78, v79
	v_cmp_ngt_f32_e32 vcc, s63, v10
	v_ldexp_f32 v23, v23, v78
	s_nop 0
	v_cndmask_b32_e32 v23, 0, v23, vcc
	v_cmp_nlt_f32_e32 vcc, s60, v10
	s_nop 1
	v_cndmask_b32_e32 v83, v158, v23, vcc
	v_add_f32_e32 v10, v83, v11
	v_mul_f32_e32 v11, 0x3fb8aa3b, v9
	v_fma_f32 v23, v9, s43, -v11
	v_rndne_f32_e32 v78, v11
	v_fmac_f32_e32 v23, 0x32a5705f, v9
	v_sub_f32_e32 v11, v11, v78
	v_add_f32_e32 v11, v11, v23
	v_exp_f32_e32 v11, v11
	v_cvt_i32_f32_e32 v23, v78
	v_cmp_ngt_f32_e32 vcc, s63, v9
	v_ldexp_f32 v11, v11, v23
	s_nop 0
	v_cndmask_b32_e32 v11, 0, v11, vcc
	v_cmp_nlt_f32_e32 vcc, s60, v9
	s_nop 1
	v_cndmask_b32_e32 v84, v158, v11, vcc
	v_add_f32_e32 v9, v84, v10
	v_mul_f32_e32 v10, 0x3fb8aa3b, v3
	v_fma_f32 v11, v3, s43, -v10
	v_rndne_f32_e32 v23, v10
	v_fmac_f32_e32 v11, 0x32a5705f, v3
	v_sub_f32_e32 v10, v10, v23
	v_add_f32_e32 v10, v10, v11
	v_exp_f32_e32 v10, v10
	v_cvt_i32_f32_e32 v11, v23
	v_cmp_ngt_f32_e32 vcc, s63, v3
	v_ldexp_f32 v10, v10, v11
	s_nop 0
	v_cndmask_b32_e32 v10, 0, v10, vcc
	v_cmp_nlt_f32_e32 vcc, s60, v3
	s_nop 1
	v_cndmask_b32_e32 v86, v158, v10, vcc
	v_add_f32_e32 v3, v86, v9
	v_mul_f32_e32 v9, 0x3fb8aa3b, v8
	v_fma_f32 v10, v8, s43, -v9
	v_rndne_f32_e32 v11, v9
	v_fmac_f32_e32 v10, 0x32a5705f, v8
	v_sub_f32_e32 v9, v9, v11
	v_add_f32_e32 v9, v9, v10
	v_exp_f32_e32 v9, v9
	v_cvt_i32_f32_e32 v10, v11
	v_cmp_ngt_f32_e32 vcc, s63, v8
	v_ldexp_f32 v9, v9, v10
	s_nop 0
	v_cndmask_b32_e32 v9, 0, v9, vcc
	v_cmp_nlt_f32_e32 vcc, s60, v8
	v_mul_f32_e32 v8, 0x3fb8aa3b, v5
	v_rndne_f32_e32 v10, v8
	v_cndmask_b32_e32 v85, v158, v9, vcc
	v_fma_f32 v9, v5, s43, -v8
	v_fmac_f32_e32 v9, 0x32a5705f, v5
	v_sub_f32_e32 v8, v8, v10
	v_add_f32_e32 v8, v8, v9
	v_exp_f32_e32 v8, v8
	v_cvt_i32_f32_e32 v9, v10
	v_cmp_ngt_f32_e32 vcc, s63, v5
	v_add_f32_e32 v3, v85, v3
	v_ldexp_f32 v8, v8, v9
	v_cndmask_b32_e32 v8, 0, v8, vcc
	v_cmp_nlt_f32_e32 vcc, s60, v5
	v_mul_f32_e32 v5, 0x3fb8aa3b, v4
	v_rndne_f32_e32 v9, v5
	v_cndmask_b32_e32 v87, v158, v8, vcc
	v_fma_f32 v8, v4, s43, -v5
	v_fmac_f32_e32 v8, 0x32a5705f, v4
	v_sub_f32_e32 v5, v5, v9
	v_add_f32_e32 v5, v5, v8
	v_exp_f32_e32 v5, v5
	v_cvt_i32_f32_e32 v8, v9
	v_cmp_ngt_f32_e32 vcc, s63, v4
	v_add_f32_e32 v3, v87, v3
	v_ldexp_f32 v5, v5, v8
	;; [unrolled: 14-line block ×3, first 2 shown]
	v_cndmask_b32_e32 v4, 0, v4, vcc
	v_cmp_nlt_f32_e32 vcc, s60, v2
	v_sub_f32_e32 v2, v167, v14
	s_nop 0
	v_cndmask_b32_e32 v89, v158, v4, vcc
	v_add_f32_e32 v23, v89, v3
	v_mul_f32_e32 v3, 0x3fb8aa3b, v2
	v_fma_f32 v4, v2, s43, -v3
	v_rndne_f32_e32 v5, v3
	v_fmac_f32_e32 v4, 0x32a5705f, v2
	v_sub_f32_e32 v3, v3, v5
	v_add_f32_e32 v3, v3, v4
	v_exp_f32_e32 v3, v3
	v_cvt_i32_f32_e32 v4, v5
	v_cmp_ngt_f32_e32 vcc, s63, v2
	v_ldexp_f32 v3, v3, v4
	s_nop 0
	v_cndmask_b32_e32 v3, 0, v3, vcc
	v_cmp_nlt_f32_e32 vcc, s60, v2
	s_nop 1
	v_cndmask_b32_e32 v3, v158, v3, vcc
	v_cmp_le_f32_e32 vcc, s61, v2
	s_nop 1
	v_cndmask_b32_e32 v2, 0, v3, vcc
	v_fmac_f32_e32 v23, v168, v2
	v_cvt_f16_f32_e32 v2, v2
	v_mul_u32_u24_e32 v2, 0x10001, v2
	v_pk_mul_f16 v93, v102, v2
	v_pk_mul_f16 v92, v101, v2
	;; [unrolled: 1-line block ×10, first 2 shown]
	v_lshl_add_u64 v[2:3], v[46:47], 2, s[76:77]
	v_lshl_add_u64 v[2:3], v[2:3], 0, v[30:31]
	global_load_dwordx4 v[2:5], v[2:3], off
	v_cvt_pk_f16_f32 v20, v82, v83
	s_waitcnt vmcnt(0)
	ds_write_b128 v67, v[2:5]
	v_lshl_add_u64 v[2:3], v[44:45], 2, s[76:77]
	v_lshl_add_u64 v[2:3], v[2:3], 0, v[30:31]
	global_load_dwordx4 v[2:5], v[2:3], off
	s_waitcnt vmcnt(0)
	ds_write_b128 v107, v[2:5]
	s_waitcnt lgkmcnt(0)
	s_barrier
	ds_read_u16 v16, v111 offset:176
	v_cvt_f32_f16_e32 v4, v92
	v_cvt_f32_f16_sdwa v5, v92 dst_sel:DWORD dst_unused:UNUSED_PAD src0_sel:WORD_1
	ds_read_u16 v17, v112
	ds_read_u16 v30, v112 offset:32
	ds_read_u16 v18, v113
	ds_read_u16 v92, v113 offset:32
	v_cvt_f32_f16_e32 v2, v93
	v_cvt_f32_f16_sdwa v3, v93 dst_sel:DWORD dst_unused:UNUSED_PAD src0_sel:WORD_1
	s_waitcnt lgkmcnt(1)
	v_perm_b32 v19, v18, v17, s62
	ds_read_u16 v17, v111
	ds_read_u16 v93, v111 offset:32
	s_waitcnt lgkmcnt(2)
	v_perm_b32 v83, v92, v30, s62
	s_waitcnt lgkmcnt(1)
	v_perm_b32 v18, v16, v17, s62
	v_cvt_pk_f16_f32 v17, v12, v21
	v_cvt_pk_f16_f32 v16, v6, v7
	;; [unrolled: 1-line block ×3, first 2 shown]
	v_cvt_f32_f16_e32 v84, v8
	v_mfma_f32_16x16x16_f16 v[2:5], v[18:19], v[16:17], v[2:5]
	ds_read_u16 v6, v111 offset:2816
	ds_read_u16 v12, v111 offset:2992
	;; [unrolled: 1-line block ×4, first 2 shown]
	v_cvt_pk_f16_f32 v19, v25, v80
	s_nop 2
	v_cvt_f16_f32_e32 v2, v2
	v_cvt_f16_f32_e32 v3, v3
	;; [unrolled: 1-line block ×4, first 2 shown]
	s_waitcnt lgkmcnt(0)
	v_perm_b32 v7, v18, v7, s62
	v_perm_b32 v6, v12, v6, s62
	v_cvt_f32_f16_e32 v2, v2
	v_cvt_f32_f16_e32 v3, v3
	;; [unrolled: 1-line block ×4, first 2 shown]
	v_cvt_pk_f16_f32 v18, v13, v24
	s_nop 1
	v_mfma_f32_16x16x16_f16 v[2:5], v[6:7], v[18:19], v[2:5]
	ds_read_u16 v6, v111 offset:5632
	ds_read_u16 v12, v111 offset:5808
	;; [unrolled: 1-line block ×4, first 2 shown]
	s_waitcnt lgkmcnt(2)
	v_perm_b32 v6, v12, v6, s62
	s_nop 1
	v_cvt_f16_f32_e32 v2, v2
	v_cvt_f16_f32_e32 v3, v3
	;; [unrolled: 1-line block ×4, first 2 shown]
	s_waitcnt lgkmcnt(0)
	v_perm_b32 v7, v13, v7, s62
	v_cvt_f32_f16_e32 v2, v2
	v_cvt_f32_f16_e32 v3, v3
	;; [unrolled: 1-line block ×4, first 2 shown]
	s_nop 1
	v_mfma_f32_16x16x16_f16 v[2:5], v[6:7], v[20:21], v[2:5]
	ds_read_u16 v6, v111 offset:8448
	ds_read_u16 v12, v111 offset:8624
	;; [unrolled: 1-line block ×5, first 2 shown]
	s_nop 2
	v_cvt_f16_f32_e32 v2, v2
	v_cvt_f16_f32_e32 v3, v3
	v_cvt_f16_f32_e32 v4, v4
	v_cvt_f16_f32_e32 v5, v5
	s_waitcnt lgkmcnt(1)
	v_perm_b32 v7, v13, v7, s62
	v_perm_b32 v6, v12, v6, s62
	v_cvt_f32_f16_e32 v2, v2
	v_cvt_f32_f16_e32 v3, v3
	;; [unrolled: 1-line block ×4, first 2 shown]
	v_cvt_pk_f16_f32 v13, v88, v89
	v_cvt_pk_f16_f32 v12, v85, v87
	s_waitcnt lgkmcnt(0)
	v_perm_b32 v82, v25, v93, s62
	v_cvt_f32_f16_sdwa v85, v8 dst_sel:DWORD dst_unused:UNUSED_PAD src0_sel:WORD_1
	v_mfma_f32_16x16x16_f16 v[2:5], v[6:7], v[12:13], v[2:5]
	v_cvt_f32_f16_e32 v6, v90
	v_cvt_f32_f16_sdwa v7, v90 dst_sel:DWORD dst_unused:UNUSED_PAD src0_sel:WORD_1
	s_nop 5
	v_cvt_f16_f32_e32 v4, v4
	v_cvt_f16_f32_e32 v5, v5
	v_perm_b32 v24, v5, v4, s62
	v_cvt_f32_f16_e32 v4, v91
	v_cvt_f32_f16_sdwa v5, v91 dst_sel:DWORD dst_unused:UNUSED_PAD src0_sel:WORD_1
	s_nop 1
	v_mfma_f32_16x16x16_f16 v[4:7], v[82:83], v[16:17], v[4:7]
	ds_read_u16 v25, v111 offset:2848
	ds_read_u16 v30, v111 offset:3024
	ds_read_u16 v80, v112 offset:2848
	ds_read_u16 v82, v113 offset:2848
	s_nop 3
	v_cvt_f16_f32_e32 v4, v4
	v_cvt_f16_f32_e32 v5, v5
	v_cvt_f16_f32_e32 v6, v6
	v_cvt_f16_f32_e32 v7, v7
	s_waitcnt lgkmcnt(0)
	v_perm_b32 v83, v82, v80, s62
	v_perm_b32 v82, v30, v25, s62
	v_cvt_f32_f16_e32 v4, v4
	v_cvt_f32_f16_e32 v5, v5
	v_cvt_f32_f16_e32 v6, v6
	v_cvt_f32_f16_e32 v7, v7
	s_nop 1
	v_mfma_f32_16x16x16_f16 v[4:7], v[82:83], v[18:19], v[4:7]
	ds_read_u16 v25, v111 offset:5664
	ds_read_u16 v30, v111 offset:5840
	ds_read_u16 v80, v112 offset:5664
	ds_read_u16 v82, v113 offset:5664
	s_nop 3
	v_cvt_f16_f32_e32 v4, v4
	v_cvt_f16_f32_e32 v5, v5
	v_cvt_f16_f32_e32 v6, v6
	v_cvt_f16_f32_e32 v7, v7
	s_waitcnt lgkmcnt(0)
	v_perm_b32 v83, v82, v80, s62
	v_perm_b32 v82, v30, v25, s62
	v_cvt_f32_f16_e32 v4, v4
	v_cvt_f32_f16_e32 v5, v5
	v_cvt_f32_f16_e32 v6, v6
	v_cvt_f32_f16_e32 v7, v7
	;; [unrolled: 18-line block ×3, first 2 shown]
	s_nop 1
	v_mfma_f32_16x16x16_f16 v[4:7], v[82:83], v[12:13], v[4:7]
	v_cvt_f32_f16_e32 v82, v9
	v_cvt_f32_f16_sdwa v83, v9 dst_sel:DWORD dst_unused:UNUSED_PAD src0_sel:WORD_1
	s_nop 5
	v_cvt_f16_f32_e32 v6, v6
	v_cvt_f16_f32_e32 v7, v7
	v_perm_b32 v25, v7, v6, s62
	ds_read_u16 v6, v111 offset:64
	ds_read_u16 v30, v111 offset:240
	ds_read_u16 v7, v112 offset:64
	ds_read_u16 v80, v113 offset:64
	s_waitcnt lgkmcnt(2)
	v_perm_b32 v6, v30, v6, s62
	s_waitcnt lgkmcnt(0)
	v_perm_b32 v7, v80, v7, s62
	s_nop 1
	v_mfma_f32_16x16x16_f16 v[6:9], v[6:7], v[16:17], v[82:85]
	ds_read_u16 v30, v111 offset:2880
	ds_read_u16 v80, v111 offset:3056
	s_nop 0
	ds_read_u16 v82, v112 offset:2880
	ds_read_u16 v83, v113 offset:2880
	v_cvt_f32_f16_e32 v84, v10
	v_cvt_f32_f16_sdwa v85, v10 dst_sel:DWORD dst_unused:UNUSED_PAD src0_sel:WORD_1
	s_nop 0
	v_cvt_f16_f32_e32 v6, v6
	v_cvt_f16_f32_e32 v7, v7
	v_cvt_f16_f32_e32 v8, v8
	v_cvt_f16_f32_e32 v9, v9
	s_waitcnt lgkmcnt(0)
	v_perm_b32 v83, v83, v82, s62
	v_perm_b32 v82, v80, v30, s62
	v_cvt_f32_f16_e32 v6, v6
	v_cvt_f32_f16_e32 v7, v7
	;; [unrolled: 1-line block ×4, first 2 shown]
	s_nop 1
	v_mfma_f32_16x16x16_f16 v[6:9], v[82:83], v[18:19], v[6:9]
	ds_read_u16 v30, v111 offset:5696
	ds_read_u16 v80, v111 offset:5872
	;; [unrolled: 1-line block ×4, first 2 shown]
	s_nop 3
	v_cvt_f16_f32_e32 v6, v6
	v_cvt_f16_f32_e32 v7, v7
	;; [unrolled: 1-line block ×4, first 2 shown]
	s_waitcnt lgkmcnt(0)
	v_perm_b32 v83, v83, v82, s62
	v_perm_b32 v82, v80, v30, s62
	v_cvt_f32_f16_e32 v6, v6
	v_cvt_f32_f16_e32 v7, v7
	;; [unrolled: 1-line block ×4, first 2 shown]
	s_nop 1
	v_mfma_f32_16x16x16_f16 v[6:9], v[82:83], v[20:21], v[6:9]
	ds_read_u16 v30, v111 offset:8512
	ds_read_u16 v80, v111 offset:8688
	;; [unrolled: 1-line block ×4, first 2 shown]
	s_nop 3
	v_cvt_f16_f32_e32 v6, v6
	v_cvt_f16_f32_e32 v7, v7
	;; [unrolled: 1-line block ×4, first 2 shown]
	s_waitcnt lgkmcnt(0)
	v_perm_b32 v83, v83, v82, s62
	v_perm_b32 v82, v80, v30, s62
	v_cvt_f32_f16_e32 v6, v6
	v_cvt_f32_f16_e32 v7, v7
	;; [unrolled: 1-line block ×4, first 2 shown]
	s_nop 1
	v_mfma_f32_16x16x16_f16 v[6:9], v[82:83], v[12:13], v[6:9]
	v_cvt_f32_f16_e32 v82, v11
	v_cvt_f32_f16_sdwa v83, v11 dst_sel:DWORD dst_unused:UNUSED_PAD src0_sel:WORD_1
	s_nop 5
	v_cvt_f16_f32_e32 v8, v8
	v_cvt_f16_f32_e32 v9, v9
	v_perm_b32 v30, v9, v8, s62
	ds_read_u16 v8, v111 offset:96
	ds_read_u16 v80, v111 offset:272
	;; [unrolled: 1-line block ×4, first 2 shown]
	s_waitcnt lgkmcnt(2)
	v_perm_b32 v8, v80, v8, s62
	s_waitcnt lgkmcnt(0)
	v_perm_b32 v9, v86, v9, s62
	s_nop 1
	v_mfma_f32_16x16x16_f16 v[8:11], v[8:9], v[16:17], v[82:85]
	ds_read_u16 v80, v111 offset:2912
	s_nop 1
	ds_read_u16 v82, v111 offset:3088
	ds_read_u16 v83, v112 offset:2912
	;; [unrolled: 1-line block ×3, first 2 shown]
	v_cvt_f32_f16_sdwa v85, v78 dst_sel:DWORD dst_unused:UNUSED_PAD src0_sel:WORD_1
	s_nop 0
	v_cvt_f16_f32_e32 v8, v8
	v_cvt_f16_f32_e32 v9, v9
	;; [unrolled: 1-line block ×4, first 2 shown]
	s_waitcnt lgkmcnt(0)
	v_perm_b32 v83, v84, v83, s62
	v_perm_b32 v82, v82, v80, s62
	v_cvt_f32_f16_e32 v8, v8
	v_cvt_f32_f16_e32 v9, v9
	v_cvt_f32_f16_e32 v10, v10
	v_cvt_f32_f16_e32 v11, v11
	s_nop 1
	v_mfma_f32_16x16x16_f16 v[8:11], v[82:83], v[18:19], v[8:11]
	ds_read_u16 v80, v111 offset:5728
	ds_read_u16 v82, v111 offset:5904
	ds_read_u16 v83, v112 offset:5728
	ds_read_u16 v84, v113 offset:5728
	s_nop 3
	v_cvt_f16_f32_e32 v8, v8
	v_cvt_f16_f32_e32 v9, v9
	v_cvt_f16_f32_e32 v10, v10
	v_cvt_f16_f32_e32 v11, v11
	s_waitcnt lgkmcnt(0)
	v_perm_b32 v83, v84, v83, s62
	v_perm_b32 v82, v82, v80, s62
	v_cvt_f32_f16_e32 v8, v8
	v_cvt_f32_f16_e32 v9, v9
	;; [unrolled: 1-line block ×4, first 2 shown]
	s_nop 1
	v_mfma_f32_16x16x16_f16 v[8:11], v[82:83], v[20:21], v[8:11]
	ds_read_u16 v80, v111 offset:8544
	ds_read_u16 v82, v111 offset:8720
	ds_read_u16 v83, v112 offset:8544
	ds_read_u16 v84, v113 offset:8544
	s_nop 3
	v_cvt_f16_f32_e32 v8, v8
	v_cvt_f16_f32_e32 v9, v9
	v_cvt_f16_f32_e32 v10, v10
	v_cvt_f16_f32_e32 v11, v11
	s_waitcnt lgkmcnt(0)
	v_perm_b32 v83, v84, v83, s62
	v_perm_b32 v82, v82, v80, s62
	v_cvt_f32_f16_e32 v8, v8
	v_cvt_f32_f16_e32 v9, v9
	;; [unrolled: 1-line block ×5, first 2 shown]
	s_nop 0
	v_mfma_f32_16x16x16_f16 v[8:11], v[82:83], v[12:13], v[8:11]
	v_cvt_f32_f16_e32 v82, v79
	v_cvt_f32_f16_sdwa v83, v79 dst_sel:DWORD dst_unused:UNUSED_PAD src0_sel:WORD_1
	s_nop 5
	v_cvt_f16_f32_e32 v10, v10
	v_cvt_f16_f32_e32 v11, v11
	v_perm_b32 v80, v11, v10, s62
	ds_read_u16 v10, v111 offset:128
	ds_read_u16 v86, v111 offset:304
	;; [unrolled: 1-line block ×4, first 2 shown]
	s_waitcnt lgkmcnt(2)
	v_perm_b32 v10, v86, v10, s62
	s_waitcnt lgkmcnt(0)
	v_perm_b32 v11, v87, v11, s62
	ds_read_u16 v78, v111 offset:2944
	ds_read_u16 v79, v111 offset:3120
	;; [unrolled: 1-line block ×4, first 2 shown]
	v_mfma_f32_16x16x16_f16 v[82:85], v[10:11], v[16:17], v[82:85]
	s_nop 7
	v_cvt_f16_f32_e32 v10, v82
	v_cvt_f16_f32_e32 v11, v83
	;; [unrolled: 1-line block ×4, first 2 shown]
	v_cvt_f32_f16_e32 v82, v10
	v_cvt_f32_f16_e32 v83, v11
	s_waitcnt lgkmcnt(0)
	v_perm_b32 v11, v87, v86, s62
	v_perm_b32 v10, v79, v78, s62
	v_cvt_f32_f16_e32 v84, v16
	v_cvt_f32_f16_e32 v85, v17
	s_nop 1
	v_mfma_f32_16x16x16_f16 v[16:19], v[10:11], v[18:19], v[82:85]
	ds_read_u16 v78, v111 offset:5760
	ds_read_u16 v79, v111 offset:5936
	s_nop 0
	ds_read_u16 v82, v112 offset:5760
	ds_read_u16 v83, v113 offset:5760
	s_nop 2
	v_cvt_f16_f32_e32 v10, v16
	v_cvt_f16_f32_e32 v11, v17
	;; [unrolled: 1-line block ×4, first 2 shown]
	v_cvt_f32_f16_e32 v16, v10
	v_cvt_f32_f16_e32 v17, v11
	s_waitcnt lgkmcnt(0)
	v_perm_b32 v11, v83, v82, s62
	v_perm_b32 v10, v79, v78, s62
	v_cvt_f32_f16_e32 v18, v18
	v_cvt_f32_f16_e32 v19, v19
	s_nop 1
	v_mfma_f32_16x16x16_f16 v[16:19], v[10:11], v[20:21], v[16:19]
	ds_read_u16 v10, v111 offset:8576
	ds_read_u16 v11, v111 offset:8752
	;; [unrolled: 1-line block ×4, first 2 shown]
	s_waitcnt lgkmcnt(0)
	s_barrier
	s_nop 1
	v_cvt_f16_f32_e32 v16, v16
	v_cvt_f16_f32_e32 v17, v17
	;; [unrolled: 1-line block ×4, first 2 shown]
	v_perm_b32 v21, v21, v20, s62
	v_perm_b32 v20, v11, v10, s62
	v_cvt_f32_f16_e32 v16, v16
	v_cvt_f32_f16_e32 v17, v17
	;; [unrolled: 1-line block ×4, first 2 shown]
	s_nop 1
	v_mfma_f32_16x16x16_f16 v[10:13], v[20:21], v[12:13], v[16:19]
	s_nop 7
	v_cvt_f16_f32_e32 v12, v12
	v_cvt_f16_f32_e32 v13, v13
	v_perm_b32 v12, v13, v12, s62
	ds_bpermute_b32 v13, v15, v23
	s_waitcnt lgkmcnt(0)
	v_add_f32_e32 v13, v23, v13
	ds_bpermute_b32 v15, v22, v13
	s_waitcnt lgkmcnt(0)
	v_add_f32_e32 v15, v13, v15
	s_cbranch_scc1 .LBB9_182
; %bb.181:                              ;   in Loop: Header=BB9_13 Depth=1
	v_cvt_pk_f16_f32 v3, v2, v3
	v_lshlrev_b32_e32 v2, 2, v64
	v_cvt_pk_f16_f32 v4, v4, v5
	global_load_dword v5, v2, s[74:75]
	v_cvt_pk_f16_f32 v6, v6, v7
	v_cvt_pk_f16_f32 v7, v8, v9
	v_max_f32_e32 v9, v14, v14
	v_cvt_pk_f16_f32 v8, v10, v11
	s_waitcnt vmcnt(0)
	v_max_f32_e32 v2, v5, v5
	v_max_f32_e32 v2, v9, v2
	v_sub_f32_e32 v9, v14, v2
	v_mul_f32_e32 v10, 0x3fb8aa3b, v9
	v_fma_f32 v11, v9, s43, -v10
	v_rndne_f32_e32 v13, v10
	v_fmac_f32_e32 v11, 0x32a5705f, v9
	v_sub_f32_e32 v10, v10, v13
	v_add_f32_e32 v10, v10, v11
	v_exp_f32_e32 v10, v10
	v_cvt_i32_f32_e32 v11, v13
	v_cmp_ngt_f32_e32 vcc, s63, v9
	v_ldexp_f32 v10, v10, v11
	s_nop 0
	v_cndmask_b32_e32 v10, 0, v10, vcc
	v_cmp_nlt_f32_e32 vcc, s60, v9
	s_nop 1
	v_cndmask_b32_e32 v10, v158, v10, vcc
	v_cmp_le_f32_e32 vcc, s61, v9
	s_nop 1
	v_cndmask_b32_e32 v9, 0, v10, vcc
	v_sub_f32_e32 v10, v5, v2
	v_cvt_f16_f32_e32 v5, v9
	v_cmp_ngt_f32_e32 vcc, s63, v10
	v_mul_u32_u24_e32 v11, 0x10001, v5
	v_pk_mul_f16 v5, v3, v11
	v_mul_f32_e32 v3, 0x3fb8aa3b, v10
	v_pk_mul_f16 v24, v24, v11
	v_pk_mul_f16 v4, v4, v11
	;; [unrolled: 1-line block ×9, first 2 shown]
	v_fma_f32 v11, v10, s43, -v3
	v_rndne_f32_e32 v13, v3
	v_fmac_f32_e32 v11, 0x32a5705f, v10
	v_sub_f32_e32 v3, v3, v13
	v_add_f32_e32 v3, v3, v11
	v_exp_f32_e32 v3, v3
	v_cvt_i32_f32_e32 v11, v13
	v_ldexp_f32 v3, v3, v11
	v_cndmask_b32_e32 v3, 0, v3, vcc
	v_cmp_nlt_f32_e32 vcc, s60, v10
	s_nop 1
	v_cndmask_b32_e32 v3, v158, v3, vcc
	v_fmac_f32_e32 v3, v15, v9
	v_mov_b64_e32 v[14:15], v[2:3]
	s_branch .LBB9_183
.LBB9_182:                              ;   in Loop: Header=BB9_13 Depth=1
	v_cvt_f16_f32_e32 v2, v2
	v_cvt_f16_f32_e32 v3, v3
	;; [unrolled: 1-line block ×10, first 2 shown]
	v_perm_b32 v4, v5, v4, s62
	v_perm_b32 v5, v3, v2, s62
	;; [unrolled: 1-line block ×5, first 2 shown]
.LBB9_183:                              ;   in Loop: Header=BB9_13 Depth=1
	s_mov_b64 s[74:75], exec
	v_readlane_b32 s4, v187, 18
	v_readlane_b32 s5, v187, 19
	s_and_b64 s[4:5], s[74:75], s[4:5]
	s_mov_b64 exec, s[4:5]
; %bb.184:                              ;   in Loop: Header=BB9_13 Depth=1
	ds_write2_b32 v132, v14, v15 offset0:40 offset1:41
; %bb.185:                              ;   in Loop: Header=BB9_13 Depth=1
	s_or_b64 exec, exec, s[74:75]
	v_mov_b32_e32 v2, 50
	s_waitcnt lgkmcnt(0)
	s_barrier
	ds_write2_b32 v114, v5, v24 offset1:1
	ds_write2_b32 v114, v4, v25 offset0:8 offset1:9
	ds_write2_b32 v114, v6, v30 offset0:16 offset1:17
	;; [unrolled: 1-line block ×4, first 2 shown]
	s_waitcnt lgkmcnt(0)
	s_barrier
	s_and_saveexec_b64 s[74:75], s[96:97]
	s_cbranch_execz .LBB9_187
; %bb.186:                              ;   in Loop: Header=BB9_13 Depth=1
	ds_read_b32 v6, v144 offset:164
	ds_read_b32 v4, v145
	v_mad_u64_u32 v[2:3], s[4:5], v166, s29, v[66:67]
	v_mad_u64_u32 v[2:3], s[4:5], v2, 40, v[26:27]
	s_waitcnt lgkmcnt(0)
	v_cvt_f32_f16_sdwa v5, v4 dst_sel:DWORD dst_unused:UNUSED_PAD src0_sel:WORD_1
	v_cvt_f32_f16_e32 v4, v4
	v_ashrrev_i32_e32 v3, 31, v2
	v_lshl_add_u64 v[2:3], v[2:3], 3, s[72:73]
	v_pk_add_f32 v[4:5], v[4:5], 0 op_sel_hi:[1,0]
	s_nop 0
	v_div_scale_f32 v7, s[4:5], v6, v6, v5
	v_rcp_f32_e32 v8, v7
	s_nop 0
	v_fma_f32 v9, -v7, v8, 1.0
	v_fmac_f32_e32 v8, v9, v8
	v_div_scale_f32 v9, vcc, v5, v6, v5
	v_mul_f32_e32 v10, v9, v8
	v_fma_f32 v11, -v7, v10, v9
	v_fmac_f32_e32 v10, v11, v8
	v_fma_f32 v7, -v7, v10, v9
	v_div_fmas_f32 v7, v7, v8, v10
	v_div_fixup_f32 v5, v7, v6, v5
	v_div_scale_f32 v7, s[4:5], v6, v6, v4
	v_rcp_f32_e32 v8, v7
	s_nop 0
	v_fma_f32 v9, -v7, v8, 1.0
	v_fmac_f32_e32 v8, v9, v8
	v_div_scale_f32 v9, vcc, v4, v6, v4
	v_mul_f32_e32 v10, v9, v8
	v_fma_f32 v11, -v7, v10, v9
	v_fmac_f32_e32 v10, v11, v8
	v_fma_f32 v7, -v7, v10, v9
	v_div_fmas_f32 v7, v7, v8, v10
	v_div_fixup_f32 v4, v7, v6, v4
	global_store_dwordx2 v[2:3], v[4:5], off
	v_mov_b32_e32 v2, 0
.LBB9_187:                              ;   in Loop: Header=BB9_13 Depth=1
	s_or_b64 exec, exec, s[74:75]
	v_cmp_gt_i32_e32 vcc, 50, v2
	s_mov_b64 s[76:77], -1
	s_and_saveexec_b64 s[74:75], vcc
; %bb.188:                              ;   in Loop: Header=BB9_13 Depth=1
	v_cmp_eq_u32_e32 vcc, 0, v2
	s_orn2_b64 s[76:77], vcc, exec
; %bb.189:                              ;   in Loop: Header=BB9_13 Depth=1
	s_or_b64 exec, exec, s[74:75]
	s_and_saveexec_b64 s[74:75], s[76:77]
	s_cbranch_execz .LBB9_222
; %bb.190:                              ;   in Loop: Header=BB9_13 Depth=1
	v_mov_b32_e32 v2, 50
	s_and_saveexec_b64 s[76:77], s[94:95]
	s_cbranch_execz .LBB9_192
; %bb.191:                              ;   in Loop: Header=BB9_13 Depth=1
	ds_read_b32 v6, v146 offset:164
	ds_read_b32 v4, v147
	v_mad_u64_u32 v[2:3], s[4:5], v165, s29, v[66:67]
	v_mad_u64_u32 v[2:3], s[4:5], v2, 40, v[26:27]
	s_waitcnt lgkmcnt(0)
	v_cvt_f32_f16_sdwa v5, v4 dst_sel:DWORD dst_unused:UNUSED_PAD src0_sel:WORD_1
	v_cvt_f32_f16_e32 v4, v4
	v_ashrrev_i32_e32 v3, 31, v2
	v_lshl_add_u64 v[2:3], v[2:3], 3, s[72:73]
	v_pk_add_f32 v[4:5], v[4:5], 0 op_sel_hi:[1,0]
	s_nop 0
	v_div_scale_f32 v7, s[4:5], v6, v6, v5
	v_rcp_f32_e32 v8, v7
	s_nop 0
	v_fma_f32 v9, -v7, v8, 1.0
	v_fmac_f32_e32 v8, v9, v8
	v_div_scale_f32 v9, vcc, v5, v6, v5
	v_mul_f32_e32 v10, v9, v8
	v_fma_f32 v11, -v7, v10, v9
	v_fmac_f32_e32 v10, v11, v8
	v_fma_f32 v7, -v7, v10, v9
	v_div_fmas_f32 v7, v7, v8, v10
	v_div_fixup_f32 v5, v7, v6, v5
	v_div_scale_f32 v7, s[4:5], v6, v6, v4
	v_rcp_f32_e32 v8, v7
	s_nop 0
	v_fma_f32 v9, -v7, v8, 1.0
	v_fmac_f32_e32 v8, v9, v8
	v_div_scale_f32 v9, vcc, v4, v6, v4
	v_mul_f32_e32 v10, v9, v8
	v_fma_f32 v11, -v7, v10, v9
	v_fmac_f32_e32 v10, v11, v8
	v_fma_f32 v7, -v7, v10, v9
	v_div_fmas_f32 v7, v7, v8, v10
	v_div_fixup_f32 v4, v7, v6, v4
	global_store_dwordx2 v[2:3], v[4:5], off
	v_mov_b32_e32 v2, 0
.LBB9_192:                              ;   in Loop: Header=BB9_13 Depth=1
	s_or_b64 exec, exec, s[76:77]
	v_cmp_gt_i32_e32 vcc, 50, v2
	s_mov_b64 s[76:77], -1
	s_and_saveexec_b64 s[78:79], vcc
; %bb.193:                              ;   in Loop: Header=BB9_13 Depth=1
	v_cmp_eq_u32_e32 vcc, 0, v2
	s_orn2_b64 s[76:77], vcc, exec
; %bb.194:                              ;   in Loop: Header=BB9_13 Depth=1
	s_or_b64 exec, exec, s[78:79]
	s_and_b64 exec, exec, s[76:77]
	s_cbranch_execz .LBB9_222
; %bb.195:                              ;   in Loop: Header=BB9_13 Depth=1
	v_mov_b32_e32 v2, 50
	s_and_saveexec_b64 s[76:77], s[92:93]
	s_cbranch_execz .LBB9_197
; %bb.196:                              ;   in Loop: Header=BB9_13 Depth=1
	ds_read_b32 v6, v125 offset:164
	ds_read_b32 v4, v148
	v_mad_u64_u32 v[2:3], s[4:5], v164, s29, v[66:67]
	v_mad_u64_u32 v[2:3], s[4:5], v2, 40, v[26:27]
	s_waitcnt lgkmcnt(0)
	v_cvt_f32_f16_sdwa v5, v4 dst_sel:DWORD dst_unused:UNUSED_PAD src0_sel:WORD_1
	v_cvt_f32_f16_e32 v4, v4
	v_ashrrev_i32_e32 v3, 31, v2
	v_lshl_add_u64 v[2:3], v[2:3], 3, s[72:73]
	v_pk_add_f32 v[4:5], v[4:5], 0 op_sel_hi:[1,0]
	s_nop 0
	v_div_scale_f32 v7, s[4:5], v6, v6, v5
	v_rcp_f32_e32 v8, v7
	s_nop 0
	v_fma_f32 v9, -v7, v8, 1.0
	v_fmac_f32_e32 v8, v9, v8
	v_div_scale_f32 v9, vcc, v5, v6, v5
	v_mul_f32_e32 v10, v9, v8
	v_fma_f32 v11, -v7, v10, v9
	v_fmac_f32_e32 v10, v11, v8
	v_fma_f32 v7, -v7, v10, v9
	v_div_fmas_f32 v7, v7, v8, v10
	v_div_fixup_f32 v5, v7, v6, v5
	v_div_scale_f32 v7, s[4:5], v6, v6, v4
	v_rcp_f32_e32 v8, v7
	s_nop 0
	v_fma_f32 v9, -v7, v8, 1.0
	v_fmac_f32_e32 v8, v9, v8
	v_div_scale_f32 v9, vcc, v4, v6, v4
	v_mul_f32_e32 v10, v9, v8
	v_fma_f32 v11, -v7, v10, v9
	v_fmac_f32_e32 v10, v11, v8
	v_fma_f32 v7, -v7, v10, v9
	v_div_fmas_f32 v7, v7, v8, v10
	v_div_fixup_f32 v4, v7, v6, v4
	global_store_dwordx2 v[2:3], v[4:5], off
	v_mov_b32_e32 v2, 0
.LBB9_197:                              ;   in Loop: Header=BB9_13 Depth=1
	s_or_b64 exec, exec, s[76:77]
	v_cmp_gt_i32_e32 vcc, 50, v2
	s_mov_b64 s[76:77], -1
	s_and_saveexec_b64 s[78:79], vcc
; %bb.198:                              ;   in Loop: Header=BB9_13 Depth=1
	v_cmp_eq_u32_e32 vcc, 0, v2
	s_orn2_b64 s[76:77], vcc, exec
; %bb.199:                              ;   in Loop: Header=BB9_13 Depth=1
	s_or_b64 exec, exec, s[78:79]
	s_and_b64 exec, exec, s[76:77]
	;; [unrolled: 54-line block ×3, first 2 shown]
	s_cbranch_execz .LBB9_222
; %bb.205:                              ;   in Loop: Header=BB9_13 Depth=1
	v_mov_b32_e32 v2, 50
	s_mov_b64 s[76:77], exec
	v_readlane_b32 s4, v187, 32
	v_readlane_b32 s5, v187, 33
	s_and_b64 s[4:5], s[76:77], s[4:5]
	s_mov_b64 exec, s[4:5]
	s_cbranch_execz .LBB9_207
; %bb.206:                              ;   in Loop: Header=BB9_13 Depth=1
	ds_read_b32 v6, v126 offset:164
	ds_read_b32 v4, v151
	v_mad_u64_u32 v[2:3], s[4:5], v162, s29, v[66:67]
	v_mad_u64_u32 v[2:3], s[4:5], v2, 40, v[26:27]
	s_waitcnt lgkmcnt(0)
	v_cvt_f32_f16_sdwa v5, v4 dst_sel:DWORD dst_unused:UNUSED_PAD src0_sel:WORD_1
	v_cvt_f32_f16_e32 v4, v4
	v_ashrrev_i32_e32 v3, 31, v2
	v_lshl_add_u64 v[2:3], v[2:3], 3, s[72:73]
	v_pk_add_f32 v[4:5], v[4:5], 0 op_sel_hi:[1,0]
	s_nop 0
	v_div_scale_f32 v7, s[4:5], v6, v6, v5
	v_rcp_f32_e32 v8, v7
	s_nop 0
	v_fma_f32 v9, -v7, v8, 1.0
	v_fmac_f32_e32 v8, v9, v8
	v_div_scale_f32 v9, vcc, v5, v6, v5
	v_mul_f32_e32 v10, v9, v8
	v_fma_f32 v11, -v7, v10, v9
	v_fmac_f32_e32 v10, v11, v8
	v_fma_f32 v7, -v7, v10, v9
	v_div_fmas_f32 v7, v7, v8, v10
	v_div_fixup_f32 v5, v7, v6, v5
	v_div_scale_f32 v7, s[4:5], v6, v6, v4
	v_rcp_f32_e32 v8, v7
	s_nop 0
	v_fma_f32 v9, -v7, v8, 1.0
	v_fmac_f32_e32 v8, v9, v8
	v_div_scale_f32 v9, vcc, v4, v6, v4
	v_mul_f32_e32 v10, v9, v8
	v_fma_f32 v11, -v7, v10, v9
	v_fmac_f32_e32 v10, v11, v8
	v_fma_f32 v7, -v7, v10, v9
	v_div_fmas_f32 v7, v7, v8, v10
	v_div_fixup_f32 v4, v7, v6, v4
	global_store_dwordx2 v[2:3], v[4:5], off
	v_mov_b32_e32 v2, 0
.LBB9_207:                              ;   in Loop: Header=BB9_13 Depth=1
	s_or_b64 exec, exec, s[76:77]
	v_cmp_gt_i32_e32 vcc, 50, v2
	s_mov_b64 s[76:77], -1
	s_and_saveexec_b64 s[78:79], vcc
; %bb.208:                              ;   in Loop: Header=BB9_13 Depth=1
	v_cmp_eq_u32_e32 vcc, 0, v2
	s_orn2_b64 s[76:77], vcc, exec
; %bb.209:                              ;   in Loop: Header=BB9_13 Depth=1
	s_or_b64 exec, exec, s[78:79]
	s_and_b64 exec, exec, s[76:77]
	s_cbranch_execz .LBB9_222
; %bb.210:                              ;   in Loop: Header=BB9_13 Depth=1
	v_mov_b32_e32 v2, 50
	s_mov_b64 s[76:77], exec
	v_readlane_b32 s4, v187, 34
	v_readlane_b32 s5, v187, 35
	s_and_b64 s[4:5], s[76:77], s[4:5]
	s_mov_b64 exec, s[4:5]
	s_cbranch_execz .LBB9_212
; %bb.211:                              ;   in Loop: Header=BB9_13 Depth=1
	ds_read_b32 v6, v152 offset:164
	ds_read_b32 v4, v153
	v_mad_u64_u32 v[2:3], s[4:5], v161, s29, v[66:67]
	v_mad_u64_u32 v[2:3], s[4:5], v2, 40, v[26:27]
	s_waitcnt lgkmcnt(0)
	v_cvt_f32_f16_sdwa v5, v4 dst_sel:DWORD dst_unused:UNUSED_PAD src0_sel:WORD_1
	v_cvt_f32_f16_e32 v4, v4
	v_ashrrev_i32_e32 v3, 31, v2
	v_lshl_add_u64 v[2:3], v[2:3], 3, s[72:73]
	v_pk_add_f32 v[4:5], v[4:5], 0 op_sel_hi:[1,0]
	s_nop 0
	v_div_scale_f32 v7, s[4:5], v6, v6, v5
	v_rcp_f32_e32 v8, v7
	s_nop 0
	v_fma_f32 v9, -v7, v8, 1.0
	v_fmac_f32_e32 v8, v9, v8
	v_div_scale_f32 v9, vcc, v5, v6, v5
	v_mul_f32_e32 v10, v9, v8
	v_fma_f32 v11, -v7, v10, v9
	v_fmac_f32_e32 v10, v11, v8
	v_fma_f32 v7, -v7, v10, v9
	v_div_fmas_f32 v7, v7, v8, v10
	v_div_fixup_f32 v5, v7, v6, v5
	v_div_scale_f32 v7, s[4:5], v6, v6, v4
	v_rcp_f32_e32 v8, v7
	s_nop 0
	v_fma_f32 v9, -v7, v8, 1.0
	v_fmac_f32_e32 v8, v9, v8
	v_div_scale_f32 v9, vcc, v4, v6, v4
	v_mul_f32_e32 v10, v9, v8
	v_fma_f32 v11, -v7, v10, v9
	v_fmac_f32_e32 v10, v11, v8
	v_fma_f32 v7, -v7, v10, v9
	v_div_fmas_f32 v7, v7, v8, v10
	v_div_fixup_f32 v4, v7, v6, v4
	global_store_dwordx2 v[2:3], v[4:5], off
	v_mov_b32_e32 v2, 0
.LBB9_212:                              ;   in Loop: Header=BB9_13 Depth=1
	s_or_b64 exec, exec, s[76:77]
	v_cmp_gt_i32_e32 vcc, 50, v2
	s_mov_b64 s[76:77], -1
	s_and_saveexec_b64 s[78:79], vcc
; %bb.213:                              ;   in Loop: Header=BB9_13 Depth=1
	v_cmp_eq_u32_e32 vcc, 0, v2
	s_orn2_b64 s[76:77], vcc, exec
; %bb.214:                              ;   in Loop: Header=BB9_13 Depth=1
	s_or_b64 exec, exec, s[78:79]
	s_and_b64 exec, exec, s[76:77]
	;; [unrolled: 58-line block ×3, first 2 shown]
	s_cbranch_execz .LBB9_222
; %bb.220:                              ;   in Loop: Header=BB9_13 Depth=1
	v_readlane_b32 s4, v187, 38
	v_readlane_b32 s5, v187, 39
	s_and_b64 exec, exec, s[4:5]
	s_cbranch_execz .LBB9_222
; %bb.221:                              ;   in Loop: Header=BB9_13 Depth=1
	ds_read_b32 v2, v156
	ds_read_b32 v6, v155 offset:164
	v_mad_u64_u32 v[4:5], s[4:5], v159, s29, v[66:67]
	v_mad_u64_u32 v[4:5], s[4:5], v4, 40, v[26:27]
	s_waitcnt lgkmcnt(1)
	v_cvt_f32_f16_sdwa v3, v2 dst_sel:DWORD dst_unused:UNUSED_PAD src0_sel:WORD_1
	v_cvt_f32_f16_e32 v2, v2
	v_ashrrev_i32_e32 v5, 31, v4
	v_lshl_add_u64 v[4:5], v[4:5], 3, s[72:73]
	v_pk_add_f32 v[2:3], v[2:3], 0 op_sel_hi:[1,0]
	s_waitcnt lgkmcnt(0)
	v_div_scale_f32 v7, s[4:5], v6, v6, v3
	v_rcp_f32_e32 v8, v7
	s_nop 0
	v_fma_f32 v9, -v7, v8, 1.0
	v_fmac_f32_e32 v8, v9, v8
	v_div_scale_f32 v9, vcc, v3, v6, v3
	v_mul_f32_e32 v10, v9, v8
	v_fma_f32 v11, -v7, v10, v9
	v_fmac_f32_e32 v10, v11, v8
	v_fma_f32 v7, -v7, v10, v9
	v_div_scale_f32 v9, s[4:5], v6, v6, v2
	v_rcp_f32_e32 v11, v9
	v_div_fmas_f32 v7, v7, v8, v10
	v_div_fixup_f32 v3, v7, v6, v3
	v_fma_f32 v7, -v9, v11, 1.0
	v_fmac_f32_e32 v11, v7, v11
	v_div_scale_f32 v7, vcc, v2, v6, v2
	v_mul_f32_e32 v8, v7, v11
	v_fma_f32 v10, -v9, v8, v7
	v_fmac_f32_e32 v8, v10, v11
	v_fma_f32 v7, -v9, v8, v7
	v_div_fmas_f32 v7, v7, v11, v8
	v_div_fixup_f32 v2, v7, v6, v2
	global_store_dwordx2 v[4:5], v[2:3], off
.LBB9_222:                              ;   in Loop: Header=BB9_13 Depth=1
	s_or_b64 exec, exec, s[74:75]
	v_mov_b32_e32 v2, 50
	s_and_saveexec_b64 s[74:75], s[80:81]
	s_cbranch_execz .LBB9_224
; %bb.223:                              ;   in Loop: Header=BB9_13 Depth=1
	ds_read_b32 v2, v122 offset:128
	ds_read_b32 v6, v65 offset:164
	v_mad_u64_u32 v[4:5], s[4:5], v81, s29, v[58:59]
	v_mul_lo_u32 v4, v4, 40
	s_waitcnt lgkmcnt(1)
	v_cvt_f32_f16_sdwa v3, v2 dst_sel:DWORD dst_unused:UNUSED_PAD src0_sel:WORD_1
	v_cvt_f32_f16_e32 v2, v2
	v_ashrrev_i32_e32 v5, 31, v4
	v_or_b32_e32 v4, v4, v28
	v_lshl_add_u64 v[4:5], v[4:5], 3, s[72:73]
	v_pk_add_f32 v[2:3], v[2:3], 0 op_sel_hi:[1,0]
	s_waitcnt lgkmcnt(0)
	v_div_scale_f32 v7, s[4:5], v6, v6, v3
	v_rcp_f32_e32 v8, v7
	s_nop 0
	v_fma_f32 v9, -v7, v8, 1.0
	v_fmac_f32_e32 v8, v9, v8
	v_div_scale_f32 v9, vcc, v3, v6, v3
	v_mul_f32_e32 v10, v9, v8
	v_fma_f32 v11, -v7, v10, v9
	v_fmac_f32_e32 v10, v11, v8
	v_fma_f32 v7, -v7, v10, v9
	v_div_scale_f32 v9, s[4:5], v6, v6, v2
	v_rcp_f32_e32 v11, v9
	v_div_fmas_f32 v7, v7, v8, v10
	v_div_fixup_f32 v3, v7, v6, v3
	v_fma_f32 v7, -v9, v11, 1.0
	v_fmac_f32_e32 v11, v7, v11
	v_div_scale_f32 v7, vcc, v2, v6, v2
	v_mul_f32_e32 v8, v7, v11
	v_fma_f32 v10, -v9, v8, v7
	v_fmac_f32_e32 v8, v10, v11
	v_fma_f32 v7, -v9, v8, v7
	v_div_fmas_f32 v7, v7, v11, v8
	v_div_fixup_f32 v2, v7, v6, v2
	global_store_dwordx2 v[4:5], v[2:3], off offset:256
	v_mov_b32_e32 v2, 0
.LBB9_224:                              ;   in Loop: Header=BB9_13 Depth=1
	s_or_b64 exec, exec, s[74:75]
	v_cmp_gt_i32_e32 vcc, 50, v2
	s_mov_b64 s[76:77], -1
	s_and_saveexec_b64 s[74:75], vcc
; %bb.225:                              ;   in Loop: Header=BB9_13 Depth=1
	v_cmp_eq_u32_e32 vcc, 0, v2
	s_orn2_b64 s[76:77], vcc, exec
; %bb.226:                              ;   in Loop: Header=BB9_13 Depth=1
	s_or_b64 exec, exec, s[74:75]
                                        ; implicit-def: $vgpr2_vgpr3
	s_and_saveexec_b64 s[74:75], s[76:77]
	s_cbranch_execz .LBB9_230
; %bb.227:                              ;   in Loop: Header=BB9_13 Depth=1
	s_mov_b64 s[78:79], s[8:9]
                                        ; implicit-def: $vgpr2_vgpr3
	s_and_saveexec_b64 s[76:77], s[6:7]
	s_cbranch_execz .LBB9_229
; %bb.228:                              ;   in Loop: Header=BB9_13 Depth=1
	ds_read_b32 v2, v124 offset:128
	ds_read_b32 v4, v106 offset:164
	s_or_b64 s[78:79], s[8:9], exec
	s_waitcnt lgkmcnt(1)
	v_cvt_f32_f16_sdwa v3, v2 dst_sel:DWORD dst_unused:UNUSED_PAD src0_sel:WORD_1
	v_cvt_f32_f16_e32 v2, v2
	v_pk_add_f32 v[2:3], v[2:3], 0 op_sel_hi:[1,0]
	s_waitcnt lgkmcnt(0)
	v_div_scale_f32 v5, s[4:5], v4, v4, v3
	v_rcp_f32_e32 v7, v5
	v_div_scale_f32 v6, s[4:5], v4, v4, v2
	v_div_scale_f32 v9, vcc, v3, v4, v3
	v_fma_f32 v10, -v5, v7, 1.0
	v_fmac_f32_e32 v7, v10, v7
	v_rcp_f32_e32 v8, v6
	v_mul_f32_e32 v10, v9, v7
	v_fma_f32 v12, -v5, v10, v9
	v_fmac_f32_e32 v10, v12, v7
	v_fma_f32 v5, -v5, v10, v9
	v_fma_f32 v11, -v6, v8, 1.0
	v_div_fmas_f32 v5, v5, v7, v10
	v_div_fixup_f32 v3, v5, v4, v3
	v_fmac_f32_e32 v8, v11, v8
	v_div_scale_f32 v5, vcc, v2, v4, v2
	v_mul_f32_e32 v7, v5, v8
	v_fma_f32 v9, -v6, v7, v5
	v_fmac_f32_e32 v7, v9, v8
	v_fma_f32 v5, -v6, v7, v5
	v_div_fmas_f32 v5, v5, v8, v7
	v_div_fixup_f32 v2, v5, v4, v2
.LBB9_229:                              ;   in Loop: Header=BB9_13 Depth=1
	s_or_b64 exec, exec, s[76:77]
	s_andn2_b64 s[4:5], s[8:9], exec
	s_and_b64 s[6:7], s[78:79], exec
	s_or_b64 s[8:9], s[4:5], s[6:7]
.LBB9_230:                              ;   in Loop: Header=BB9_13 Depth=1
	s_or_b64 exec, exec, s[74:75]
	s_and_saveexec_b64 s[6:7], s[8:9]
	s_cbranch_execz .LBB9_12
.LBB9_231:                              ;   in Loop: Header=BB9_13 Depth=1
	v_mad_u64_u32 v[4:5], s[4:5], v69, s29, v[58:59]
	v_mul_lo_u32 v4, v4, 40
	v_ashrrev_i32_e32 v5, 31, v4
	v_or_b32_e32 v4, v4, v28
	v_lshl_add_u64 v[4:5], v[4:5], 3, s[72:73]
	global_store_dwordx2 v[4:5], v[2:3], off offset:256
	s_branch .LBB9_12
.LBB9_232:
	v_readlane_b32 s48, v187, 12
	v_readlane_b32 s49, v187, 13
	;; [unrolled: 1-line block ×4, first 2 shown]
	s_andn2_b64 vcc, exec, s[6:7]
	s_cbranch_vccnz .LBB9_10
.LBB9_233:
	v_readlane_b32 s6, v187, 3
	s_abs_i32 s0, s6
	v_cvt_f32_u32_e32 v2, s0
	s_sub_i32 s3, 0, s0
	s_abs_i32 s2, s52
	s_xor_b32 s1, s52, s6
	v_rcp_iflag_f32_e32 v2, v2
	s_ashr_i32 s1, s1, 31
	s_mov_b32 s20, s8
	v_readlane_b32 s8, v187, 2
	v_mul_f32_e32 v2, 0x4f7ffffe, v2
	v_cvt_u32_f32_e32 v2, v2
	v_readlane_b32 s9, v187, 1
	v_mov_b32_e32 v8, s10
	v_readfirstlane_b32 s4, v2
	s_mul_i32 s3, s3, s4
	s_mul_hi_u32 s3, s4, s3
	s_add_i32 s4, s4, s3
	s_mul_hi_u32 s3, s2, s4
	s_mul_i32 s4, s3, s0
	s_sub_i32 s2, s2, s4
	s_add_i32 s5, s3, 1
	s_sub_i32 s4, s2, s0
	s_cmp_ge_u32 s2, s0
	s_cselect_b32 s3, s5, s3
	s_cselect_b32 s2, s4, s2
	s_add_i32 s4, s3, 1
	s_cmp_ge_u32 s2, s0
	s_cselect_b32 s0, s4, s3
	s_abs_i32 s3, s8
	v_cvt_f32_u32_e32 v2, s3
	s_xor_b32 s0, s0, s1
	s_sub_i32 s2, s0, s1
	s_sub_i32 s4, 0, s3
	v_rcp_iflag_f32_e32 v2, v2
	s_mul_i32 s0, s2, s6
	s_sub_i32 s0, s52, s0
	s_abs_i32 s5, s0
	v_mul_f32_e32 v2, 0x4f7ffffe, v2
	v_cvt_u32_f32_e32 v2, v2
	s_xor_b32 s1, s0, s8
	s_ashr_i32 s1, s1, 31
	v_readfirstlane_b32 s6, v2
	s_mul_i32 s4, s4, s6
	s_mul_hi_u32 s4, s6, s4
	s_add_i32 s6, s6, s4
	s_mul_hi_u32 s4, s5, s6
	s_mul_i32 s6, s4, s3
	s_sub_i32 s5, s5, s6
	s_add_i32 s7, s4, 1
	s_sub_i32 s6, s5, s3
	s_cmp_ge_u32 s5, s3
	s_cselect_b32 s4, s7, s4
	s_cselect_b32 s5, s6, s5
	s_add_i32 s6, s4, 1
	s_cmp_ge_u32 s5, s3
	s_cselect_b32 s3, s6, s4
	s_abs_i32 s4, s9
	v_cvt_f32_u32_e32 v2, s4
	s_xor_b32 s3, s3, s1
	s_sub_i32 s5, 0, s4
	s_sub_i32 s3, s3, s1
	v_rcp_iflag_f32_e32 v2, v2
	s_mul_i32 s1, s3, s8
	s_sub_i32 s1, s0, s1
	s_abs_i32 s6, s1
	v_mul_f32_e32 v2, 0x4f7ffffe, v2
	v_cvt_u32_f32_e32 v2, v2
	s_xor_b32 s0, s1, s9
	s_ashr_i32 s0, s0, 31
	v_readfirstlane_b32 s7, v2
	s_mul_i32 s5, s5, s7
	s_mul_hi_u32 s5, s7, s5
	s_add_i32 s7, s7, s5
	s_mul_hi_u32 s5, s6, s7
	s_mul_i32 s7, s5, s4
	s_sub_i32 s6, s6, s7
	s_add_i32 s8, s5, 1
	s_sub_i32 s7, s6, s4
	s_cmp_ge_u32 s6, s4
	s_cselect_b32 s5, s8, s5
	s_cselect_b32 s6, s7, s6
	s_add_i32 s7, s5, 1
	s_cmp_ge_u32 s6, s4
	s_cselect_b32 s4, s7, s5
	s_xor_b32 s4, s4, s0
	s_sub_i32 s0, s4, s0
	s_mul_i32 s4, s0, s9
	s_sub_i32 s1, s1, s4
	s_ashr_i32 s4, s1, 31
	v_readlane_b32 s5, v187, 10
	s_abs_i32 s1, s1
	s_xor_b32 s4, s4, s5
	s_mul_hi_u32 s5, s1, s55
	s_mul_i32 s6, s5, s57
	s_sub_i32 s1, s1, s6
	s_add_i32 s6, s5, 1
	s_sub_i32 s7, s1, s57
	s_cmp_ge_u32 s1, s57
	s_cselect_b32 s5, s6, s5
	s_cselect_b32 s1, s7, s1
	s_add_i32 s6, s5, 1
	s_cmp_ge_u32 s1, s57
	s_cselect_b32 s1, s6, s5
	s_abs_i32 s9, s20
	v_cvt_f32_u32_e32 v2, s9
	s_xor_b32 s1, s1, s4
	s_sub_i32 s1, s1, s4
	s_cmp_eq_u64 s[22:23], 0
	v_rcp_iflag_f32_e32 v2, v2
	s_nop 0
	v_mul_f32_e32 v2, 0x4f7ffffe, v2
	v_cvt_u32_f32_e32 v2, v2
	s_nop 0
	v_readfirstlane_b32 s11, v2
	s_cbranch_scc1 .LBB9_235
; %bb.234:
	v_readlane_b32 s4, v187, 0
	s_mul_i32 s4, s2, s4
	s_add_i32 s4, s1, s4
	s_ashr_i32 s5, s4, 31
	s_lshl_b64 s[4:5], s[4:5], 2
	s_add_u32 s4, s22, s4
	s_addc_u32 s5, s23, s5
	v_mov_b32_e32 v2, 0
	global_load_dword v2, v2, s[4:5]
	s_waitcnt vmcnt(0)
	v_ashrrev_i32_e32 v3, 31, v2
	v_lshrrev_b32_e32 v3, 26, v3
	v_add_u32_e32 v2, v2, v3
	v_ashrrev_i32_e32 v2, 6, v2
	v_min_i32_e32 v8, s10, v2
.LBB9_235:
	v_readlane_b32 s6, v187, 4
	s_mul_i32 s4, s3, s33
	s_lshl_b32 s10, s0, 2
	v_readlane_b32 s7, v187, 5
	s_add_i32 s0, s10, s4
	s_mul_i32 s4, s2, s7
	s_ashr_i32 s5, s4, 31
	s_add_u32 s4, s12, s4
	s_mul_i32 s0, s0, s6
	s_addc_u32 s5, s13, s5
	s_ashr_i32 s7, s0, 31
	s_add_u32 s6, s4, s0
	s_addc_u32 s7, s5, s7
	s_lshl_b32 s8, s1, 4
	v_lshrrev_b32_e32 v3, 2, v27
	v_and_b32_e32 v2, 3, v27
	v_add_u32_e32 v3, s8, v3
	v_or_b32_e32 v4, s10, v2
	v_cmp_le_i32_e64 s[0:1], s28, v3
	v_cmp_le_i32_e64 s[4:5], s33, v4
	s_mov_b32 s12, 0x10001
	v_lshl_add_u32 v35, v26, 2, 0
	v_cmp_gt_i32_e32 vcc, s33, v4
	s_or_b64 s[0:1], s[0:1], s[4:5]
	s_and_saveexec_b64 s[4:5], s[0:1]
	s_xor_b64 s[0:1], exec, s[4:5]
	v_readlane_b32 s22, v187, 11
; %bb.236:
	s_movk_i32 s4, 0xb0
	v_mad_u32_u24 v3, v27, s4, v35
	v_mov_b32_e32 v4, 0
	ds_write_b32 v3, v4
                                        ; implicit-def: $vgpr3
; %bb.237:
	s_or_saveexec_b64 s[0:1], s[0:1]
	v_mul_lo_u32 v1, v1, s12
	s_xor_b64 exec, exec, s[0:1]
	s_cbranch_execz .LBB9_239
; %bb.238:
	v_mul_lo_u32 v3, v3, s53
	v_mul_lo_u32 v4, v2, s22
	v_add3_u32 v4, v4, v26, v3
	v_ashrrev_i32_e32 v5, 31, v4
	v_lshl_add_u64 v[4:5], v[4:5], 3, s[6:7]
	global_load_dwordx2 v[4:5], v[4:5], off
	s_movk_i32 s4, 0xb0
	s_waitcnt vmcnt(0)
	v_cvt_pk_f16_f32 v3, v4, v5
	v_pk_mul_f16 v3, v3, v1
	v_mad_u32_u24 v4, v27, s4, v35
	ds_write_b32 v4, v3
.LBB9_239:
	s_or_b64 exec, exec, s[0:1]
	v_add_u32_e32 v10, 8, v27
	v_lshrrev_b32_e32 v3, 2, v10
	v_add_u32_e32 v3, s8, v3
	v_cmp_le_i32_e64 s[0:1], s28, v3
	s_xor_b64 s[4:5], vcc, -1
	s_or_b64 s[0:1], s[0:1], s[4:5]
	s_and_saveexec_b64 s[12:13], s[0:1]
	s_xor_b64 s[0:1], exec, s[12:13]
; %bb.240:
	s_movk_i32 s12, 0xb0
	v_mad_u32_u24 v3, v10, s12, v35
	v_mov_b32_e32 v4, 0
	ds_write_b32 v3, v4
                                        ; implicit-def: $vgpr3
; %bb.241:
	s_andn2_saveexec_b64 s[0:1], s[0:1]
	s_cbranch_execz .LBB9_243
; %bb.242:
	v_mul_lo_u32 v3, v3, s53
	v_mul_lo_u32 v4, v2, s22
	v_add3_u32 v4, v4, v26, v3
	v_ashrrev_i32_e32 v5, 31, v4
	v_lshl_add_u64 v[4:5], v[4:5], 3, s[6:7]
	global_load_dwordx2 v[4:5], v[4:5], off
	s_movk_i32 s12, 0xb0
	s_waitcnt vmcnt(0)
	v_cvt_pk_f16_f32 v3, v4, v5
	v_pk_mul_f16 v3, v3, v1
	v_mad_u32_u24 v4, v10, s12, v35
	ds_write_b32 v4, v3
.LBB9_243:
	s_or_b64 exec, exec, s[0:1]
	v_add_u32_e32 v42, 16, v27
	v_lshrrev_b32_e32 v3, 2, v42
	v_add_u32_e32 v3, s8, v3
	v_cmp_le_i32_e32 vcc, s28, v3
	s_or_b64 s[0:1], vcc, s[4:5]
	s_and_saveexec_b64 s[12:13], s[0:1]
	s_xor_b64 s[0:1], exec, s[12:13]
; %bb.244:
	s_movk_i32 s12, 0xb0
	v_mad_u32_u24 v3, v42, s12, v35
	v_mov_b32_e32 v4, 0
	ds_write_b32 v3, v4
                                        ; implicit-def: $vgpr3
; %bb.245:
	s_andn2_saveexec_b64 s[0:1], s[0:1]
	s_cbranch_execz .LBB9_247
; %bb.246:
	v_mul_lo_u32 v3, v3, s53
	v_mul_lo_u32 v4, v2, s22
	v_add3_u32 v4, v4, v26, v3
	v_ashrrev_i32_e32 v5, 31, v4
	v_lshl_add_u64 v[4:5], v[4:5], 3, s[6:7]
	global_load_dwordx2 v[4:5], v[4:5], off
	s_movk_i32 s12, 0xb0
	s_waitcnt vmcnt(0)
	v_cvt_pk_f16_f32 v3, v4, v5
	v_pk_mul_f16 v3, v3, v1
	v_mad_u32_u24 v4, v42, s12, v35
	ds_write_b32 v4, v3
.LBB9_247:
	s_or_b64 exec, exec, s[0:1]
	v_add_u32_e32 v3, 24, v27
	v_lshrrev_b32_e32 v4, 2, v3
	v_add_u32_e32 v4, s8, v4
	v_cmp_le_i32_e32 vcc, s28, v4
	s_or_b64 s[0:1], vcc, s[4:5]
	s_and_saveexec_b64 s[12:13], s[0:1]
	s_xor_b64 s[0:1], exec, s[12:13]
; %bb.248:
	s_movk_i32 s12, 0xb0
	v_mad_u32_u24 v3, v3, s12, v35
	v_mov_b32_e32 v4, 0
	ds_write_b32 v3, v4
                                        ; implicit-def: $vgpr4
                                        ; implicit-def: $vgpr3
; %bb.249:
	s_andn2_saveexec_b64 s[0:1], s[0:1]
	s_cbranch_execz .LBB9_251
; %bb.250:
	v_mul_lo_u32 v4, v4, s53
	v_mul_lo_u32 v5, v2, s22
	v_add3_u32 v4, v5, v26, v4
	v_ashrrev_i32_e32 v5, 31, v4
	v_lshl_add_u64 v[4:5], v[4:5], 3, s[6:7]
	global_load_dwordx2 v[4:5], v[4:5], off
	s_movk_i32 s12, 0xb0
	v_mad_u32_u24 v3, v3, s12, v35
	s_waitcnt vmcnt(0)
	v_cvt_pk_f16_f32 v4, v4, v5
	v_pk_mul_f16 v4, v4, v1
	ds_write_b32 v3, v4
.LBB9_251:
	s_or_b64 exec, exec, s[0:1]
	v_add_u32_e32 v43, 32, v27
	v_lshrrev_b32_e32 v3, 2, v43
	v_add_u32_e32 v3, s8, v3
	v_cmp_le_i32_e32 vcc, s28, v3
	s_or_b64 s[0:1], vcc, s[4:5]
	s_and_saveexec_b64 s[12:13], s[0:1]
	s_xor_b64 s[0:1], exec, s[12:13]
; %bb.252:
	s_movk_i32 s12, 0xb0
	v_mad_u32_u24 v3, v43, s12, v35
	v_mov_b32_e32 v4, 0
	ds_write_b32 v3, v4
                                        ; implicit-def: $vgpr3
; %bb.253:
	s_andn2_saveexec_b64 s[0:1], s[0:1]
	s_cbranch_execz .LBB9_255
; %bb.254:
	v_mul_lo_u32 v3, v3, s53
	v_mul_lo_u32 v4, v2, s22
	v_add3_u32 v4, v4, v26, v3
	v_ashrrev_i32_e32 v5, 31, v4
	v_lshl_add_u64 v[4:5], v[4:5], 3, s[6:7]
	global_load_dwordx2 v[4:5], v[4:5], off
	s_movk_i32 s12, 0xb0
	s_waitcnt vmcnt(0)
	v_cvt_pk_f16_f32 v3, v4, v5
	v_pk_mul_f16 v3, v3, v1
	v_mad_u32_u24 v4, v43, s12, v35
	ds_write_b32 v4, v3
.LBB9_255:
	s_or_b64 exec, exec, s[0:1]
	v_add_u32_e32 v3, 40, v27
	v_lshrrev_b32_e32 v4, 2, v3
	v_add_u32_e32 v4, s8, v4
	v_cmp_le_i32_e32 vcc, s28, v4
	s_or_b64 s[0:1], vcc, s[4:5]
	s_and_saveexec_b64 s[12:13], s[0:1]
	s_xor_b64 s[0:1], exec, s[12:13]
; %bb.256:
	s_movk_i32 s12, 0xb0
	v_mad_u32_u24 v3, v3, s12, v35
	v_mov_b32_e32 v4, 0
	ds_write_b32 v3, v4
                                        ; implicit-def: $vgpr4
                                        ; implicit-def: $vgpr3
; %bb.257:
	s_andn2_saveexec_b64 s[0:1], s[0:1]
	s_cbranch_execz .LBB9_259
; %bb.258:
	v_mul_lo_u32 v4, v4, s53
	v_mul_lo_u32 v5, v2, s22
	v_add3_u32 v4, v5, v26, v4
	v_ashrrev_i32_e32 v5, 31, v4
	v_lshl_add_u64 v[4:5], v[4:5], 3, s[6:7]
	global_load_dwordx2 v[4:5], v[4:5], off
	s_movk_i32 s12, 0xb0
	v_mad_u32_u24 v3, v3, s12, v35
	s_waitcnt vmcnt(0)
	v_cvt_pk_f16_f32 v4, v4, v5
	v_pk_mul_f16 v4, v4, v1
	ds_write_b32 v3, v4
.LBB9_259:
	s_or_b64 exec, exec, s[0:1]
	v_add_u32_e32 v44, 48, v27
	v_lshrrev_b32_e32 v3, 2, v44
	v_add_u32_e32 v3, s8, v3
	v_cmp_le_i32_e32 vcc, s28, v3
	s_or_b64 s[0:1], vcc, s[4:5]
	s_and_saveexec_b64 s[12:13], s[0:1]
	s_xor_b64 s[0:1], exec, s[12:13]
; %bb.260:
	s_movk_i32 s12, 0xb0
	v_mad_u32_u24 v3, v44, s12, v35
	v_mov_b32_e32 v4, 0
	ds_write_b32 v3, v4
                                        ; implicit-def: $vgpr3
; %bb.261:
	s_andn2_saveexec_b64 s[0:1], s[0:1]
	s_cbranch_execz .LBB9_263
; %bb.262:
	v_mul_lo_u32 v3, v3, s53
	v_mul_lo_u32 v4, v2, s22
	v_add3_u32 v4, v4, v26, v3
	v_ashrrev_i32_e32 v5, 31, v4
	v_lshl_add_u64 v[4:5], v[4:5], 3, s[6:7]
	global_load_dwordx2 v[4:5], v[4:5], off
	s_movk_i32 s12, 0xb0
	s_waitcnt vmcnt(0)
	v_cvt_pk_f16_f32 v3, v4, v5
	v_pk_mul_f16 v3, v3, v1
	v_mad_u32_u24 v4, v44, s12, v35
	ds_write_b32 v4, v3
.LBB9_263:
	s_or_b64 exec, exec, s[0:1]
	v_add_u32_e32 v3, 56, v27
	v_lshrrev_b32_e32 v4, 2, v3
	v_add_u32_e32 v4, s8, v4
	v_cmp_le_i32_e32 vcc, s28, v4
	s_sub_i32 s12, 0, s9
	s_or_b64 s[0:1], vcc, s[4:5]
	s_and_saveexec_b64 s[4:5], s[0:1]
	s_xor_b64 s[0:1], exec, s[4:5]
; %bb.264:
	s_movk_i32 s4, 0xb0
	v_mad_u32_u24 v2, v3, s4, v35
	v_mov_b32_e32 v3, 0
	ds_write_b32 v2, v3
                                        ; implicit-def: $vgpr4
                                        ; implicit-def: $vgpr2
                                        ; implicit-def: $vgpr3
; %bb.265:
	s_or_saveexec_b64 s[0:1], s[0:1]
	s_mul_i32 s12, s12, s11
	v_and_b32_e32 v48, 0x3ff, v0
	s_xor_b64 exec, exec, s[0:1]
	s_cbranch_execz .LBB9_267
; %bb.266:
	v_mul_lo_u32 v0, v4, s53
	v_mul_lo_u32 v2, v2, s22
	v_add3_u32 v4, v2, v26, v0
	v_ashrrev_i32_e32 v5, 31, v4
	v_lshl_add_u64 v[4:5], v[4:5], 3, s[6:7]
	global_load_dwordx2 v[4:5], v[4:5], off
	s_movk_i32 s4, 0xb0
	v_mad_u32_u24 v2, v3, s4, v35
	s_waitcnt vmcnt(0)
	v_cvt_pk_f16_f32 v0, v4, v5
	v_pk_mul_f16 v0, v0, v1
	ds_write_b32 v2, v0
.LBB9_267:
	s_or_b64 exec, exec, s[0:1]
	v_lshrrev_b32_e32 v11, 3, v48
	v_and_b32_e32 v0, 3, v11
	v_lshl_add_u32 v46, v39, 3, v11
	v_or_b32_e32 v2, s10, v0
	v_cmp_gt_i32_e32 vcc, s33, v2
	v_cmp_le_i32_e64 s[0:1], s33, v2
	v_lshrrev_b32_e32 v2, 2, v46
	v_add_u32_e32 v2, s8, v2
	v_cmp_le_i32_e64 s[4:5], s28, v2
	s_mul_hi_u32 s12, s11, s12
	v_and_b32_e32 v45, 7, v48
	v_mul_lo_u32 v0, s22, v0
	s_or_b64 s[0:1], s[4:5], s[0:1]
	s_and_saveexec_b64 s[4:5], s[0:1]
	s_xor_b64 s[0:1], exec, s[4:5]
; %bb.268:
	v_mul_u32_u24_e32 v2, 0xb0, v46
	v_lshlrev_b32_e32 v3, 2, v45
	v_add3_u32 v2, 0, v2, v3
	v_mov_b32_e32 v3, 0
	ds_write_b32 v2, v3 offset:128
                                        ; implicit-def: $vgpr2
; %bb.269:
	s_or_saveexec_b64 s[0:1], s[0:1]
	s_abs_i32 s10, s2
	s_add_i32 s11, s11, s12
	v_add3_u32 v0, v0, v45, 32
	v_lshl_add_u32 v47, v45, 2, 0
	s_xor_b64 exec, exec, s[0:1]
	s_cbranch_execz .LBB9_271
; %bb.270:
	v_mad_u64_u32 v[2:3], s[4:5], v2, s53, v[0:1]
	v_ashrrev_i32_e32 v3, 31, v2
	v_lshl_add_u64 v[2:3], v[2:3], 3, s[6:7]
	global_load_dwordx2 v[2:3], v[2:3], off
	s_movk_i32 s4, 0xb0
	s_waitcnt vmcnt(0)
	v_cvt_pk_f16_f32 v2, v2, v3
	v_pk_mul_f16 v2, v2, v1
	v_mad_u32_u24 v3, v46, s4, v47
	ds_write_b32 v3, v2 offset:128
.LBB9_271:
	s_or_b64 exec, exec, s[0:1]
	v_add_u32_e32 v58, 32, v46
	v_lshrrev_b32_e32 v2, 2, v58
	v_add_u32_e32 v2, s8, v2
	v_cmp_le_i32_e64 s[0:1], s28, v2
	s_xor_b64 s[4:5], vcc, -1
	s_mul_hi_u32 s11, s10, s11
	s_or_b64 s[0:1], s[0:1], s[4:5]
	s_and_saveexec_b64 s[4:5], s[0:1]
	s_xor_b64 s[0:1], exec, s[4:5]
; %bb.272:
	v_mul_u32_u24_e32 v0, 0xb0, v58
	v_lshlrev_b32_e32 v1, 2, v45
	v_add3_u32 v0, 0, v0, v1
	v_mov_b32_e32 v1, 0
	ds_write_b32 v0, v1 offset:128
                                        ; implicit-def: $vgpr0
                                        ; implicit-def: $vgpr2
                                        ; implicit-def: $vgpr1
; %bb.273:
	s_or_saveexec_b64 s[0:1], s[0:1]
	s_ashr_i32 s12, s2, 31
	s_xor_b64 exec, exec, s[0:1]
	s_cbranch_execz .LBB9_275
; %bb.274:
	v_mad_u64_u32 v[2:3], s[4:5], v2, s53, v[0:1]
	v_ashrrev_i32_e32 v3, 31, v2
	v_lshl_add_u64 v[2:3], v[2:3], 3, s[6:7]
	global_load_dwordx2 v[2:3], v[2:3], off
	s_movk_i32 s4, 0xb0
	s_waitcnt vmcnt(0)
	v_cvt_pk_f16_f32 v0, v2, v3
	v_pk_mul_f16 v0, v0, v1
	v_mad_u32_u24 v1, v58, s4, v47
	ds_write_b32 v1, v0 offset:128
.LBB9_275:
	s_or_b64 exec, exec, s[0:1]
	s_mul_hi_u32 s0, s36, s2
	s_mul_i32 s1, s36, s12
	s_add_i32 s0, s0, s1
	s_mul_i32 s1, s37, s2
	v_readlane_b32 s4, v187, 8
	s_add_i32 s0, s0, s1
	s_mul_i32 s1, s36, s2
	v_readlane_b32 s5, v187, 9
	s_add_u32 s1, s14, s1
	s_mul_i32 s4, s3, s5
	s_addc_u32 s0, s15, s0
	s_ashr_i32 s5, s4, 31
	s_add_u32 s4, s1, s4
	s_mul_i32 s11, s11, s9
	s_addc_u32 s5, s0, s5
	s_sub_i32 s0, s10, s11
	s_sub_i32 s1, s0, s9
	s_cmp_ge_u32 s0, s9
	s_cselect_b32 s0, s1, s0
	s_sub_i32 s1, s0, s9
	s_cmp_ge_u32 s0, s9
	s_cselect_b32 s0, s1, s0
	s_xor_b32 s0, s0, s12
	s_sub_i32 s0, s0, s12
	s_ashr_i32 s1, s0, 31
	s_mul_i32 s1, s46, s1
	s_mul_hi_u32 s6, s46, s0
	s_add_i32 s1, s6, s1
	s_mul_i32 s6, s47, s0
	s_add_i32 s1, s1, s6
	s_mul_i32 s0, s46, s0
	s_add_u32 s6, s18, s0
	s_addc_u32 s7, s19, s1
	s_mul_hi_u32 s0, s44, s2
	s_mul_i32 s1, s44, s12
	s_add_i32 s0, s0, s1
	s_mul_i32 s1, s45, s2
	s_add_i32 s0, s0, s1
	s_mul_i32 s1, s44, s2
	s_add_u32 s1, s16, s1
	s_mul_i32 s3, s3, s39
	s_addc_u32 s0, s17, s0
	s_ashr_i32 s9, s3, 31
	s_add_u32 s2, s1, s3
	s_addc_u32 s3, s0, s9
	s_movk_i32 s0, 0xb00
	v_and_b32_e32 v49, 15, v48
	v_and_b32_e32 v1, 0x7e, v11
	v_mad_u32_u24 v0, v39, s0, 0
	v_mul_u32_u24_e32 v67, 0xb0, v49
	v_lshlrev_b32_e32 v50, 2, v1
	v_add3_u32 v9, v0, v67, v50
	s_waitcnt lgkmcnt(0)
	s_barrier
	ds_read2_b64 v[4:7], v9 offset1:4
	ds_read2_b64 v[0:3], v9 offset0:8 offset1:12
	ds_read_b64 v[14:15], v9 offset:128
	v_add_u32_e32 v75, -1, v8
	v_cmp_lt_i32_e32 vcc, s82, v75
	v_lshlrev_b32_e32 v8, 1, v48
	s_movk_i32 s0, 0xb0
	v_and_b32_e32 v13, 62, v8
	v_mov_b32_e32 v74, 0
	v_lshrrev_b32_e32 v66, 1, v48
	s_waitcnt lgkmcnt(0)
	s_barrier
	s_cbranch_vccnz .LBB9_278
; %bb.276:
	v_add_u32_e32 v8, s8, v27
	v_mul_hi_u32 v9, s40, v8
	v_add_u32_e32 v9, v8, v9
	v_lshrrev_b32_e32 v9, s41, v9
	v_mul_lo_u32 v9, v9, s28
	v_sub_u32_e32 v8, v8, v9
	v_mad_i64_i32 v[24:25], s[10:11], v8, s42, 0
	v_add_u32_e32 v8, s8, v10
	v_mul_hi_u32 v9, s40, v8
	v_add_u32_e32 v9, v8, v9
	v_lshrrev_b32_e32 v9, s41, v9
	v_mul_lo_u32 v9, v9, s28
	v_sub_u32_e32 v8, v8, v9
	v_mul_lo_u32 v20, s34, v46
	s_movk_i32 s1, 0x90
	v_mov_b32_e32 v9, 0x480
	v_mad_i64_i32 v[28:29], s[10:11], v8, s42, 0
	s_ashr_i32 s35, s34, 31
	v_lshlrev_b32_e32 v72, 2, v48
	v_mov_b32_e32 v8, 0x1600
	v_lshl_add_u32 v22, s34, 5, v20
	v_mul_u32_u24_e32 v71, 0x90, v27
	v_mad_u32_u24 v73, v27, s1, v9
	v_lshl_add_u32 v64, v39, 5, v66
	v_mul_u32_u24_e32 v69, 0xb0, v46
	v_and_b32_e32 v18, 28, v72
	v_mov_b32_e32 v19, 0
	v_ashrrev_i32_e32 v21, 31, v20
	v_mad_u32_u24 v70, v46, s0, v8
	v_ashrrev_i32_e32 v23, 31, v22
	s_mov_b64 s[0:1], 0
	v_mov_b64_e32 v[8:9], s[34:35]
	s_branch .LBB9_279
.LBB9_277:
                                        ; implicit-def: $sgpr56_sgpr57
	s_load_dwordx2 s[40:41], s[0:1], 0x5c
	s_branch .LBB9_7
.LBB9_278:
	s_mov_b64 s[0:1], -1
                                        ; implicit-def: $vgpr71
                                        ; implicit-def: $vgpr24_vgpr25
                                        ; implicit-def: $vgpr73
                                        ; implicit-def: $vgpr28_vgpr29
                                        ; implicit-def: $vgpr8_vgpr9
                                        ; implicit-def: $vgpr64
                                        ; implicit-def: $vgpr69
                                        ; implicit-def: $vgpr72
                                        ; implicit-def: $vgpr18
                                        ; implicit-def: $vgpr20_vgpr21
                                        ; implicit-def: $vgpr70
                                        ; implicit-def: $vgpr22_vgpr23
.LBB9_279:
	v_mul_lo_u32 v12, s30, v46
	s_andn2_b64 vcc, exec, s[0:1]
	v_lshlrev_b32_e32 v16, 1, v13
	v_lshl_or_b32 v68, v11, 2, 4
	v_lshlrev_b32_e32 v63, 1, v11
	v_ashrrev_i32_e32 v13, 31, v12
	v_lshlrev_b32_e32 v62, 1, v49
	s_cbranch_vccnz .LBB9_287
; %bb.280:
	v_add_u32_e32 v8, s8, v27
	v_mul_hi_u32 v11, s40, v8
	v_add_u32_e32 v11, v8, v11
	v_lshrrev_b32_e32 v11, s41, v11
	v_mul_lo_u32 v11, v11, s28
	v_sub_u32_e32 v8, v8, v11
	v_mad_i64_i32 v[24:25], s[0:1], v8, s42, 0
	v_add_u32_e32 v8, s8, v10
	v_mul_hi_u32 v10, s40, v8
	v_add_u32_e32 v10, v8, v10
	v_lshrrev_b32_e32 v10, s41, v10
	v_mul_lo_u32 v10, v10, s28
	v_lshlrev_b32_e32 v72, 2, v48
	v_mov_b32_e32 v31, 0
	v_sub_u32_e32 v8, v8, v10
	v_and_b32_e32 v18, 28, v72
	v_mov_b32_e32 v17, v31
	v_mad_i64_i32 v[28:29], s[0:1], v8, s42, 0
	v_mul_u32_u24_e32 v69, 0xb0, v46
	v_lshlrev_b32_e32 v8, 2, v18
	v_lshl_add_u64 v[32:33], s[6:7], 0, v[16:17]
	s_movk_i32 s9, 0x90
	v_mov_b32_e32 v10, 0x480
	v_lshl_add_u32 v64, v39, 5, v66
	s_movk_i32 s8, 0xb0
	v_add3_u32 v17, 0, v69, v8
	v_mov_b32_e32 v8, 0x1600
	v_and_b32_e32 v34, 4, v72
	v_mad_u32_u24 v73, v27, s9, v10
	v_mad_u32_u24 v70, v46, s8, v8
	;; [unrolled: 1-line block ×3, first 2 shown]
	v_lshlrev_b32_e32 v10, 2, v34
	s_movk_i32 s8, 0x80
	v_add3_u32 v80, v8, v10, s8
	v_and_b32_e32 v8, 12, v48
	v_lshl_or_b32 v8, v39, 4, v8
	v_lshrrev_b32_e32 v8, 2, v8
	v_mad_u32_u24 v8, v8, s9, 0
	v_and_b32_e32 v10, 0x1f8, v66
	v_add_u32_e32 v81, v8, v10
	v_add_u32_e32 v82, v8, v68
	v_mbcnt_hi_u32_b32 v8, -1, v61
	v_and_b32_e32 v30, 64, v8
	v_add_u32_e32 v30, 64, v30
	v_xor_b32_e32 v38, 32, v8
	v_cmp_lt_i32_e32 vcc, v38, v30
	v_mul_lo_u32 v20, s34, v46
	v_and_b32_e32 v40, 0xfc, v63
	v_cndmask_b32_e32 v38, v8, v38, vcc
	v_lshlrev_b32_e32 v83, 2, v38
	v_xor_b32_e32 v38, 16, v8
	v_cmp_lt_i32_e32 vcc, v38, v30
	v_or_b32_e32 v30, 2, v63
	v_add_u32_e32 v9, 0, v16
	v_cndmask_b32_e32 v8, v8, v38, vcc
	v_lshlrev_b32_e32 v84, 2, v8
	v_or_b32_e32 v8, 3, v63
	v_mul_u32_u24_e32 v71, 0x90, v27
	v_lshl_add_u32 v22, s34, 5, v20
	v_mul_lo_u32 v36, s34, v64
	v_add_u32_e32 v10, 32, v81
	v_add_u32_e32 v11, 64, v81
	;; [unrolled: 1-line block ×3, first 2 shown]
	v_mul_lo_u32 v38, s30, v64
	v_mul_u32_u24_e32 v8, 0xb0, v8
	v_mul_u32_u24_e32 v30, 0xb0, v30
	;; [unrolled: 1-line block ×3, first 2 shown]
	v_mul_lo_u32 v40, s30, v58
	s_ashr_i32 s35, s34, 31
	v_cmp_gt_u32_e64 s[0:1], 64, v64
	v_mov_b32_e32 v19, v31
	v_ashrrev_i32_e32 v21, 31, v20
	v_add_u32_e32 v78, 0x1600, v17
	v_ashrrev_i32_e32 v23, 31, v22
	v_add3_u32 v79, 0, v67, v50
	v_ashrrev_i32_e32 v37, 31, v36
	v_ashrrev_i32_e32 v39, 31, v38
	;; [unrolled: 1-line block ×3, first 2 shown]
	v_add3_u32 v85, 0, v52, v62
	v_add3_u32 v86, 0, v30, v62
	v_add3_u32 v87, 0, v8, v62
	s_lshl_b32 s8, s82, 6
	v_mov_b32_e32 v8, 0xfeffffff
	v_add_u32_e32 v88, v9, v71
	v_lshlrev_b32_e32 v30, 2, v18
	v_add_u32_e32 v89, 0x2c00, v10
	v_add_u32_e32 v90, 0x2c00, v11
	;; [unrolled: 1-line block ×3, first 2 shown]
	s_mov_b32 s10, 0x3fb8aa3b
	s_mov_b32 s11, 0xc2ce8ed0
	;; [unrolled: 1-line block ×5, first 2 shown]
	v_mov_b32_e32 v92, 0x7f800000
	v_mov_b32_e32 v93, v31
	;; [unrolled: 1-line block ×12, first 2 shown]
	v_readlane_b32 s19, v187, 6
.LBB9_281:                              ; =>This Inner Loop Header: Depth=1
	s_ashr_i32 s9, s8, 31
	v_lshl_add_u64 v[10:11], s[8:9], 1, v[32:33]
	v_lshl_add_u64 v[94:95], v[24:25], 1, v[10:11]
	;; [unrolled: 1-line block ×3, first 2 shown]
	global_load_dword v9, v[94:95], off
	global_load_dword v65, v[10:11], off
	s_mul_hi_i32 s13, s8, s34
	s_mul_i32 s12, s8, s34
	s_lshl_b64 s[12:13], s[12:13], 2
	s_add_u32 s12, s4, s12
	s_addc_u32 s13, s5, s13
	s_waitcnt vmcnt(1)
	ds_write_b32 v88, v9 offset:11264
	s_waitcnt vmcnt(0)
	ds_write_b32 v88, v65 offset:12416
	s_and_saveexec_b64 s[14:15], s[0:1]
	s_cbranch_execz .LBB9_283
; %bb.282:                              ;   in Loop: Header=BB9_281 Depth=1
	v_lshl_add_u64 v[10:11], v[36:37], 2, s[12:13]
	v_lshlrev_b32_e32 v94, 2, v34
	v_mov_b32_e32 v95, v31
	v_lshl_add_u64 v[10:11], v[10:11], 0, v[94:95]
	global_load_dwordx4 v[94:97], v[10:11], off offset:128
	s_waitcnt vmcnt(0)
	ds_write_b128 v80, v[94:97]
.LBB9_283:                              ;   in Loop: Header=BB9_281 Depth=1
	s_or_b64 exec, exec, s[14:15]
	v_lshl_add_u64 v[10:11], v[20:21], 2, s[12:13]
	v_lshl_add_u64 v[10:11], v[10:11], 0, v[30:31]
	;; [unrolled: 1-line block ×4, first 2 shown]
	global_load_dwordx4 v[94:97], v[10:11], off
	global_load_dwordx4 v[98:101], v[102:103], off
	v_add_u32_e32 v9, 0x800, v79
	v_add_u32_e32 v10, 0x1000, v79
	;; [unrolled: 1-line block ×3, first 2 shown]
	s_mul_hi_i32 s13, s8, s30
	s_mul_i32 s12, s8, s30
	s_lshl_b64 s[12:13], s[12:13], 2
	s_add_u32 s12, s2, s12
	s_addc_u32 s13, s3, s13
	s_waitcnt vmcnt(1)
	ds_write_b128 v17, v[94:97]
	s_waitcnt vmcnt(0)
	ds_write_b128 v78, v[98:101]
	s_waitcnt lgkmcnt(0)
	s_barrier
	ds_read2_b64 v[94:97], v79 offset1:4
	ds_read2_b64 v[102:105], v9 offset0:96 offset1:100
	ds_read2_b64 v[110:113], v10 offset0:192 offset1:196
	;; [unrolled: 1-line block ×3, first 2 shown]
	s_waitcnt lgkmcnt(3)
	v_mfma_f32_16x16x16_f16 v[98:101], v[94:95], v[4:5], 0
	s_waitcnt lgkmcnt(2)
	v_mfma_f32_16x16x16_f16 v[106:109], v[102:103], v[4:5], 0
	;; [unrolled: 2-line block ×4, first 2 shown]
	v_mfma_f32_16x16x16_f16 v[94:97], v[96:97], v[6:7], v[98:101]
	v_mfma_f32_16x16x16_f16 v[98:101], v[104:105], v[6:7], v[106:109]
	;; [unrolled: 1-line block ×3, first 2 shown]
	ds_read2_b64 v[110:113], v79 offset0:8 offset1:12
	s_nop 1
	ds_read2_b64 v[114:117], v9 offset0:104 offset1:108
	v_mfma_f32_16x16x16_f16 v[106:109], v[120:121], v[6:7], v[122:125]
	ds_read2_b64 v[118:121], v10 offset0:200 offset1:204
	s_nop 1
	ds_read2_b64 v[122:125], v11 offset0:40 offset1:44
	s_waitcnt lgkmcnt(3)
	v_mfma_f32_16x16x16_f16 v[94:97], v[110:111], v[0:1], v[94:97]
	s_waitcnt lgkmcnt(2)
	v_mfma_f32_16x16x16_f16 v[98:101], v[114:115], v[0:1], v[98:101]
	;; [unrolled: 2-line block ×3, first 2 shown]
	v_mfma_f32_16x16x16_f16 v[102:105], v[118:119], v[0:1], v[102:105]
	ds_read_b64 v[10:11], v79 offset:128
	ds_read_b64 v[110:111], v79 offset:2944
	;; [unrolled: 1-line block ×4, first 2 shown]
	s_waitcnt lgkmcnt(0)
	s_barrier
	v_mfma_f32_16x16x16_f16 v[94:97], v[112:113], v[2:3], v[94:97]
	v_mfma_f32_16x16x16_f16 v[98:101], v[116:117], v[2:3], v[98:101]
	ds_read_b32 v9, v81 offset:11264
	ds_read_b32 v65, v82 offset:11264
	ds_read2_b32 v[112:113], v89 offset1:1
	ds_read2_b32 v[116:117], v90 offset1:1
	;; [unrolled: 1-line block ×3, first 2 shown]
	s_waitcnt lgkmcnt(4)
	v_cvt_f32_f16_e32 v74, v9
	v_cvt_f32_f16_sdwa v9, v9 dst_sel:DWORD dst_unused:UNUSED_PAD src0_sel:WORD_1
	v_mfma_f32_16x16x16_f16 v[106:109], v[124:125], v[2:3], v[106:109]
	s_waitcnt lgkmcnt(2)
	v_cvt_f32_f16_sdwa v124, v112 dst_sel:DWORD dst_unused:UNUSED_PAD src0_sel:WORD_1
	s_waitcnt lgkmcnt(0)
	v_cvt_f32_f16_e32 v127, v122
	v_cvt_f32_f16_e32 v125, v113
	v_mfma_f32_16x16x16_f16 v[102:105], v[120:121], v[2:3], v[102:105]
	v_cvt_f32_f16_e32 v120, v65
	v_cvt_f32_f16_sdwa v65, v65 dst_sel:DWORD dst_unused:UNUSED_PAD src0_sel:WORD_1
	v_cvt_f32_f16_e32 v121, v112
	v_mfma_f32_16x16x16_f16 v[94:97], v[10:11], v[14:15], v[94:97]
	v_cvt_f32_f16_sdwa v10, v113 dst_sel:DWORD dst_unused:UNUSED_PAD src0_sel:WORD_1
	v_cvt_f32_f16_e32 v11, v116
	v_cvt_f32_f16_sdwa v116, v116 dst_sel:DWORD dst_unused:UNUSED_PAD src0_sel:WORD_1
	v_mfma_f32_16x16x16_f16 v[106:109], v[118:119], v[14:15], v[106:109]
	v_cvt_f32_f16_e32 v126, v117
	v_cvt_f32_f16_sdwa v117, v117 dst_sel:DWORD dst_unused:UNUSED_PAD src0_sel:WORD_1
	v_mfma_f32_16x16x16_f16 v[98:101], v[110:111], v[14:15], v[98:101]
	v_mfma_f32_16x16x16_f16 v[110:113], v[114:115], v[14:15], v[102:105]
	v_cvt_f32_f16_sdwa v114, v122 dst_sel:DWORD dst_unused:UNUSED_PAD src0_sel:WORD_1
	v_cvt_f32_f16_e32 v115, v123
	v_cvt_f32_f16_sdwa v122, v123 dst_sel:DWORD dst_unused:UNUSED_PAD src0_sel:WORD_1
	v_add_f32_e32 v105, v94, v74
	v_add_f32_e32 v74, v95, v9
	;; [unrolled: 1-line block ×16, first 2 shown]
	v_max3_f32 v65, v8, v65, v106
	v_add_f32_e32 v9, v109, v122
	v_add_f32_e32 v109, 0x40051340, v96
	;; [unrolled: 1-line block ×3, first 2 shown]
	v_max3_f32 v65, v65, v107, v108
	v_add_f32_e32 v101, v111, v116
	v_add_f32_e32 v102, v112, v126
	;; [unrolled: 1-line block ×4, first 2 shown]
	v_max3_f32 v65, v65, v109, v110
	v_add_f32_e32 v103, v113, v117
	v_add_f32_e32 v113, 0x40051340, v100
	;; [unrolled: 1-line block ×3, first 2 shown]
	v_max3_f32 v65, v65, v111, v112
	v_add_f32_e32 v115, 0x40051340, v102
	v_add_f32_e32 v116, 0x40051340, v103
	v_max3_f32 v65, v65, v113, v114
	v_add_f32_e32 v117, 0x40051340, v104
	v_add_f32_e32 v118, 0x40051340, v11
	;; [unrolled: 3-line block ×3, first 2 shown]
	v_max3_f32 v65, v65, v117, v118
	v_max3_f32 v65, v65, v119, v120
	ds_bpermute_b32 v106, v83, v65
	s_waitcnt lgkmcnt(0)
	v_max_f32_e32 v106, v106, v106
	v_max_f32_e32 v65, v65, v106
	ds_bpermute_b32 v106, v84, v65
	s_and_saveexec_b64 s[14:15], s[0:1]
	s_cbranch_execz .LBB9_285
; %bb.284:                              ;   in Loop: Header=BB9_281 Depth=1
	v_lshl_add_u64 v[108:109], v[38:39], 2, s[12:13]
	v_lshlrev_b32_e32 v110, 2, v34
	v_mov_b32_e32 v111, v31
	v_lshl_add_u64 v[108:109], v[108:109], 0, v[110:111]
	global_load_dwordx4 v[108:111], v[108:109], off offset:128
	s_waitcnt vmcnt(0)
	ds_write_b128 v80, v[108:111]
.LBB9_285:                              ;   in Loop: Header=BB9_281 Depth=1
	s_or_b64 exec, exec, s[14:15]
	s_waitcnt lgkmcnt(0)
	v_max_f32_e32 v106, v106, v106
	v_max_f32_e32 v65, v65, v65
	;; [unrolled: 1-line block ×3, first 2 shown]
	v_sub_f32_e32 v105, v105, v65
	v_mul_f32_e32 v106, 0x3fb8aa3b, v105
	v_fma_f32 v107, v105, s10, -v106
	v_rndne_f32_e32 v108, v106
	v_fmac_f32_e32 v107, 0x32a5705f, v105
	v_sub_f32_e32 v106, v106, v108
	v_add_f32_e32 v106, v106, v107
	v_exp_f32_e32 v106, v106
	v_cvt_i32_f32_e32 v107, v108
	v_cmp_ngt_f32_e32 vcc, s11, v105
	v_sub_f32_e32 v118, v102, v65
	v_mul_f32_e32 v102, 0x3fb8aa3b, v118
	v_ldexp_f32 v106, v106, v107
	v_sub_f32_e32 v107, v74, v65
	v_mul_f32_e32 v74, 0x3fb8aa3b, v107
	v_fma_f32 v108, v107, s10, -v74
	v_rndne_f32_e32 v109, v74
	v_fmac_f32_e32 v108, 0x32a5705f, v107
	v_sub_f32_e32 v74, v74, v109
	v_add_f32_e32 v74, v74, v108
	v_exp_f32_e32 v108, v74
	v_cvt_i32_f32_e32 v109, v109
	v_cndmask_b32_e32 v74, 0, v106, vcc
	v_sub_f32_e32 v106, v94, v65
	v_mul_f32_e32 v94, 0x3fb8aa3b, v106
	v_cmp_nlt_f32_e32 vcc, s16, v105
	v_ldexp_f32 v105, v108, v109
	v_fma_f32 v108, v106, s10, -v94
	v_rndne_f32_e32 v109, v94
	v_fmac_f32_e32 v108, 0x32a5705f, v106
	v_sub_f32_e32 v94, v94, v109
	v_add_f32_e32 v94, v94, v108
	v_exp_f32_e32 v108, v94
	v_cvt_i32_f32_e32 v109, v109
	v_cndmask_b32_e32 v74, v92, v74, vcc
	v_cmp_ngt_f32_e32 vcc, s11, v107
	v_sub_f32_e32 v119, v103, v65
	v_mul_f32_e32 v103, 0x3fb8aa3b, v119
	v_cndmask_b32_e32 v94, 0, v105, vcc
	v_cmp_nlt_f32_e32 vcc, s16, v107
	v_sub_f32_e32 v107, v95, v65
	v_mul_f32_e32 v95, 0x3fb8aa3b, v107
	v_ldexp_f32 v105, v108, v109
	v_fma_f32 v108, v107, s10, -v95
	v_rndne_f32_e32 v109, v95
	v_fmac_f32_e32 v108, 0x32a5705f, v107
	v_sub_f32_e32 v95, v95, v109
	v_add_f32_e32 v95, v95, v108
	v_exp_f32_e32 v108, v95
	v_cvt_i32_f32_e32 v109, v109
	v_cndmask_b32_e32 v94, v92, v94, vcc
	v_cmp_ngt_f32_e32 vcc, s11, v106
	v_sub_f32_e32 v11, v11, v65
	v_sub_f32_e32 v10, v10, v65
	v_cndmask_b32_e32 v95, 0, v105, vcc
	v_cmp_nlt_f32_e32 vcc, s16, v106
	v_sub_f32_e32 v106, v96, v65
	v_mul_f32_e32 v96, 0x3fb8aa3b, v106
	v_ldexp_f32 v105, v108, v109
	v_fma_f32 v108, v106, s10, -v96
	v_rndne_f32_e32 v109, v96
	v_fmac_f32_e32 v108, 0x32a5705f, v106
	v_sub_f32_e32 v96, v96, v109
	v_add_f32_e32 v96, v96, v108
	v_exp_f32_e32 v108, v96
	v_cvt_i32_f32_e32 v109, v109
	v_cndmask_b32_e32 v95, v92, v95, vcc
	v_cmp_ngt_f32_e32 vcc, s11, v107
	v_sub_f32_e32 v8, v8, v65
	s_add_i32 s82, s82, 1
	v_cndmask_b32_e32 v96, 0, v105, vcc
	v_cmp_nlt_f32_e32 vcc, s16, v107
	v_sub_f32_e32 v107, v97, v65
	v_mul_f32_e32 v97, 0x3fb8aa3b, v107
	v_ldexp_f32 v105, v108, v109
	v_fma_f32 v108, v107, s10, -v97
	v_rndne_f32_e32 v109, v97
	v_fmac_f32_e32 v108, 0x32a5705f, v107
	v_sub_f32_e32 v97, v97, v109
	v_add_f32_e32 v97, v97, v108
	v_exp_f32_e32 v108, v97
	v_cvt_i32_f32_e32 v109, v109
	v_cndmask_b32_e32 v96, v92, v96, vcc
	v_cmp_ngt_f32_e32 vcc, s11, v106
	s_add_i32 s8, s8, 64
	s_nop 0
	v_cndmask_b32_e32 v97, 0, v105, vcc
	v_cmp_nlt_f32_e32 vcc, s16, v106
	v_sub_f32_e32 v106, v98, v65
	v_mul_f32_e32 v98, 0x3fb8aa3b, v106
	v_ldexp_f32 v105, v108, v109
	v_fma_f32 v108, v106, s10, -v98
	v_rndne_f32_e32 v109, v98
	v_fmac_f32_e32 v108, 0x32a5705f, v106
	v_sub_f32_e32 v98, v98, v109
	v_add_f32_e32 v98, v98, v108
	v_exp_f32_e32 v108, v98
	v_cvt_i32_f32_e32 v109, v109
	v_cndmask_b32_e32 v97, v92, v97, vcc
	v_cmp_ngt_f32_e32 vcc, s11, v107
	s_nop 1
	v_cndmask_b32_e32 v98, 0, v105, vcc
	v_cmp_nlt_f32_e32 vcc, s16, v107
	v_sub_f32_e32 v107, v99, v65
	v_mul_f32_e32 v99, 0x3fb8aa3b, v107
	v_ldexp_f32 v105, v108, v109
	v_fma_f32 v108, v107, s10, -v99
	v_rndne_f32_e32 v109, v99
	v_fmac_f32_e32 v108, 0x32a5705f, v107
	v_sub_f32_e32 v99, v99, v109
	v_add_f32_e32 v99, v99, v108
	v_exp_f32_e32 v108, v99
	v_cvt_i32_f32_e32 v109, v109
	v_cndmask_b32_e32 v98, v92, v98, vcc
	v_cmp_ngt_f32_e32 vcc, s11, v106
	;; [unrolled: 15-line block ×4, first 2 shown]
	s_nop 1
	v_cndmask_b32_e32 v101, 0, v105, vcc
	v_cmp_nlt_f32_e32 vcc, s16, v106
	v_ldexp_f32 v105, v108, v109
	v_fma_f32 v106, v118, s10, -v102
	v_rndne_f32_e32 v108, v102
	v_fmac_f32_e32 v106, 0x32a5705f, v118
	v_sub_f32_e32 v102, v102, v108
	v_add_f32_e32 v102, v102, v106
	v_exp_f32_e32 v106, v102
	v_cvt_i32_f32_e32 v108, v108
	v_cndmask_b32_e32 v101, v92, v101, vcc
	v_cmp_ngt_f32_e32 vcc, s11, v107
	s_nop 1
	v_cndmask_b32_e32 v102, 0, v105, vcc
	v_cmp_nlt_f32_e32 vcc, s16, v107
	v_ldexp_f32 v105, v106, v108
	v_fma_f32 v106, v119, s10, -v103
	v_rndne_f32_e32 v107, v103
	v_fmac_f32_e32 v106, 0x32a5705f, v119
	v_sub_f32_e32 v103, v103, v107
	v_add_f32_e32 v103, v103, v106
	v_cvt_i32_f32_e32 v121, v107
	v_lshl_add_u64 v[106:107], v[12:13], 2, s[12:13]
	v_lshl_add_u64 v[106:107], v[106:107], 0, v[30:31]
	;; [unrolled: 1-line block ×4, first 2 shown]
	global_load_dwordx4 v[110:113], v[106:107], off
	global_load_dwordx4 v[114:117], v[108:109], off
	v_sub_f32_e32 v106, v104, v65
	v_mul_f32_e32 v104, 0x3fb8aa3b, v106
	v_fma_f32 v107, v106, s10, -v104
	v_rndne_f32_e32 v108, v104
	v_fmac_f32_e32 v107, 0x32a5705f, v106
	v_sub_f32_e32 v104, v104, v108
	v_exp_f32_e32 v120, v103
	v_add_f32_e32 v104, v104, v107
	v_exp_f32_e32 v107, v104
	v_cvt_i32_f32_e32 v108, v108
	v_cndmask_b32_e32 v102, v92, v102, vcc
	v_cmp_ngt_f32_e32 vcc, s11, v118
	s_waitcnt vmcnt(1)
	ds_write_b128 v17, v[110:113]
	s_waitcnt vmcnt(0)
	ds_write_b128 v78, v[114:117]
	v_cndmask_b32_e32 v105, 0, v105, vcc
	v_cmp_nlt_f32_e32 vcc, s16, v118
	s_waitcnt lgkmcnt(0)
	s_barrier
	v_cndmask_b32_e32 v103, v92, v105, vcc
	v_ldexp_f32 v105, v120, v121
	v_cmp_ngt_f32_e32 vcc, s11, v119
	v_sub_f32_e32 v120, v9, v65
	v_mul_f32_e32 v9, 0x3fb8aa3b, v120
	v_cndmask_b32_e32 v104, 0, v105, vcc
	v_ldexp_f32 v105, v107, v108
	v_mul_f32_e32 v107, 0x3fb8aa3b, v11
	v_fma_f32 v108, v11, s10, -v107
	v_rndne_f32_e32 v109, v107
	v_fmac_f32_e32 v108, 0x32a5705f, v11
	v_sub_f32_e32 v107, v107, v109
	v_add_f32_e32 v107, v107, v108
	v_exp_f32_e32 v107, v107
	v_cvt_i32_f32_e32 v108, v109
	v_cmp_nlt_f32_e32 vcc, s16, v119
	v_cvt_pk_f16_f32 v121, v99, v100
	s_nop 0
	v_cndmask_b32_e32 v104, v92, v104, vcc
	v_cmp_ngt_f32_e32 vcc, s11, v106
	v_cvt_pk_f16_f32 v123, v103, v104
	v_cvt_pk_f16_f32 v122, v101, v102
	v_cndmask_b32_e32 v105, 0, v105, vcc
	v_cmp_nlt_f32_e32 vcc, s16, v106
	v_ldexp_f32 v106, v107, v108
	v_mul_f32_e32 v107, 0x3fb8aa3b, v10
	v_fma_f32 v108, v10, s10, -v107
	v_rndne_f32_e32 v109, v107
	v_fmac_f32_e32 v108, 0x32a5705f, v10
	v_sub_f32_e32 v107, v107, v109
	v_add_f32_e32 v107, v107, v108
	v_cvt_i32_f32_e32 v108, v109
	v_mul_f32_e32 v109, 0x3fb8aa3b, v8
	v_fma_f32 v118, v8, s10, -v109
	v_rndne_f32_e32 v119, v109
	v_exp_f32_e32 v107, v107
	v_fmac_f32_e32 v118, 0x32a5705f, v8
	v_sub_f32_e32 v109, v109, v119
	v_add_f32_e32 v109, v109, v118
	v_exp_f32_e32 v109, v109
	v_cvt_i32_f32_e32 v118, v119
	v_cndmask_b32_e32 v105, v92, v105, vcc
	v_cmp_ngt_f32_e32 vcc, s11, v11
	s_nop 1
	v_cndmask_b32_e32 v106, 0, v106, vcc
	v_cmp_nlt_f32_e32 vcc, s16, v11
	v_ldexp_f32 v11, v107, v108
	v_fma_f32 v107, v120, s10, -v9
	v_rndne_f32_e32 v108, v9
	v_cndmask_b32_e32 v106, v92, v106, vcc
	v_cmp_ngt_f32_e32 vcc, s11, v10
	v_fmac_f32_e32 v107, 0x32a5705f, v120
	v_sub_f32_e32 v9, v9, v108
	v_cndmask_b32_e32 v11, 0, v11, vcc
	v_add_f32_e32 v9, v9, v107
	v_ldexp_f32 v107, v109, v118
	v_cmp_ngt_f32_e32 vcc, s11, v8
	v_exp_f32_e32 v9, v9
	v_cvt_i32_f32_e32 v119, v108
	v_cndmask_b32_e32 v107, 0, v107, vcc
	v_cmp_nlt_f32_e32 vcc, s16, v8
	v_cvt_pk_f16_f32 v124, v105, v106
	v_ldexp_f32 v118, v9, v119
	v_cndmask_b32_e32 v107, v92, v107, vcc
	v_cmp_le_f32_e32 vcc, s17, v8
	v_cvt_pk_f16_f32 v119, v95, v96
	s_nop 0
	v_cndmask_b32_e32 v107, 0, v107, vcc
	v_cvt_f16_f32_e32 v8, v107
	v_cmp_nlt_f32_e32 vcc, s16, v10
	v_mul_u32_u24_e32 v109, 0x10001, v8
	s_nop 0
	v_cndmask_b32_e32 v108, v92, v11, vcc
	v_pk_mul_f16 v9, v77, v109
	v_pk_mul_f16 v11, v76, v109
	ds_read_u16 v76, v86
	ds_read_u16 v113, v86 offset:32
	ds_read_u16 v110, v86 offset:2816
	;; [unrolled: 1-line block ×7, first 2 shown]
	ds_read_u16 v77, v87
	ds_read_u16 v115, v87 offset:32
	ds_read_u16 v129, v87 offset:64
	;; [unrolled: 1-line block ×4, first 2 shown]
	s_waitcnt lgkmcnt(4)
	v_perm_b32 v77, v77, v76, s18
	ds_read_u16 v76, v85 offset:176
	ds_read_u16 v111, v85
	ds_read_u16 v116, v85 offset:32
	ds_read_u16 v132, v85 offset:208
	;; [unrolled: 1-line block ×6, first 2 shown]
	s_waitcnt lgkmcnt(6)
	v_perm_b32 v76, v76, v111, s18
	v_cvt_f32_f16_e32 v8, v9
	v_cvt_f32_f16_sdwa v9, v9 dst_sel:DWORD dst_unused:UNUSED_PAD src0_sel:WORD_1
	v_cvt_f32_f16_e32 v10, v11
	v_cvt_f32_f16_sdwa v11, v11 dst_sel:DWORD dst_unused:UNUSED_PAD src0_sel:WORD_1
	v_cmp_ngt_f32_e32 vcc, s11, v120
	v_pk_mul_f16 v60, v60, v109
	v_pk_mul_f16 v57, v57, v109
	v_cndmask_b32_e32 v111, 0, v118, vcc
	v_cvt_pk_f16_f32 v118, v74, v94
	v_cmp_nlt_f32_e32 vcc, s16, v120
	v_cvt_pk_f16_f32 v120, v97, v98
	v_mfma_f32_16x16x16_f16 v[8:11], v[76:77], v[118:119], v[8:11]
	ds_read_u16 v76, v87 offset:2816
	ds_read_u16 v112, v87 offset:5632
	;; [unrolled: 1-line block ×8, first 2 shown]
	s_waitcnt lgkmcnt(7)
	v_perm_b32 v77, v76, v110, s18
	ds_read_u16 v76, v85 offset:2816
	ds_read_u16 v110, v85 offset:2992
	;; [unrolled: 1-line block ×7, first 2 shown]
	v_cvt_f16_f32_e32 v8, v8
	v_cvt_f16_f32_e32 v9, v9
	;; [unrolled: 1-line block ×4, first 2 shown]
	s_waitcnt lgkmcnt(5)
	v_perm_b32 v76, v110, v76, s18
	v_cvt_f32_f16_e32 v8, v8
	v_cvt_f32_f16_e32 v9, v9
	;; [unrolled: 1-line block ×4, first 2 shown]
	v_cndmask_b32_e32 v148, v92, v111, vcc
	v_cvt_pk_f16_f32 v125, v108, v148
	v_mfma_f32_16x16x16_f16 v[8:11], v[76:77], v[120:121], v[8:11]
	ds_read_u16 v76, v86 offset:5632
	ds_read_u16 v110, v86 offset:8448
	;; [unrolled: 1-line block ×7, first 2 shown]
	s_waitcnt lgkmcnt(6)
	v_perm_b32 v77, v112, v76, s18
	ds_read_u16 v76, v85 offset:5632
	ds_read_u16 v154, v85 offset:5664
	;; [unrolled: 1-line block ×13, first 2 shown]
	v_cvt_f16_f32_e32 v8, v8
	v_cvt_f16_f32_e32 v9, v9
	;; [unrolled: 1-line block ×4, first 2 shown]
	s_waitcnt lgkmcnt(7)
	v_perm_b32 v76, v111, v76, s18
	v_cvt_f32_f16_e32 v8, v8
	v_cvt_f32_f16_e32 v9, v9
	;; [unrolled: 1-line block ×4, first 2 shown]
	v_cvt_f32_f16_sdwa v111, v60 dst_sel:DWORD dst_unused:UNUSED_PAD src0_sel:WORD_1
	v_pk_mul_f16 v56, v56, v109
	v_mfma_f32_16x16x16_f16 v[8:11], v[76:77], v[122:123], v[8:11]
	ds_read_u16 v76, v87 offset:8448
	ds_read_u16 v164, v87 offset:8480
	;; [unrolled: 1-line block ×6, first 2 shown]
	s_waitcnt lgkmcnt(5)
	v_perm_b32 v77, v76, v110, s18
	ds_read_u16 v76, v85 offset:8624
	ds_read_u16 v169, v85 offset:8656
	;; [unrolled: 1-line block ×6, first 2 shown]
	v_cvt_f16_f32_e32 v8, v8
	v_cvt_f16_f32_e32 v9, v9
	;; [unrolled: 1-line block ×4, first 2 shown]
	s_waitcnt lgkmcnt(5)
	v_perm_b32 v76, v76, v112, s18
	v_cvt_f32_f16_e32 v8, v8
	v_cvt_f32_f16_e32 v9, v9
	;; [unrolled: 1-line block ×6, first 2 shown]
	v_mfma_f32_16x16x16_f16 v[8:11], v[76:77], v[124:125], v[8:11]
	v_perm_b32 v77, v115, v113, s18
	v_perm_b32 v76, v132, v116, s18
	v_cvt_f32_f16_sdwa v113, v57 dst_sel:DWORD dst_unused:UNUSED_PAD src0_sel:WORD_1
	ds_read_u16 v57, v85 offset:3024
	ds_read_u16 v60, v85 offset:3056
	;; [unrolled: 1-line block ×3, first 2 shown]
	v_mfma_f32_16x16x16_f16 v[110:113], v[76:77], v[118:119], v[110:113]
	v_pk_mul_f16 v55, v55, v109
	v_cvt_f32_f16_sdwa v115, v56 dst_sel:DWORD dst_unused:UNUSED_PAD src0_sel:WORD_1
	v_cvt_f32_f16_e32 v116, v55
	s_nop 4
	v_cvt_f16_f32_e32 v76, v110
	v_cvt_f16_f32_e32 v77, v111
	v_cvt_f16_f32_e32 v112, v112
	v_cvt_f16_f32_e32 v113, v113
	v_cvt_f32_f16_e32 v110, v76
	v_cvt_f32_f16_e32 v111, v77
	v_perm_b32 v77, v137, v114, s18
	s_waitcnt lgkmcnt(2)
	v_perm_b32 v76, v57, v143, s18
	v_cvt_f32_f16_e32 v112, v112
	v_cvt_f32_f16_e32 v113, v113
	v_cvt_f32_f16_e32 v114, v56
	v_perm_b32 v56, v134, v133, s18
	v_mfma_f32_16x16x16_f16 v[110:113], v[76:77], v[120:121], v[110:113]
	v_pk_mul_f16 v53, v53, v109
	v_pk_mul_f16 v51, v51, v109
	v_cmp_lt_i32_e32 vcc, s82, v75
	s_and_b64 vcc, exec, vcc
	s_nop 3
	v_cvt_f16_f32_e32 v76, v111
	v_cvt_f16_f32_e32 v77, v112
	;; [unrolled: 1-line block ×4, first 2 shown]
	v_cvt_f32_f16_e32 v111, v76
	v_cvt_f32_f16_e32 v112, v77
	v_perm_b32 v77, v138, v149, s18
	v_perm_b32 v76, v158, v154, s18
	v_cvt_f32_f16_e32 v110, v57
	v_cvt_f32_f16_e32 v113, v113
	ds_read_u16 v57, v86 offset:8480
	ds_read_u16 v137, v86 offset:8512
	;; [unrolled: 1-line block ×3, first 2 shown]
	v_mfma_f32_16x16x16_f16 v[110:113], v[76:77], v[122:123], v[110:113]
	s_nop 7
	v_cvt_f16_f32_e32 v77, v111
	v_cvt_f16_f32_e32 v76, v110
	;; [unrolled: 1-line block ×4, first 2 shown]
	v_cvt_f32_f16_e32 v111, v77
	s_waitcnt lgkmcnt(2)
	v_perm_b32 v77, v164, v57, s18
	v_perm_b32 v57, v129, v117, s18
	v_cvt_f32_f16_sdwa v117, v55 dst_sel:DWORD dst_unused:UNUSED_PAD src0_sel:WORD_1
	v_cvt_f32_f16_e32 v110, v76
	v_perm_b32 v76, v169, v159, s18
	v_mfma_f32_16x16x16_f16 v[114:117], v[56:57], v[118:119], v[114:117]
	v_cvt_f32_f16_e32 v112, v112
	v_cvt_f32_f16_e32 v113, v113
	s_nop 1
	v_mfma_f32_16x16x16_f16 v[110:113], v[76:77], v[124:125], v[110:113]
	s_nop 2
	v_cvt_f16_f32_e32 v56, v115
	v_cvt_f16_f32_e32 v57, v116
	;; [unrolled: 1-line block ×4, first 2 shown]
	v_cvt_f32_f16_e32 v115, v56
	v_cvt_f32_f16_e32 v116, v57
	v_perm_b32 v57, v139, v126, s18
	v_perm_b32 v56, v60, v144, s18
	v_cvt_f32_f16_e32 v114, v55
	v_cvt_f32_f16_e32 v117, v76
	ds_read_u16 v55, v87 offset:5696
	ds_read_u16 v60, v87 offset:5728
	v_mfma_f32_16x16x16_f16 v[114:117], v[56:57], v[120:121], v[114:117]
	s_nop 7
	v_cvt_f16_f32_e32 v56, v114
	v_cvt_f16_f32_e32 v57, v115
	;; [unrolled: 1-line block ×4, first 2 shown]
	v_cvt_f32_f16_e32 v114, v56
	v_cvt_f32_f16_e32 v115, v57
	s_waitcnt lgkmcnt(1)
	v_perm_b32 v57, v55, v150, s18
	v_perm_b32 v56, v160, v155, s18
	v_cvt_f32_f16_e32 v116, v76
	v_cvt_f32_f16_e32 v117, v77
	ds_read_u16 v55, v85 offset:8512
	ds_read_u16 v126, v85 offset:8544
	v_mfma_f32_16x16x16_f16 v[114:117], v[56:57], v[122:123], v[114:117]
	s_nop 7
	v_cvt_f16_f32_e32 v56, v114
	v_cvt_f16_f32_e32 v57, v115
	;; [unrolled: 1-line block ×4, first 2 shown]
	v_cvt_f32_f16_e32 v114, v56
	v_cvt_f32_f16_e32 v115, v57
	v_cvt_f32_f16_e32 v116, v76
	v_perm_b32 v57, v165, v137, s18
	s_waitcnt lgkmcnt(1)
	v_perm_b32 v56, v170, v55, s18
	ds_read_u16 v76, v85 offset:272
	v_cvt_f32_f16_e32 v117, v77
	v_pk_mul_f16 v55, v54, v109
	v_perm_b32 v77, v130, v127, s18
	v_mfma_f32_16x16x16_f16 v[114:117], v[56:57], v[124:125], v[114:117]
	v_cvt_f32_f16_e32 v56, v53
	v_cvt_f32_f16_sdwa v57, v53 dst_sel:DWORD dst_unused:UNUSED_PAD src0_sel:WORD_1
	ds_read_u16 v53, v86 offset:2912
	s_waitcnt lgkmcnt(1)
	v_perm_b32 v76, v76, v135, s18
	v_cvt_f32_f16_e32 v54, v55
	v_cvt_f32_f16_sdwa v55, v55 dst_sel:DWORD dst_unused:UNUSED_PAD src0_sel:WORD_1
	s_waitcnt lgkmcnt(0)
	s_barrier
	v_mfma_f32_16x16x16_f16 v[54:57], v[76:77], v[118:119], v[54:57]
	v_perm_b32 v77, v140, v53, s18
	v_perm_b32 v76, v132, v145, s18
	s_nop 5
	v_cvt_f16_f32_e32 v54, v54
	v_cvt_f16_f32_e32 v55, v55
	;; [unrolled: 1-line block ×4, first 2 shown]
	v_cvt_f32_f16_e32 v54, v54
	v_cvt_f32_f16_e32 v55, v55
	;; [unrolled: 1-line block ×4, first 2 shown]
	s_nop 1
	v_mfma_f32_16x16x16_f16 v[54:57], v[76:77], v[120:121], v[54:57]
	v_perm_b32 v77, v60, v151, s18
	v_perm_b32 v76, v161, v156, s18
	s_nop 5
	v_cvt_f16_f32_e32 v53, v54
	v_cvt_f16_f32_e32 v55, v55
	;; [unrolled: 1-line block ×4, first 2 shown]
	v_cvt_f32_f16_e32 v54, v53
	v_cvt_f32_f16_e32 v55, v55
	;; [unrolled: 1-line block ×4, first 2 shown]
	v_add_f32_e32 v53, v74, v94
	v_add_f32_e32 v53, v95, v53
	v_mfma_f32_16x16x16_f16 v[54:57], v[76:77], v[122:123], v[54:57]
	v_perm_b32 v77, v166, v138, s18
	v_perm_b32 v76, v171, v126, s18
	v_add_f32_e32 v53, v96, v53
	v_add_f32_e32 v60, v97, v53
	s_nop 3
	v_cvt_f16_f32_e32 v54, v54
	v_cvt_f16_f32_e32 v55, v55
	v_cvt_f16_f32_e32 v56, v56
	v_cvt_f16_f32_e32 v57, v57
	v_cvt_f32_f16_e32 v54, v54
	v_cvt_f32_f16_e32 v55, v55
	;; [unrolled: 1-line block ×4, first 2 shown]
	v_pk_mul_f16 v53, v52, v109
	s_nop 0
	v_mfma_f32_16x16x16_f16 v[94:97], v[76:77], v[124:125], v[54:57]
	v_cvt_f32_f16_e32 v52, v53
	v_cvt_f32_f16_sdwa v53, v53 dst_sel:DWORD dst_unused:UNUSED_PAD src0_sel:WORD_1
	s_nop 0
	v_perm_b32 v57, v142, v128, s18
	v_perm_b32 v56, v147, v136, s18
	v_cvt_f32_f16_e32 v54, v51
	v_cvt_f32_f16_sdwa v55, v51 dst_sel:DWORD dst_unused:UNUSED_PAD src0_sel:WORD_1
	v_add_f32_e32 v51, v98, v60
	v_add_f32_e32 v51, v99, v51
	v_mfma_f32_16x16x16_f16 v[52:55], v[56:57], v[118:119], v[52:55]
	v_perm_b32 v57, v141, v153, s18
	v_perm_b32 v56, v157, v146, s18
	v_add_f32_e32 v51, v100, v51
	v_add_f32_e32 v51, v101, v51
	s_nop 3
	v_cvt_f16_f32_e32 v52, v52
	v_cvt_f16_f32_e32 v53, v53
	;; [unrolled: 1-line block ×4, first 2 shown]
	v_cvt_f32_f16_e32 v52, v52
	v_cvt_f32_f16_e32 v53, v53
	;; [unrolled: 1-line block ×4, first 2 shown]
	v_add_f32_e32 v51, v102, v51
	v_add_f32_e32 v51, v103, v51
	v_mfma_f32_16x16x16_f16 v[52:55], v[56:57], v[120:121], v[52:55]
	v_perm_b32 v57, v168, v152, s18
	v_perm_b32 v56, v162, v163, s18
	v_add_f32_e32 v51, v104, v51
	v_add_f32_e32 v51, v105, v51
	s_nop 3
	v_cvt_f16_f32_e32 v52, v52
	v_cvt_f16_f32_e32 v53, v53
	;; [unrolled: 1-line block ×4, first 2 shown]
	v_cvt_f32_f16_e32 v52, v52
	v_cvt_f32_f16_e32 v53, v53
	;; [unrolled: 1-line block ×4, first 2 shown]
	v_add_f32_e32 v51, v106, v51
	v_add_f32_e32 v51, v108, v51
	v_mfma_f32_16x16x16_f16 v[52:55], v[56:57], v[122:123], v[52:55]
	v_perm_b32 v57, v167, v131, s18
	v_perm_b32 v56, v172, v173, s18
	v_add_f32_e32 v74, v148, v51
	v_fmac_f32_e32 v74, v93, v107
	s_nop 3
	v_cvt_f16_f32_e32 v52, v52
	v_cvt_f16_f32_e32 v53, v53
	;; [unrolled: 1-line block ×4, first 2 shown]
	v_cvt_f32_f16_e32 v52, v52
	v_cvt_f32_f16_e32 v53, v53
	;; [unrolled: 1-line block ×4, first 2 shown]
	v_cvt_pk_f16_f32 v60, v110, v111
	v_cvt_pk_f16_f32 v77, v8, v9
	v_mfma_f32_16x16x16_f16 v[98:101], v[56:57], v[124:125], v[52:55]
	v_cvt_pk_f16_f32 v57, v112, v113
	v_cvt_pk_f16_f32 v76, v10, v11
	v_cvt_pk_f16_f32 v56, v114, v115
	v_cvt_pk_f16_f32 v55, v116, v117
	v_cvt_pk_f16_f32 v54, v94, v95
	v_cvt_pk_f16_f32 v53, v96, v97
	s_nop 1
	v_cvt_pk_f16_f32 v52, v98, v99
	v_cvt_pk_f16_f32 v51, v100, v101
	s_cbranch_vccz .LBB9_288
; %bb.286:                              ;   in Loop: Header=BB9_281 Depth=1
	v_mov_b32_e32 v93, v74
	v_mov_b32_e32 v8, v65
	s_branch .LBB9_281
.LBB9_287:
	v_mov_b32_e32 v65, 0xfeffffff
	v_mov_b32_e32 v51, 0
	;; [unrolled: 1-line block ×11, first 2 shown]
	v_readlane_b32 s19, v187, 6
	s_branch .LBB9_289
.LBB9_288:
	v_mov_b64_e32 v[8:9], s[34:35]
.LBB9_289:
	s_lshl_b32 s8, s82, 6
	s_ashr_i32 s9, s8, 31
	s_lshl_b64 s[0:1], s[8:9], 1
	s_add_u32 s0, s6, s0
	s_addc_u32 s1, s7, s1
	v_mov_b32_e32 v17, 0
	v_lshl_add_u64 v[10:11], s[0:1], 0, v[16:17]
	v_lshl_add_u64 v[24:25], v[24:25], 1, v[10:11]
	;; [unrolled: 1-line block ×3, first 2 shown]
	global_load_dword v28, v[24:25], off
	global_load_dword v29, v[10:11], off
	v_add_u32_e32 v10, 0, v16
	v_add_u32_e32 v16, v10, v71
	;; [unrolled: 1-line block ×3, first 2 shown]
	v_mul_hi_u32 v11, v8, s8
	v_mul_lo_u32 v10, v8, s8
	v_mul_lo_u32 v8, v8, s9
	;; [unrolled: 1-line block ×3, first 2 shown]
	v_add_u32_e32 v8, v11, v8
	v_add_u32_e32 v11, v8, v9
	v_cmp_gt_u32_e32 vcc, 64, v64
	v_lshlrev_b64 v[8:9], 2, v[10:11]
	v_cmp_lt_u32_e64 s[0:1], 63, v64
	s_waitcnt vmcnt(1)
	ds_write_b32 v16, v28 offset:11264
	s_waitcnt vmcnt(0)
	ds_write_b32 v24, v29 offset:11264
                                        ; implicit-def: $vgpr24
	s_and_saveexec_b64 s[6:7], s[0:1]
	s_xor_b64 s[0:1], exec, s[6:7]
; %bb.290:
	v_mul_i32_i24_e32 v24, 0xb0, v64
	v_and_or_b32 v16, v72, 4, 32
                                        ; implicit-def: $vgpr72
; %bb.291:
	s_or_saveexec_b64 s[0:1], s[0:1]
	v_lshl_add_u64 v[10:11], s[4:5], 0, v[8:9]
	s_xor_b64 exec, exec, s[0:1]
	s_cbranch_execz .LBB9_293
; %bb.292:
	v_mul_lo_u32 v8, v64, s34
	v_ashrrev_i32_e32 v9, 31, v8
	v_and_b32_e32 v16, 4, v72
	v_mov_b32_e32 v17, 0
	v_lshl_add_u64 v[8:9], v[8:9], 2, v[10:11]
	v_lshlrev_b32_e32 v32, 2, v16
	v_mov_b32_e32 v33, v17
	v_lshl_add_u64 v[8:9], v[8:9], 0, v[32:33]
	global_load_dwordx4 v[28:31], v[8:9], off offset:128
	v_mul_i32_i24_e32 v24, 0xb0, v64
	v_or_b32_e32 v16, 32, v16
	v_add3_u32 v8, 0, v24, v32
	s_waitcnt vmcnt(0)
	ds_write_b128 v8, v[28:31] offset:128
.LBB9_293:
	s_or_b64 exec, exec, s[0:1]
	v_lshl_add_u64 v[20:21], v[20:21], 2, v[10:11]
	v_lshlrev_b64 v[8:9], 2, v[18:19]
	v_lshl_add_u64 v[32:33], v[20:21], 0, v[8:9]
	v_lshl_add_u64 v[10:11], v[22:23], 2, v[10:11]
	;; [unrolled: 1-line block ×3, first 2 shown]
	global_load_dwordx4 v[20:23], v[32:33], off
	global_load_dwordx4 v[28:31], v[10:11], off
	v_lshlrev_b32_e32 v11, 2, v18
	v_add3_u32 v25, 0, v67, v50
	v_add3_u32 v10, 0, v69, v11
	;; [unrolled: 1-line block ×3, first 2 shown]
	v_add_u32_e32 v32, 0x2000, v25
	s_movk_i32 s0, 0x90
	s_waitcnt vmcnt(1)
	ds_write_b128 v10, v[20:23]
	s_waitcnt vmcnt(0)
	ds_write_b128 v11, v[28:31]
	v_add_u32_e32 v22, 0x800, v25
	v_add_u32_e32 v23, 0x1000, v25
	s_waitcnt lgkmcnt(0)
	s_barrier
	ds_read2_b64 v[18:21], v25 offset1:4
	ds_read2_b64 v[36:39], v22 offset0:96 offset1:100
	ds_read2_b64 v[78:81], v23 offset0:192 offset1:196
	;; [unrolled: 1-line block ×3, first 2 shown]
	s_waitcnt lgkmcnt(3)
	v_mfma_f32_16x16x16_f16 v[28:31], v[18:19], v[4:5], 0
	s_waitcnt lgkmcnt(2)
	v_mfma_f32_16x16x16_f16 v[70:73], v[36:37], v[4:5], 0
	s_waitcnt lgkmcnt(1)
	v_mfma_f32_16x16x16_f16 v[82:85], v[78:79], v[4:5], 0
	s_waitcnt lgkmcnt(0)
	v_mfma_f32_16x16x16_f16 v[90:93], v[86:87], v[4:5], 0
	v_mfma_f32_16x16x16_f16 v[18:21], v[20:21], v[6:7], v[28:31]
	v_mfma_f32_16x16x16_f16 v[28:31], v[38:39], v[6:7], v[70:73]
	;; [unrolled: 1-line block ×3, first 2 shown]
	s_nop 1
	ds_read2_b64 v[70:73], v25 offset0:8 offset1:12
	ds_read2_b64 v[78:81], v22 offset0:104 offset1:108
	v_and_or_b32 v22, v48, 12, v59
	ds_read2_b64 v[82:85], v23 offset0:200 offset1:204
	v_mfma_f32_16x16x16_f16 v[4:7], v[88:89], v[6:7], v[90:93]
	ds_read2_b64 v[86:89], v32 offset0:40 offset1:44
	v_lshrrev_b32_e32 v22, 2, v22
	v_and_b32_e32 v23, 0x1f8, v66
	s_waitcnt lgkmcnt(3)
	v_mfma_f32_16x16x16_f16 v[18:21], v[70:71], v[0:1], v[18:21]
	v_mad_u32_u24 v22, v22, s0, 0
	v_add_u32_e32 v34, v22, v23
	v_add_u32_e32 v68, v22, v68
	s_waitcnt lgkmcnt(2)
	v_mfma_f32_16x16x16_f16 v[28:31], v[78:79], v[0:1], v[28:31]
	v_add_u32_e32 v69, 0x2c20, v34
	v_add_u32_e32 v70, 0x2c40, v34
	;; [unrolled: 1-line block ×3, first 2 shown]
	s_waitcnt lgkmcnt(1)
	v_mfma_f32_16x16x16_f16 v[36:39], v[82:83], v[0:1], v[36:39]
	ds_read_b64 v[22:23], v25 offset:128
	ds_read_b64 v[32:33], v25 offset:2944
	;; [unrolled: 1-line block ×4, first 2 shown]
	s_waitcnt lgkmcnt(0)
	s_barrier
	v_mfma_f32_16x16x16_f16 v[4:7], v[86:87], v[0:1], v[4:7]
	v_mfma_f32_16x16x16_f16 v[18:21], v[72:73], v[2:3], v[18:21]
	ds_read_b32 v0, v34 offset:11264
	ds_read_b32 v1, v68 offset:11264
	ds_read2_b32 v[68:69], v69 offset1:1
	ds_read2_b32 v[70:71], v70 offset1:1
	;; [unrolled: 1-line block ×3, first 2 shown]
	s_waitcnt lgkmcnt(4)
	v_cvt_f32_f16_e32 v25, v0
	v_cvt_f32_f16_sdwa v34, v0 dst_sel:DWORD dst_unused:UNUSED_PAD src0_sel:WORD_1
	v_mfma_f32_16x16x16_f16 v[28:31], v[80:81], v[2:3], v[28:31]
	s_waitcnt lgkmcnt(3)
	v_cvt_f32_f16_e32 v75, v1
	v_cvt_f32_f16_sdwa v78, v1 dst_sel:DWORD dst_unused:UNUSED_PAD src0_sel:WORD_1
	s_waitcnt lgkmcnt(2)
	v_cvt_f32_f16_e32 v79, v68
	v_mfma_f32_16x16x16_f16 v[36:39], v[84:85], v[2:3], v[36:39]
	v_cvt_f32_f16_e32 v80, v69
	v_cvt_f32_f16_sdwa v68, v68 dst_sel:DWORD dst_unused:UNUSED_PAD src0_sel:WORD_1
	s_waitcnt lgkmcnt(1)
	v_cvt_f32_f16_e32 v81, v71
	v_mfma_f32_16x16x16_f16 v[0:3], v[88:89], v[2:3], v[4:7]
	v_cvt_f32_f16_sdwa v71, v71 dst_sel:DWORD dst_unused:UNUSED_PAD src0_sel:WORD_1
	s_waitcnt lgkmcnt(0)
	v_cvt_f32_f16_e32 v82, v72
	v_mfma_f32_16x16x16_f16 v[4:7], v[22:23], v[14:15], v[18:21]
	v_cvt_f32_f16_sdwa v23, v69 dst_sel:DWORD dst_unused:UNUSED_PAD src0_sel:WORD_1
	v_cvt_f32_f16_e32 v69, v70
	v_cvt_f32_f16_sdwa v70, v70 dst_sel:DWORD dst_unused:UNUSED_PAD src0_sel:WORD_1
	v_mfma_f32_16x16x16_f16 v[18:21], v[32:33], v[14:15], v[28:31]
	v_mfma_f32_16x16x16_f16 v[30:33], v[40:41], v[14:15], v[36:39]
	v_cvt_f32_f16_sdwa v40, v72 dst_sel:DWORD dst_unused:UNUSED_PAD src0_sel:WORD_1
	s_nop 1
	v_add_f32_e32 v29, v7, v78
	s_nop 2
	v_add_f32_e32 v28, v18, v79
	v_mfma_f32_16x16x16_f16 v[36:39], v[66:67], v[14:15], v[0:3]
	v_add_f32_e32 v14, v4, v25
	v_add_f32_e32 v4, v5, v34
	;; [unrolled: 1-line block ×6, first 2 shown]
	v_cvt_f32_f16_e32 v41, v73
	v_cvt_f32_f16_sdwa v72, v73 dst_sel:DWORD dst_unused:UNUSED_PAD src0_sel:WORD_1
	v_add_f32_e32 v19, v19, v68
	v_add_f32_e32 v23, v21, v23
	;; [unrolled: 1-line block ×5, first 2 shown]
	v_max3_f32 v18, v65, v18, v20
	v_add_f32_e32 v7, v31, v70
	v_add_f32_e32 v6, v32, v81
	;; [unrolled: 1-line block ×4, first 2 shown]
	v_max3_f32 v18, v18, v21, v30
	v_add_f32_e32 v5, v33, v71
	v_add_f32_e32 v33, 0x40051340, v22
	;; [unrolled: 1-line block ×3, first 2 shown]
	v_max3_f32 v18, v18, v31, v32
	v_add_f32_e32 v3, v36, v82
	v_add_f32_e32 v2, v37, v40
	;; [unrolled: 1-line block ×4, first 2 shown]
	v_max3_f32 v18, v18, v33, v34
	v_add_f32_e32 v1, v38, v41
	v_add_f32_e32 v0, v39, v72
	;; [unrolled: 1-line block ×4, first 2 shown]
	v_max3_f32 v18, v18, v36, v37
	v_max3_f32 v18, v18, v38, v39
	v_add_f32_e32 v20, 0x40051340, v3
	v_add_f32_e32 v21, 0x40051340, v2
	v_max3_f32 v18, v18, v20, v21
	v_add_f32_e32 v20, 0x40051340, v1
	v_add_f32_e32 v21, 0x40051340, v0
	v_max3_f32 v20, v18, v20, v21
	v_mbcnt_hi_u32_b32 v21, -1, v61
	v_and_b32_e32 v18, 64, v21
	v_add_u32_e32 v30, 64, v18
	v_xor_b32_e32 v18, 32, v21
	v_cmp_lt_i32_e64 s[0:1], v18, v30
	s_nop 1
	v_cndmask_b32_e64 v18, v21, v18, s[0:1]
	v_lshlrev_b32_e32 v18, 2, v18
	ds_bpermute_b32 v31, v18, v20
	s_waitcnt lgkmcnt(0)
	v_max_f32_e32 v31, v31, v31
	v_max_f32_e32 v20, v20, v31
	v_xor_b32_e32 v31, 16, v21
	v_cmp_lt_i32_e64 s[0:1], v31, v30
	s_nop 1
	v_cndmask_b32_e64 v21, v21, v31, s[0:1]
	v_lshlrev_b32_e32 v21, 2, v21
	ds_bpermute_b32 v30, v21, v20
	s_mul_hi_i32 s1, s8, s30
	s_mul_i32 s0, s8, s30
	s_lshl_b64 s[0:1], s[0:1], 2
	s_add_u32 s0, s2, s0
	s_addc_u32 s1, s3, s1
	s_and_saveexec_b64 s[4:5], vcc
	s_cbranch_execz .LBB9_295
; %bb.294:
	v_mul_lo_u32 v32, v64, s30
	v_ashrrev_i32_e32 v33, 31, v32
	v_lshl_add_u64 v[32:33], v[32:33], 2, s[0:1]
	v_lshl_add_u64 v[32:33], v[16:17], 2, v[32:33]
	global_load_dwordx4 v[36:39], v[32:33], off
	v_lshlrev_b32_e32 v16, 2, v16
	v_add3_u32 v16, 0, v24, v16
	s_waitcnt vmcnt(0)
	ds_write_b128 v16, v[36:39]
.LBB9_295:
	s_or_b64 exec, exec, s[4:5]
	s_waitcnt lgkmcnt(0)
	v_max_f32_e32 v16, v30, v30
	v_max_f32_e32 v17, v20, v20
	;; [unrolled: 1-line block ×3, first 2 shown]
	v_sub_f32_e32 v14, v14, v20
	s_mov_b32 s4, 0x3fb8aa3b
	v_mul_f32_e32 v16, 0x3fb8aa3b, v14
	v_fma_f32 v17, v14, s4, -v16
	v_rndne_f32_e32 v24, v16
	v_fmac_f32_e32 v17, 0x32a5705f, v14
	v_sub_f32_e32 v16, v16, v24
	v_add_f32_e32 v16, v16, v17
	v_exp_f32_e32 v16, v16
	v_cvt_i32_f32_e32 v17, v24
	s_mov_b32 s3, 0xc2ce8ed0
	v_cmp_ngt_f32_e32 vcc, s3, v14
	s_mov_b32 s2, 0x42b17218
	v_ldexp_f32 v16, v16, v17
	v_sub_f32_e32 v17, v4, v20
	v_mul_f32_e32 v4, 0x3fb8aa3b, v17
	v_fma_f32 v24, v17, s4, -v4
	v_rndne_f32_e32 v30, v4
	v_fmac_f32_e32 v24, 0x32a5705f, v17
	v_sub_f32_e32 v4, v4, v30
	v_add_f32_e32 v4, v4, v24
	v_exp_f32_e32 v24, v4
	v_cvt_i32_f32_e32 v30, v30
	v_cndmask_b32_e32 v16, 0, v16, vcc
	v_mov_b32_e32 v4, 0x7f800000
	v_cmp_nlt_f32_e32 vcc, s2, v14
	v_sub_f32_e32 v28, v28, v20
	v_sub_f32_e32 v25, v25, v20
	v_cndmask_b32_e32 v14, v4, v16, vcc
	v_ldexp_f32 v16, v24, v30
	v_sub_f32_e32 v24, v15, v20
	v_mul_f32_e32 v15, 0x3fb8aa3b, v24
	v_fma_f32 v30, v24, s4, -v15
	v_rndne_f32_e32 v31, v15
	v_fmac_f32_e32 v30, 0x32a5705f, v24
	v_sub_f32_e32 v15, v15, v31
	v_add_f32_e32 v15, v15, v30
	v_exp_f32_e32 v30, v15
	v_cvt_i32_f32_e32 v31, v31
	v_cmp_ngt_f32_e32 vcc, s3, v17
	v_sub_f32_e32 v7, v7, v20
	v_sub_f32_e32 v6, v6, v20
	v_cndmask_b32_e32 v15, 0, v16, vcc
	v_cmp_nlt_f32_e32 vcc, s2, v17
	v_sub_f32_e32 v17, v29, v20
	v_mul_f32_e32 v29, 0x3fb8aa3b, v17
	v_ldexp_f32 v16, v30, v31
	v_fma_f32 v30, v17, s4, -v29
	v_rndne_f32_e32 v31, v29
	v_fmac_f32_e32 v30, 0x32a5705f, v17
	v_sub_f32_e32 v29, v29, v31
	v_add_f32_e32 v29, v29, v30
	v_exp_f32_e32 v29, v29
	v_cvt_i32_f32_e32 v30, v31
	v_cndmask_b32_e32 v15, v4, v15, vcc
	v_cmp_ngt_f32_e32 vcc, s3, v24
	v_sub_f32_e32 v5, v5, v20
	v_lshl_add_u64 v[12:13], v[12:13], 2, s[0:1]
	v_cndmask_b32_e32 v16, 0, v16, vcc
	v_cmp_nlt_f32_e32 vcc, s2, v24
	v_ldexp_f32 v24, v29, v30
	v_mul_f32_e32 v29, 0x3fb8aa3b, v28
	v_fma_f32 v30, v28, s4, -v29
	v_rndne_f32_e32 v31, v29
	v_fmac_f32_e32 v30, 0x32a5705f, v28
	v_sub_f32_e32 v29, v29, v31
	v_add_f32_e32 v29, v29, v30
	v_exp_f32_e32 v29, v29
	v_cvt_i32_f32_e32 v30, v31
	v_cndmask_b32_e32 v16, v4, v16, vcc
	v_cmp_ngt_f32_e32 vcc, s3, v17
	v_lshl_add_u64 v[12:13], v[12:13], 0, v[8:9]
	v_sub_f32_e32 v3, v3, v20
	v_cndmask_b32_e32 v24, 0, v24, vcc
	v_cmp_nlt_f32_e32 vcc, s2, v17
	v_mul_f32_e32 v33, 0x3fb8aa3b, v3
	v_fma_f32 v34, v3, s4, -v33
	v_cndmask_b32_e32 v17, v4, v24, vcc
	v_ldexp_f32 v24, v29, v30
	v_sub_f32_e32 v29, v19, v20
	v_mul_f32_e32 v19, 0x3fb8aa3b, v29
	v_fma_f32 v30, v29, s4, -v19
	v_rndne_f32_e32 v31, v19
	v_fmac_f32_e32 v30, 0x32a5705f, v29
	v_sub_f32_e32 v19, v19, v31
	v_add_f32_e32 v19, v19, v30
	v_exp_f32_e32 v30, v19
	v_cvt_i32_f32_e32 v31, v31
	v_cmp_ngt_f32_e32 vcc, s3, v28
	v_rndne_f32_e32 v40, v33
	v_fmac_f32_e32 v34, 0x32a5705f, v3
	v_cndmask_b32_e32 v19, 0, v24, vcc
	v_cmp_nlt_f32_e32 vcc, s2, v28
	v_sub_f32_e32 v28, v22, v20
	v_mul_f32_e32 v22, 0x3fb8aa3b, v28
	v_ldexp_f32 v24, v30, v31
	v_fma_f32 v30, v28, s4, -v22
	v_rndne_f32_e32 v31, v22
	v_fmac_f32_e32 v30, 0x32a5705f, v28
	v_sub_f32_e32 v22, v22, v31
	v_add_f32_e32 v22, v22, v30
	v_exp_f32_e32 v30, v22
	v_cvt_i32_f32_e32 v31, v31
	v_cndmask_b32_e32 v19, v4, v19, vcc
	v_cmp_ngt_f32_e32 vcc, s3, v29
	v_sub_f32_e32 v2, v2, v20
	v_sub_f32_e32 v1, v1, v20
	v_cndmask_b32_e32 v22, 0, v24, vcc
	v_cmp_nlt_f32_e32 vcc, s2, v29
	v_sub_f32_e32 v29, v23, v20
	v_mul_f32_e32 v23, 0x3fb8aa3b, v29
	v_ldexp_f32 v24, v30, v31
	v_fma_f32 v30, v29, s4, -v23
	v_rndne_f32_e32 v31, v23
	v_fmac_f32_e32 v30, 0x32a5705f, v29
	v_sub_f32_e32 v23, v23, v31
	v_add_f32_e32 v23, v23, v30
	v_exp_f32_e32 v30, v23
	v_cvt_i32_f32_e32 v31, v31
	v_cndmask_b32_e32 v22, v4, v22, vcc
	v_cmp_ngt_f32_e32 vcc, s3, v28
	v_cvt_pk_f16_f32 v41, v16, v17
	s_nop 0
	v_cndmask_b32_e32 v23, 0, v24, vcc
	v_cmp_nlt_f32_e32 vcc, s2, v28
	v_mul_f32_e32 v28, 0x3fb8aa3b, v25
	v_ldexp_f32 v24, v30, v31
	v_fma_f32 v30, v25, s4, -v28
	v_rndne_f32_e32 v31, v28
	v_fmac_f32_e32 v30, 0x32a5705f, v25
	v_sub_f32_e32 v28, v28, v31
	v_add_f32_e32 v28, v28, v30
	v_exp_f32_e32 v28, v28
	v_cvt_i32_f32_e32 v30, v31
	v_cndmask_b32_e32 v23, v4, v23, vcc
	v_cmp_ngt_f32_e32 vcc, s3, v29
	v_ldexp_f32 v28, v28, v30
	s_nop 0
	v_cndmask_b32_e32 v24, 0, v24, vcc
	v_cmp_nlt_f32_e32 vcc, s2, v29
	v_mul_f32_e32 v29, 0x3fb8aa3b, v7
	v_fma_f32 v30, v7, s4, -v29
	v_rndne_f32_e32 v31, v29
	v_fmac_f32_e32 v30, 0x32a5705f, v7
	v_sub_f32_e32 v29, v29, v31
	v_add_f32_e32 v29, v29, v30
	v_exp_f32_e32 v29, v29
	v_cvt_i32_f32_e32 v30, v31
	v_cndmask_b32_e32 v24, v4, v24, vcc
	v_cmp_ngt_f32_e32 vcc, s3, v25
	s_nop 1
	v_cndmask_b32_e32 v28, 0, v28, vcc
	v_cmp_nlt_f32_e32 vcc, s2, v25
	s_nop 1
	v_cndmask_b32_e32 v25, v4, v28, vcc
	v_ldexp_f32 v28, v29, v30
	v_mul_f32_e32 v29, 0x3fb8aa3b, v6
	v_fma_f32 v30, v6, s4, -v29
	v_rndne_f32_e32 v31, v29
	v_fmac_f32_e32 v30, 0x32a5705f, v6
	v_sub_f32_e32 v29, v29, v31
	v_add_f32_e32 v29, v29, v30
	v_exp_f32_e32 v29, v29
	v_cvt_i32_f32_e32 v30, v31
	v_cmp_ngt_f32_e32 vcc, s3, v7
	s_nop 1
	v_cndmask_b32_e32 v28, 0, v28, vcc
	v_cmp_nlt_f32_e32 vcc, s2, v7
	v_ldexp_f32 v7, v29, v30
	v_mul_f32_e32 v29, 0x3fb8aa3b, v5
	v_fma_f32 v30, v5, s4, -v29
	v_rndne_f32_e32 v31, v29
	v_fmac_f32_e32 v30, 0x32a5705f, v5
	v_sub_f32_e32 v29, v29, v31
	v_add_f32_e32 v29, v29, v30
	v_cndmask_b32_e32 v28, v4, v28, vcc
	v_exp_f32_e32 v30, v29
	v_cvt_i32_f32_e32 v31, v31
	v_cmp_ngt_f32_e32 vcc, s3, v6
	v_ldexp_f32 v32, v30, v31
	s_nop 0
	v_cndmask_b32_e32 v7, 0, v7, vcc
	v_cmp_nlt_f32_e32 vcc, s2, v6
	v_mul_lo_u32 v6, v58, s30
	s_nop 0
	v_cndmask_b32_e32 v29, v4, v7, vcc
	v_ashrrev_i32_e32 v7, 31, v6
	v_lshl_add_u64 v[6:7], v[6:7], 2, s[0:1]
	v_lshl_add_u64 v[30:31], v[6:7], 0, v[8:9]
	global_load_dwordx4 v[6:9], v[12:13], off
	global_load_dwordx4 v[36:39], v[30:31], off
	v_sub_f32_e32 v12, v33, v40
	v_add_f32_e32 v12, v12, v34
	v_exp_f32_e32 v12, v12
	v_cvt_i32_f32_e32 v13, v40
	v_cmp_ngt_f32_e32 vcc, s3, v5
	s_mov_b32 s0, 0xc1a00000
	s_waitcnt vmcnt(1)
	ds_write_b128 v10, v[6:9]
	s_waitcnt vmcnt(0)
	ds_write_b128 v11, v[36:39]
	v_cndmask_b32_e32 v30, 0, v32, vcc
	v_cmp_nlt_f32_e32 vcc, s2, v5
	v_ldexp_f32 v5, v12, v13
	v_mul_f32_e32 v12, 0x3fb8aa3b, v2
	v_fma_f32 v13, v2, s4, -v12
	v_rndne_f32_e32 v31, v12
	v_fmac_f32_e32 v13, 0x32a5705f, v2
	v_sub_f32_e32 v12, v12, v31
	v_add_f32_e32 v12, v12, v13
	v_exp_f32_e32 v12, v12
	v_cvt_i32_f32_e32 v13, v31
	v_cndmask_b32_e32 v30, v4, v30, vcc
	v_cmp_ngt_f32_e32 vcc, s3, v3
	s_waitcnt lgkmcnt(0)
	s_barrier
	v_cndmask_b32_e32 v5, 0, v5, vcc
	v_cmp_nlt_f32_e32 vcc, s2, v3
	v_ldexp_f32 v3, v12, v13
	s_nop 0
	v_cndmask_b32_e32 v31, v4, v5, vcc
	v_mul_f32_e32 v5, 0x3fb8aa3b, v1
	v_fma_f32 v12, v1, s4, -v5
	v_rndne_f32_e32 v13, v5
	v_fmac_f32_e32 v12, 0x32a5705f, v1
	v_sub_f32_e32 v5, v5, v13
	v_add_f32_e32 v5, v5, v12
	v_cvt_i32_f32_e32 v12, v13
	v_sub_f32_e32 v13, v65, v20
	v_exp_f32_e32 v5, v5
	v_mul_f32_e32 v33, 0x3fb8aa3b, v13
	v_fma_f32 v34, v13, s4, -v33
	v_rndne_f32_e32 v40, v33
	v_fmac_f32_e32 v34, 0x32a5705f, v13
	v_sub_f32_e32 v33, v33, v40
	v_cmp_ngt_f32_e32 vcc, s3, v2
	v_add_f32_e32 v33, v33, v34
	v_exp_f32_e32 v33, v33
	v_cndmask_b32_e32 v3, 0, v3, vcc
	v_cmp_nlt_f32_e32 vcc, s2, v2
	v_ldexp_f32 v2, v5, v12
	v_sub_f32_e32 v5, v0, v20
	v_cvt_i32_f32_e32 v34, v40
	v_mul_f32_e32 v0, 0x3fb8aa3b, v5
	v_cndmask_b32_e32 v32, v4, v3, vcc
	v_fma_f32 v3, v5, s4, -v0
	v_rndne_f32_e32 v12, v0
	v_cmp_ngt_f32_e32 vcc, s3, v1
	v_fmac_f32_e32 v3, 0x32a5705f, v5
	v_sub_f32_e32 v0, v0, v12
	v_cndmask_b32_e32 v2, 0, v2, vcc
	v_add_f32_e32 v0, v0, v3
	v_cvt_i32_f32_e32 v3, v12
	v_ldexp_f32 v12, v33, v34
	v_cmp_ngt_f32_e32 vcc, s3, v13
	v_exp_f32_e32 v0, v0
	v_cvt_pk_f16_f32 v64, v31, v32
	v_cndmask_b32_e32 v12, 0, v12, vcc
	v_cmp_nlt_f32_e32 vcc, s2, v13
	v_ldexp_f32 v40, v0, v3
	v_or_b32_e32 v0, 3, v63
	v_cndmask_b32_e32 v12, v4, v12, vcc
	v_cmp_le_f32_e32 vcc, s0, v13
	v_and_b32_e32 v13, 0xfc, v63
	v_mul_u32_u24_e32 v13, 0xb0, v13
	v_cndmask_b32_e32 v33, 0, v12, vcc
	v_cvt_f16_f32_e32 v12, v33
	v_cmp_nlt_f32_e32 vcc, s2, v1
	v_mul_u32_u24_e32 v0, 0xb0, v0
	v_add3_u32 v8, 0, v13, v62
	v_cndmask_b32_e32 v34, v4, v2, vcc
	v_or_b32_e32 v2, 2, v63
	v_mul_u32_u24_e32 v2, 0xb0, v2
	v_add3_u32 v13, 0, v2, v62
	v_mul_u32_u24_e32 v12, 0x10001, v12
	v_add3_u32 v9, 0, v0, v62
	s_mov_b32 s0, 0x5040100
	ds_read_u16 v6, v13
	ds_read_u16 v10, v13 offset:32
	ds_read_u16 v11, v13 offset:2816
	;; [unrolled: 1-line block ×7, first 2 shown]
	ds_read_u16 v7, v9
	ds_read_u16 v37, v9 offset:32
	ds_read_u16 v68, v9 offset:64
	;; [unrolled: 1-line block ×4, first 2 shown]
	v_pk_mul_f16 v1, v77, v12
	v_pk_mul_f16 v3, v76, v12
	s_waitcnt lgkmcnt(4)
	v_perm_b32 v7, v7, v6, s0
	ds_read_u16 v6, v8 offset:176
	ds_read_u16 v38, v8
	ds_read_u16 v71, v8 offset:32
	ds_read_u16 v72, v8 offset:208
	;; [unrolled: 1-line block ×6, first 2 shown]
	s_waitcnt lgkmcnt(6)
	v_perm_b32 v6, v6, v38, s0
	v_cvt_f32_f16_e32 v0, v1
	v_cvt_f32_f16_sdwa v1, v1 dst_sel:DWORD dst_unused:UNUSED_PAD src0_sel:WORD_1
	v_cvt_f32_f16_e32 v2, v3
	v_cvt_f32_f16_sdwa v3, v3 dst_sel:DWORD dst_unused:UNUSED_PAD src0_sel:WORD_1
	v_cmp_ngt_f32_e32 vcc, s3, v5
	v_cvt_pk_f16_f32 v63, v23, v24
	v_cvt_pk_f16_f32 v62, v19, v22
	v_cndmask_b32_e32 v38, 0, v40, vcc
	v_cvt_pk_f16_f32 v40, v14, v15
	v_cmp_nlt_f32_e32 vcc, s2, v5
	v_pk_mul_f16 v57, v57, v12
	v_mfma_f32_16x16x16_f16 v[0:3], v[6:7], v[40:41], v[0:3]
	ds_read_u16 v6, v9 offset:2816
	ds_read_u16 v61, v9 offset:5632
	;; [unrolled: 1-line block ×8, first 2 shown]
	s_waitcnt lgkmcnt(7)
	v_perm_b32 v7, v6, v11, s0
	ds_read_u16 v6, v8 offset:2816
	ds_read_u16 v11, v8 offset:2992
	ds_read_u16 v84, v8 offset:2848
	ds_read_u16 v85, v8 offset:2880
	ds_read_u16 v86, v8 offset:2912
	ds_read_u16 v87, v8 offset:2944
	ds_read_u16 v88, v8 offset:304
	v_cvt_f16_f32_e32 v0, v0
	v_cvt_f16_f32_e32 v1, v1
	;; [unrolled: 1-line block ×4, first 2 shown]
	s_waitcnt lgkmcnt(5)
	v_perm_b32 v6, v11, v6, s0
	v_cvt_f32_f16_e32 v0, v0
	v_cvt_f32_f16_e32 v1, v1
	;; [unrolled: 1-line block ×4, first 2 shown]
	v_cndmask_b32_e32 v89, v4, v38, vcc
	v_cvt_pk_f16_f32 v65, v34, v89
	v_mfma_f32_16x16x16_f16 v[0:3], v[6:7], v[62:63], v[0:3]
	ds_read_u16 v4, v13 offset:5632
	ds_read_u16 v6, v13 offset:8448
	;; [unrolled: 1-line block ×7, first 2 shown]
	s_waitcnt lgkmcnt(6)
	v_perm_b32 v5, v61, v4, s0
	ds_read_u16 v4, v8 offset:5632
	ds_read_u16 v94, v8 offset:5664
	;; [unrolled: 1-line block ×13, first 2 shown]
	v_cvt_f16_f32_e32 v0, v0
	v_cvt_f16_f32_e32 v1, v1
	;; [unrolled: 1-line block ×4, first 2 shown]
	s_waitcnt lgkmcnt(7)
	v_perm_b32 v4, v7, v4, s0
	v_cvt_f32_f16_e32 v0, v0
	v_cvt_f32_f16_e32 v1, v1
	;; [unrolled: 1-line block ×4, first 2 shown]
	v_pk_mul_f16 v7, v60, v12
	v_cvt_pk_f16_f32 v61, v29, v30
	v_cvt_pk_f16_f32 v60, v25, v28
	v_pk_mul_f16 v55, v55, v12
	v_pk_mul_f16 v54, v54, v12
	v_mfma_f32_16x16x16_f16 v[0:3], v[4:5], v[60:61], v[0:3]
	ds_read_u16 v4, v9 offset:8448
	ds_read_u16 v104, v9 offset:8480
	;; [unrolled: 1-line block ×6, first 2 shown]
	s_waitcnt lgkmcnt(5)
	v_perm_b32 v5, v4, v6, s0
	ds_read_u16 v4, v8 offset:8624
	ds_read_u16 v109, v8 offset:8656
	;; [unrolled: 1-line block ×6, first 2 shown]
	v_cvt_f16_f32_e32 v0, v0
	v_cvt_f16_f32_e32 v1, v1
	;; [unrolled: 1-line block ×4, first 2 shown]
	s_waitcnt lgkmcnt(5)
	v_perm_b32 v4, v4, v11, s0
	v_cvt_f32_f16_e32 v0, v0
	v_cvt_f32_f16_e32 v1, v1
	;; [unrolled: 1-line block ×4, first 2 shown]
	v_perm_b32 v11, v37, v10, s0
	v_perm_b32 v10, v72, v71, s0
	v_mfma_f32_16x16x16_f16 v[0:3], v[4:5], v[64:65], v[0:3]
	v_cvt_f32_f16_e32 v4, v7
	v_cvt_f32_f16_sdwa v5, v7 dst_sel:DWORD dst_unused:UNUSED_PAD src0_sel:WORD_1
	v_cvt_f32_f16_e32 v6, v57
	v_cvt_f32_f16_sdwa v7, v57 dst_sel:DWORD dst_unused:UNUSED_PAD src0_sel:WORD_1
	ds_read_u16 v37, v8 offset:3024
	ds_read_u16 v57, v8 offset:3056
	;; [unrolled: 1-line block ×3, first 2 shown]
	v_mfma_f32_16x16x16_f16 v[4:7], v[10:11], v[40:41], v[4:7]
	v_perm_b32 v11, v78, v36, s0
	s_waitcnt lgkmcnt(2)
	v_perm_b32 v10, v37, v84, s0
	ds_read_u16 v36, v13 offset:8480
	ds_read_u16 v72, v13 offset:8512
	;; [unrolled: 1-line block ×3, first 2 shown]
	s_nop 1
	v_cvt_f16_f32_e32 v4, v4
	v_cvt_f16_f32_e32 v5, v5
	;; [unrolled: 1-line block ×4, first 2 shown]
	v_cvt_f32_f16_e32 v4, v4
	v_cvt_f32_f16_e32 v5, v5
	;; [unrolled: 1-line block ×4, first 2 shown]
	v_pk_mul_f16 v37, v56, v12
	v_pk_mul_f16 v53, v53, v12
	v_mfma_f32_16x16x16_f16 v[4:7], v[10:11], v[62:63], v[4:7]
	v_perm_b32 v11, v79, v38, s0
	v_perm_b32 v10, v98, v94, s0
	v_cvt_f32_f16_e32 v38, v55
	s_mov_b32 s1, 0
	s_nop 3
	v_cvt_f16_f32_e32 v4, v4
	v_cvt_f16_f32_e32 v5, v5
	;; [unrolled: 1-line block ×4, first 2 shown]
	v_cvt_f32_f16_e32 v4, v4
	v_cvt_f32_f16_e32 v5, v5
	;; [unrolled: 1-line block ×4, first 2 shown]
	s_movk_i32 s2, 0xb0
	v_cmp_gt_u32_e32 vcc, 16, v48
	v_mfma_f32_16x16x16_f16 v[4:7], v[10:11], v[60:61], v[4:7]
	s_waitcnt lgkmcnt(2)
	v_perm_b32 v11, v104, v36, s0
	v_perm_b32 v10, v109, v99, s0
	v_cvt_f32_f16_e32 v36, v37
	v_cvt_f32_f16_sdwa v37, v37 dst_sel:DWORD dst_unused:UNUSED_PAD src0_sel:WORD_1
	s_nop 2
	v_cvt_f16_f32_e32 v4, v4
	v_cvt_f16_f32_e32 v5, v5
	v_cvt_f16_f32_e32 v6, v6
	v_cvt_f16_f32_e32 v7, v7
	v_cvt_f32_f16_e32 v4, v4
	v_cvt_f32_f16_e32 v5, v5
	;; [unrolled: 1-line block ×4, first 2 shown]
	s_nop 1
	v_mfma_f32_16x16x16_f16 v[4:7], v[10:11], v[64:65], v[4:7]
	v_perm_b32 v11, v68, v39, s0
	v_perm_b32 v10, v75, v73, s0
	v_cvt_f32_f16_sdwa v39, v55 dst_sel:DWORD dst_unused:UNUSED_PAD src0_sel:WORD_1
	ds_read_u16 v55, v9 offset:5696
	ds_read_u16 v56, v9 offset:5728
	v_mfma_f32_16x16x16_f16 v[36:39], v[10:11], v[40:41], v[36:39]
	s_nop 7
	v_cvt_f16_f32_e32 v10, v36
	v_cvt_f16_f32_e32 v11, v37
	;; [unrolled: 1-line block ×4, first 2 shown]
	v_cvt_f32_f16_e32 v36, v10
	v_cvt_f32_f16_e32 v37, v11
	v_perm_b32 v11, v80, v58, s0
	v_perm_b32 v10, v57, v85, s0
	v_cvt_f32_f16_e32 v38, v38
	v_cvt_f32_f16_e32 v39, v39
	s_nop 1
	v_mfma_f32_16x16x16_f16 v[36:39], v[10:11], v[62:63], v[36:39]
	s_nop 7
	v_cvt_f16_f32_e32 v10, v37
	v_cvt_f16_f32_e32 v11, v38
	;; [unrolled: 1-line block ×4, first 2 shown]
	v_cvt_f32_f16_e32 v37, v10
	v_cvt_f32_f16_e32 v38, v11
	s_waitcnt lgkmcnt(1)
	v_perm_b32 v11, v55, v90, s0
	v_perm_b32 v10, v100, v95, s0
	v_cvt_f32_f16_e32 v36, v9
	v_cvt_f32_f16_e32 v39, v39
	ds_read_u16 v9, v8 offset:8512
	ds_read_u16 v57, v8 offset:8544
	v_mfma_f32_16x16x16_f16 v[36:39], v[10:11], v[60:61], v[36:39]
	ds_read_u16 v58, v8 offset:272
	ds_read_u16 v13, v13 offset:2912
	v_perm_b32 v55, v69, v66, s0
	s_nop 4
	v_cvt_f16_f32_e32 v10, v36
	v_cvt_f16_f32_e32 v11, v37
	;; [unrolled: 1-line block ×4, first 2 shown]
	v_cvt_f32_f16_e32 v36, v10
	v_cvt_f32_f16_e32 v37, v11
	v_perm_b32 v11, v105, v72, s0
	s_waitcnt lgkmcnt(3)
	v_perm_b32 v10, v110, v9, s0
	v_cvt_f32_f16_e32 v38, v38
	v_cvt_f32_f16_e32 v39, v39
	s_waitcnt lgkmcnt(0)
	s_barrier
	v_mfma_f32_16x16x16_f16 v[8:11], v[10:11], v[64:65], v[36:39]
	s_nop 2
	v_cvt_f32_f16_e32 v36, v54
	v_cvt_f32_f16_sdwa v37, v54 dst_sel:DWORD dst_unused:UNUSED_PAD src0_sel:WORD_1
	v_perm_b32 v54, v58, v76, s0
	v_cvt_f32_f16_e32 v38, v53
	v_cvt_f32_f16_sdwa v39, v53 dst_sel:DWORD dst_unused:UNUSED_PAD src0_sel:WORD_1
	s_barrier
	s_nop 0
	v_mfma_f32_16x16x16_f16 v[36:39], v[54:55], v[40:41], v[36:39]
	v_perm_b32 v55, v81, v13, s0
	v_perm_b32 v54, v71, v86, s0
	v_add_f32_e32 v13, v14, v15
	v_add_f32_e32 v13, v16, v13
	s_nop 3
	v_cvt_f16_f32_e32 v36, v36
	v_cvt_f16_f32_e32 v37, v37
	;; [unrolled: 1-line block ×4, first 2 shown]
	v_cvt_f32_f16_e32 v36, v36
	v_cvt_f32_f16_e32 v37, v37
	;; [unrolled: 1-line block ×4, first 2 shown]
	v_add_f32_e32 v13, v17, v13
	v_add_f32_e32 v13, v19, v13
	v_mfma_f32_16x16x16_f16 v[36:39], v[54:55], v[62:63], v[36:39]
	v_add_f32_e32 v13, v22, v13
	v_add_f32_e32 v19, v23, v13
	v_pk_mul_f16 v22, v52, v12
	v_pk_mul_f16 v23, v51, v12
	s_nop 3
	v_cvt_f16_f32_e32 v14, v36
	v_cvt_f16_f32_e32 v15, v37
	;; [unrolled: 1-line block ×4, first 2 shown]
	v_cvt_f32_f16_e32 v36, v14
	v_cvt_f32_f16_e32 v37, v15
	v_perm_b32 v15, v56, v91, s0
	v_perm_b32 v14, v101, v96, s0
	v_cvt_f32_f16_e32 v38, v16
	v_cvt_f32_f16_e32 v39, v39
	v_add_f32_e32 v19, v24, v19
	v_add_f32_e32 v19, v25, v19
	v_mfma_f32_16x16x16_f16 v[14:17], v[14:15], v[60:61], v[36:39]
	v_add_f32_e32 v19, v28, v19
	v_add_f32_e32 v19, v29, v19
	s_nop 0
	v_perm_b32 v37, v106, v78, s0
	v_perm_b32 v36, v111, v57, s0
	s_nop 2
	v_cvt_f16_f32_e32 v14, v14
	v_cvt_f16_f32_e32 v15, v15
	;; [unrolled: 1-line block ×4, first 2 shown]
	v_cvt_f32_f16_e32 v14, v14
	v_cvt_f32_f16_e32 v15, v15
	;; [unrolled: 1-line block ×5, first 2 shown]
	v_cvt_f32_f16_sdwa v39, v23 dst_sel:DWORD dst_unused:UNUSED_PAD src0_sel:WORD_1
	v_mfma_f32_16x16x16_f16 v[12:15], v[36:37], v[64:65], v[14:17]
	v_cvt_f32_f16_e32 v36, v22
	v_cvt_f32_f16_sdwa v37, v22 dst_sel:DWORD dst_unused:UNUSED_PAD src0_sel:WORD_1
	s_nop 0
	v_perm_b32 v17, v83, v67, s0
	v_perm_b32 v16, v88, v77, s0
	v_add_f32_e32 v19, v30, v19
	v_add_f32_e32 v19, v31, v19
	v_mfma_f32_16x16x16_f16 v[22:25], v[16:17], v[40:41], v[36:39]
	v_add_f32_e32 v19, v32, v19
	v_add_f32_e32 v19, v34, v19
	;; [unrolled: 1-line block ×3, first 2 shown]
	s_nop 4
	v_cvt_f16_f32_e32 v16, v22
	v_cvt_f16_f32_e32 v17, v23
	v_cvt_f16_f32_e32 v24, v24
	v_cvt_f16_f32_e32 v25, v25
	v_cvt_f32_f16_e32 v22, v16
	v_cvt_f32_f16_e32 v23, v17
	v_perm_b32 v17, v82, v93, s0
	v_perm_b32 v16, v97, v87, s0
	v_cvt_f32_f16_e32 v24, v24
	v_cvt_f32_f16_e32 v25, v25
	v_fmac_f32_e32 v28, v74, v33
	ds_bpermute_b32 v29, v18, v28
	v_mfma_f32_16x16x16_f16 v[22:25], v[16:17], v[62:63], v[22:25]
	s_nop 7
	v_cvt_f16_f32_e32 v16, v22
	v_cvt_f16_f32_e32 v17, v23
	;; [unrolled: 1-line block ×4, first 2 shown]
	v_cvt_f32_f16_e32 v22, v16
	v_cvt_f32_f16_e32 v23, v17
	v_perm_b32 v17, v108, v92, s0
	v_perm_b32 v16, v102, v103, s0
	v_cvt_f32_f16_e32 v24, v24
	v_cvt_f32_f16_e32 v25, v25
	s_nop 1
	v_mfma_f32_16x16x16_f16 v[22:25], v[16:17], v[60:61], v[22:25]
	s_nop 7
	v_cvt_f16_f32_e32 v16, v22
	v_cvt_f16_f32_e32 v17, v23
	;; [unrolled: 1-line block ×4, first 2 shown]
	v_cvt_f32_f16_e32 v22, v16
	v_cvt_f32_f16_e32 v23, v17
	v_perm_b32 v17, v107, v70, s0
	v_perm_b32 v16, v112, v113, s0
	v_cvt_f32_f16_e32 v24, v19
	v_cvt_f32_f16_e32 v25, v25
	s_nop 1
	v_mfma_f32_16x16x16_f16 v[16:19], v[16:17], v[64:65], v[22:25]
	s_waitcnt lgkmcnt(0)
	s_nop 1
	v_add_f32_e32 v22, v28, v29
	ds_bpermute_b32 v21, v21, v22
	s_and_saveexec_b64 s[4:5], vcc
	s_cbranch_execz .LBB9_297
; %bb.296:
	v_readlane_b32 s0, v187, 7
	s_add_i32 s0, s0, s19
	s_lshl_b32 s0, s0, 6
	s_lshl_b64 s[6:7], s[0:1], 3
	s_add_u32 s6, s26, s6
	v_or_b32_e32 v23, v59, v48
	s_addc_u32 s7, s27, s7
	v_lshlrev_b32_e32 v23, 3, v23
	s_waitcnt lgkmcnt(0)
	v_add_f32_e32 v21, v22, v21
	global_store_dwordx2 v23, v[20:21], s[6:7]
.LBB9_297:
	s_or_b64 exec, exec, s[4:5]
	s_load_dword s0, s[48:49], 0x0
	s_load_dword s3, s[48:49], 0x10
	v_cvt_pk_f16_f32 v2, v2, v3
	v_cvt_pk_f16_f32 v3, v4, v5
	;; [unrolled: 1-line block ×3, first 2 shown]
	v_or_b32_e32 v10, v59, v49
	s_waitcnt lgkmcnt(0)
	s_lshr_b32 s3, s3, 16
	s_cmp_lg_u32 s3, 0
	s_cselect_b64 s[4:5], -1, 0
	s_cmp_lg_u64 s[4:5], 0
	v_mul_u32_u24_e32 v10, 0xb0, v10
	s_addc_u32 s0, s0, 0
	v_cvt_pk_f16_f32 v0, v0, v1
	v_add3_u32 v10, 0, v10, v50
	s_lshl_b32 s0, s0, 7
	v_cvt_pk_f16_f32 v1, v6, v7
	v_cvt_pk_f16_f32 v5, v8, v9
	;; [unrolled: 1-line block ×6, first 2 shown]
	s_lshl_b64 s[4:5], s[0:1], 3
	ds_write2_b32 v10, v0, v2 offset1:1
	ds_write2_b32 v10, v3, v1 offset0:8 offset1:9
	ds_write2_b32 v10, v5, v4 offset0:16 offset1:17
	;; [unrolled: 1-line block ×4, first 2 shown]
	v_mad_u32_u24 v0, v27, s2, v35
	s_add_u32 s3, s26, s4
	s_mul_i32 s0, s19, 0xa00
	s_waitcnt lgkmcnt(0)
	s_barrier
	ds_read_b32 v3, v0
	v_add_u32_e32 v6, 0x80, v0
	s_addc_u32 s4, s27, s5
	s_lshl_b64 s[0:1], s[0:1], 3
	ds_read2st64_b32 v[0:1], v6 offset0:5 offset1:16
	s_add_u32 s0, s3, s0
	v_and_b32_e32 v2, 15, v27
	s_movk_i32 s3, 0x1ff0
	v_and_or_b32 v4, v42, s3, v2
	v_and_or_b32 v5, v43, s3, v2
	;; [unrolled: 1-line block ×3, first 2 shown]
	v_mad_u32_u24 v4, v4, s2, v35
	v_mad_u32_u24 v2, v2, s2, v35
	;; [unrolled: 1-line block ×3, first 2 shown]
	ds_read_b32 v7, v4
	ds_read_b32 v8, v5
	;; [unrolled: 1-line block ×3, first 2 shown]
	s_waitcnt lgkmcnt(4)
	v_cvt_f32_f16_e32 v2, v3
	v_cvt_f32_f16_sdwa v3, v3 dst_sel:DWORD dst_unused:UNUSED_PAD src0_sel:WORD_1
	s_waitcnt lgkmcnt(3)
	v_cvt_f32_f16_e32 v4, v0
	v_cvt_f32_f16_sdwa v5, v0 dst_sel:DWORD dst_unused:UNUSED_PAD src0_sel:WORD_1
	v_mul_u32_u24_e32 v10, 40, v27
	s_addc_u32 s1, s4, s1
	v_pk_add_f32 v[2:3], v[2:3], 0 op_sel_hi:[1,0]
	v_add_lshl_u32 v10, v10, v26, 3
	global_store_dwordx2 v10, v[2:3], s[0:1]
	v_pk_add_f32 v[2:3], v[4:5], 0 op_sel_hi:[1,0]
	global_store_dwordx2 v10, v[2:3], s[0:1] offset:2560
	s_waitcnt lgkmcnt(2)
	v_cvt_f32_f16_e32 v2, v7
	v_cvt_f32_f16_sdwa v3, v7 dst_sel:DWORD dst_unused:UNUSED_PAD src0_sel:WORD_1
	v_add_u32_e32 v4, 0x1400, v10
	v_cvt_f32_f16_e32 v0, v1
	v_cvt_f32_f16_sdwa v1, v1 dst_sel:DWORD dst_unused:UNUSED_PAD src0_sel:WORD_1
	v_pk_add_f32 v[2:3], v[2:3], 0 op_sel_hi:[1,0]
	global_store_dwordx2 v4, v[2:3], s[0:1]
	s_waitcnt lgkmcnt(1)
	v_cvt_f32_f16_e32 v2, v8
	v_cvt_f32_f16_sdwa v3, v8 dst_sel:DWORD dst_unused:UNUSED_PAD src0_sel:WORD_1
	ds_read2st64_b32 v[4:5], v6 offset0:27 offset1:38
	v_add_u32_e32 v7, 0x1e00, v10
	v_pk_add_f32 v[0:1], v[0:1], 0 op_sel_hi:[1,0]
	global_store_dwordx2 v7, v[0:1], s[0:1]
	v_add_u32_e32 v6, 0x2800, v10
	v_pk_add_f32 v[0:1], v[2:3], 0 op_sel_hi:[1,0]
	global_store_dwordx2 v6, v[0:1], s[0:1]
	s_waitcnt lgkmcnt(0)
	v_cvt_f32_f16_e32 v0, v4
	v_cvt_f32_f16_sdwa v1, v4 dst_sel:DWORD dst_unused:UNUSED_PAD src0_sel:WORD_1
	v_cvt_f32_f16_e32 v2, v9
	v_cvt_f32_f16_sdwa v3, v9 dst_sel:DWORD dst_unused:UNUSED_PAD src0_sel:WORD_1
	v_add_u32_e32 v4, 0x3200, v10
	v_pk_add_f32 v[0:1], v[0:1], 0 op_sel_hi:[1,0]
	global_store_dwordx2 v4, v[0:1], s[0:1]
	v_pk_add_f32 v[0:1], v[2:3], 0 op_sel_hi:[1,0]
	v_mad_u32_u24 v2, v46, s2, v47
	v_add_u32_e32 v4, 0x3c00, v10
	v_add_u32_e32 v2, 0x80, v2
	global_store_dwordx2 v4, v[0:1], s[0:1]
	v_cvt_f32_f16_e32 v0, v5
	v_cvt_f32_f16_sdwa v1, v5 dst_sel:DWORD dst_unused:UNUSED_PAD src0_sel:WORD_1
	ds_read2st64_b32 v[2:3], v2 offset1:22
	v_add_u32_e32 v4, 0x4600, v10
	v_mov_b32_e32 v5, 0
	v_pk_add_f32 v[0:1], v[0:1], 0 op_sel_hi:[1,0]
	global_store_dwordx2 v4, v[0:1], s[0:1]
	s_waitcnt lgkmcnt(0)
	v_cvt_f32_f16_e32 v0, v2
	v_cvt_f32_f16_sdwa v1, v2 dst_sel:DWORD dst_unused:UNUSED_PAD src0_sel:WORD_1
	v_cvt_f32_f16_e32 v2, v3
	v_cvt_f32_f16_sdwa v3, v3 dst_sel:DWORD dst_unused:UNUSED_PAD src0_sel:WORD_1
	v_mul_u32_u24_e32 v4, 40, v46
	v_or_b32_e32 v4, v4, v45
	v_lshl_add_u64 v[6:7], v[4:5], 3, s[0:1]
	v_pk_add_f32 v[0:1], v[0:1], 0 op_sel_hi:[1,0]
	v_add_u32_e32 v4, 0x500, v4
	global_store_dwordx2 v[6:7], v[0:1], off offset:256
	v_lshl_add_u64 v[0:1], v[4:5], 3, s[0:1]
	v_pk_add_f32 v[2:3], v[2:3], 0 op_sel_hi:[1,0]
	global_store_dwordx2 v[0:1], v[2:3], off offset:256
	s_endpgm
	.section	.rodata,"a",@progbits
	.p2align	6, 0x0
	.amdhsa_kernel _ZL18flash_attn_ext_f16ILi80ELi80ELi16ELi4ELb0ELb0EEvPKcS1_S1_S1_S1_PKiPfP15HIP_vector_typeIfLj2EEffffjfiS5_IjLj3EEiiiiiiiiiiiliiliiiiil
		.amdhsa_group_segment_fixed_size 0
		.amdhsa_private_segment_fixed_size 0
		.amdhsa_kernarg_size 464
		.amdhsa_user_sgpr_count 2
		.amdhsa_user_sgpr_dispatch_ptr 0
		.amdhsa_user_sgpr_queue_ptr 0
		.amdhsa_user_sgpr_kernarg_segment_ptr 1
		.amdhsa_user_sgpr_dispatch_id 0
		.amdhsa_user_sgpr_kernarg_preload_length 0
		.amdhsa_user_sgpr_kernarg_preload_offset 0
		.amdhsa_user_sgpr_private_segment_size 0
		.amdhsa_uses_dynamic_stack 0
		.amdhsa_enable_private_segment 0
		.amdhsa_system_sgpr_workgroup_id_x 1
		.amdhsa_system_sgpr_workgroup_id_y 0
		.amdhsa_system_sgpr_workgroup_id_z 0
		.amdhsa_system_sgpr_workgroup_info 0
		.amdhsa_system_vgpr_workitem_id 1
		.amdhsa_next_free_vgpr 188
		.amdhsa_next_free_sgpr 100
		.amdhsa_accum_offset 188
		.amdhsa_reserve_vcc 1
		.amdhsa_float_round_mode_32 0
		.amdhsa_float_round_mode_16_64 0
		.amdhsa_float_denorm_mode_32 3
		.amdhsa_float_denorm_mode_16_64 3
		.amdhsa_dx10_clamp 1
		.amdhsa_ieee_mode 1
		.amdhsa_fp16_overflow 0
		.amdhsa_tg_split 0
		.amdhsa_exception_fp_ieee_invalid_op 0
		.amdhsa_exception_fp_denorm_src 0
		.amdhsa_exception_fp_ieee_div_zero 0
		.amdhsa_exception_fp_ieee_overflow 0
		.amdhsa_exception_fp_ieee_underflow 0
		.amdhsa_exception_fp_ieee_inexact 0
		.amdhsa_exception_int_div_zero 0
	.end_amdhsa_kernel
	.section	.text._ZL18flash_attn_ext_f16ILi80ELi80ELi16ELi4ELb0ELb0EEvPKcS1_S1_S1_S1_PKiPfP15HIP_vector_typeIfLj2EEffffjfiS5_IjLj3EEiiiiiiiiiiiliiliiiiil,"axG",@progbits,_ZL18flash_attn_ext_f16ILi80ELi80ELi16ELi4ELb0ELb0EEvPKcS1_S1_S1_S1_PKiPfP15HIP_vector_typeIfLj2EEffffjfiS5_IjLj3EEiiiiiiiiiiiliiliiiiil,comdat
.Lfunc_end9:
	.size	_ZL18flash_attn_ext_f16ILi80ELi80ELi16ELi4ELb0ELb0EEvPKcS1_S1_S1_S1_PKiPfP15HIP_vector_typeIfLj2EEffffjfiS5_IjLj3EEiiiiiiiiiiiliiliiiiil, .Lfunc_end9-_ZL18flash_attn_ext_f16ILi80ELi80ELi16ELi4ELb0ELb0EEvPKcS1_S1_S1_S1_PKiPfP15HIP_vector_typeIfLj2EEffffjfiS5_IjLj3EEiiiiiiiiiiiliiliiiiil
                                        ; -- End function
	.set _ZL18flash_attn_ext_f16ILi80ELi80ELi16ELi4ELb0ELb0EEvPKcS1_S1_S1_S1_PKiPfP15HIP_vector_typeIfLj2EEffffjfiS5_IjLj3EEiiiiiiiiiiiliiliiiiil.num_vgpr, 188
	.set _ZL18flash_attn_ext_f16ILi80ELi80ELi16ELi4ELb0ELb0EEvPKcS1_S1_S1_S1_PKiPfP15HIP_vector_typeIfLj2EEffffjfiS5_IjLj3EEiiiiiiiiiiiliiliiiiil.num_agpr, 0
	.set _ZL18flash_attn_ext_f16ILi80ELi80ELi16ELi4ELb0ELb0EEvPKcS1_S1_S1_S1_PKiPfP15HIP_vector_typeIfLj2EEffffjfiS5_IjLj3EEiiiiiiiiiiiliiliiiiil.numbered_sgpr, 100
	.set _ZL18flash_attn_ext_f16ILi80ELi80ELi16ELi4ELb0ELb0EEvPKcS1_S1_S1_S1_PKiPfP15HIP_vector_typeIfLj2EEffffjfiS5_IjLj3EEiiiiiiiiiiiliiliiiiil.num_named_barrier, 0
	.set _ZL18flash_attn_ext_f16ILi80ELi80ELi16ELi4ELb0ELb0EEvPKcS1_S1_S1_S1_PKiPfP15HIP_vector_typeIfLj2EEffffjfiS5_IjLj3EEiiiiiiiiiiiliiliiiiil.private_seg_size, 0
	.set _ZL18flash_attn_ext_f16ILi80ELi80ELi16ELi4ELb0ELb0EEvPKcS1_S1_S1_S1_PKiPfP15HIP_vector_typeIfLj2EEffffjfiS5_IjLj3EEiiiiiiiiiiiliiliiiiil.uses_vcc, 1
	.set _ZL18flash_attn_ext_f16ILi80ELi80ELi16ELi4ELb0ELb0EEvPKcS1_S1_S1_S1_PKiPfP15HIP_vector_typeIfLj2EEffffjfiS5_IjLj3EEiiiiiiiiiiiliiliiiiil.uses_flat_scratch, 0
	.set _ZL18flash_attn_ext_f16ILi80ELi80ELi16ELi4ELb0ELb0EEvPKcS1_S1_S1_S1_PKiPfP15HIP_vector_typeIfLj2EEffffjfiS5_IjLj3EEiiiiiiiiiiiliiliiiiil.has_dyn_sized_stack, 0
	.set _ZL18flash_attn_ext_f16ILi80ELi80ELi16ELi4ELb0ELb0EEvPKcS1_S1_S1_S1_PKiPfP15HIP_vector_typeIfLj2EEffffjfiS5_IjLj3EEiiiiiiiiiiiliiliiiiil.has_recursion, 0
	.set _ZL18flash_attn_ext_f16ILi80ELi80ELi16ELi4ELb0ELb0EEvPKcS1_S1_S1_S1_PKiPfP15HIP_vector_typeIfLj2EEffffjfiS5_IjLj3EEiiiiiiiiiiiliiliiiiil.has_indirect_call, 0
	.section	.AMDGPU.csdata,"",@progbits
; Kernel info:
; codeLenInByte = 46016
; TotalNumSgprs: 106
; NumVgprs: 188
; NumAgprs: 0
; TotalNumVgprs: 188
; ScratchSize: 0
; MemoryBound: 0
; FloatMode: 240
; IeeeMode: 1
; LDSByteSize: 0 bytes/workgroup (compile time only)
; SGPRBlocks: 13
; VGPRBlocks: 23
; NumSGPRsForWavesPerEU: 106
; NumVGPRsForWavesPerEU: 188
; AccumOffset: 188
; Occupancy: 2
; WaveLimiterHint : 1
; COMPUTE_PGM_RSRC2:SCRATCH_EN: 0
; COMPUTE_PGM_RSRC2:USER_SGPR: 2
; COMPUTE_PGM_RSRC2:TRAP_HANDLER: 0
; COMPUTE_PGM_RSRC2:TGID_X_EN: 1
; COMPUTE_PGM_RSRC2:TGID_Y_EN: 0
; COMPUTE_PGM_RSRC2:TGID_Z_EN: 0
; COMPUTE_PGM_RSRC2:TIDIG_COMP_CNT: 1
; COMPUTE_PGM_RSRC3_GFX90A:ACCUM_OFFSET: 46
; COMPUTE_PGM_RSRC3_GFX90A:TG_SPLIT: 0
	.section	.text._ZL18flash_attn_ext_f16ILi80ELi80ELi16ELi4ELb1ELb0EEvPKcS1_S1_S1_S1_PKiPfP15HIP_vector_typeIfLj2EEffffjfiS5_IjLj3EEiiiiiiiiiiiliiliiiiil,"axG",@progbits,_ZL18flash_attn_ext_f16ILi80ELi80ELi16ELi4ELb1ELb0EEvPKcS1_S1_S1_S1_PKiPfP15HIP_vector_typeIfLj2EEffffjfiS5_IjLj3EEiiiiiiiiiiiliiliiiiil,comdat
	.globl	_ZL18flash_attn_ext_f16ILi80ELi80ELi16ELi4ELb1ELb0EEvPKcS1_S1_S1_S1_PKiPfP15HIP_vector_typeIfLj2EEffffjfiS5_IjLj3EEiiiiiiiiiiiliiliiiiil ; -- Begin function _ZL18flash_attn_ext_f16ILi80ELi80ELi16ELi4ELb1ELb0EEvPKcS1_S1_S1_S1_PKiPfP15HIP_vector_typeIfLj2EEffffjfiS5_IjLj3EEiiiiiiiiiiiliiliiiiil
	.p2align	8
	.type	_ZL18flash_attn_ext_f16ILi80ELi80ELi16ELi4ELb1ELb0EEvPKcS1_S1_S1_S1_PKiPfP15HIP_vector_typeIfLj2EEffffjfiS5_IjLj3EEiiiiiiiiiiiliiliiiiil,@function
_ZL18flash_attn_ext_f16ILi80ELi80ELi16ELi4ELb1ELb0EEvPKcS1_S1_S1_S1_PKiPfP15HIP_vector_typeIfLj2EEffffjfiS5_IjLj3EEiiiiiiiiiiiliiliiiiil: ; @_ZL18flash_attn_ext_f16ILi80ELi80ELi16ELi4ELb1ELb0EEvPKcS1_S1_S1_S1_PKiPfP15HIP_vector_typeIfLj2EEffffjfiS5_IjLj3EEiiiiiiiiiiiliiliiiiil
; %bb.0:
	s_add_u32 s8, s0, 0xd0
	s_addc_u32 s9, s1, 0
	s_getpc_b64 s[0:1]
	s_add_u32 s0, s0, _ZL14no_device_codePKciS0_iS0_@rel32@lo+4
	s_addc_u32 s1, s1, _ZL14no_device_codePKciS0_iS0_@rel32@hi+12
	v_mov_b32_e32 v0, 0x6cc
	s_mov_b32 s32, 0
	s_swappc_b64 s[30:31], s[0:1]
	.section	.rodata,"a",@progbits
	.p2align	6, 0x0
	.amdhsa_kernel _ZL18flash_attn_ext_f16ILi80ELi80ELi16ELi4ELb1ELb0EEvPKcS1_S1_S1_S1_PKiPfP15HIP_vector_typeIfLj2EEffffjfiS5_IjLj3EEiiiiiiiiiiiliiliiiiil
		.amdhsa_group_segment_fixed_size 0
		.amdhsa_private_segment_fixed_size 16
		.amdhsa_kernarg_size 464
		.amdhsa_user_sgpr_count 2
		.amdhsa_user_sgpr_dispatch_ptr 0
		.amdhsa_user_sgpr_queue_ptr 0
		.amdhsa_user_sgpr_kernarg_segment_ptr 1
		.amdhsa_user_sgpr_dispatch_id 0
		.amdhsa_user_sgpr_kernarg_preload_length 0
		.amdhsa_user_sgpr_kernarg_preload_offset 0
		.amdhsa_user_sgpr_private_segment_size 0
		.amdhsa_uses_dynamic_stack 0
		.amdhsa_enable_private_segment 1
		.amdhsa_system_sgpr_workgroup_id_x 1
		.amdhsa_system_sgpr_workgroup_id_y 0
		.amdhsa_system_sgpr_workgroup_id_z 0
		.amdhsa_system_sgpr_workgroup_info 0
		.amdhsa_system_vgpr_workitem_id 0
		.amdhsa_next_free_vgpr 52
		.amdhsa_next_free_sgpr 34
		.amdhsa_accum_offset 52
		.amdhsa_reserve_vcc 1
		.amdhsa_float_round_mode_32 0
		.amdhsa_float_round_mode_16_64 0
		.amdhsa_float_denorm_mode_32 3
		.amdhsa_float_denorm_mode_16_64 3
		.amdhsa_dx10_clamp 1
		.amdhsa_ieee_mode 1
		.amdhsa_fp16_overflow 0
		.amdhsa_tg_split 0
		.amdhsa_exception_fp_ieee_invalid_op 0
		.amdhsa_exception_fp_denorm_src 0
		.amdhsa_exception_fp_ieee_div_zero 0
		.amdhsa_exception_fp_ieee_overflow 0
		.amdhsa_exception_fp_ieee_underflow 0
		.amdhsa_exception_fp_ieee_inexact 0
		.amdhsa_exception_int_div_zero 0
	.end_amdhsa_kernel
	.section	.text._ZL18flash_attn_ext_f16ILi80ELi80ELi16ELi4ELb1ELb0EEvPKcS1_S1_S1_S1_PKiPfP15HIP_vector_typeIfLj2EEffffjfiS5_IjLj3EEiiiiiiiiiiiliiliiiiil,"axG",@progbits,_ZL18flash_attn_ext_f16ILi80ELi80ELi16ELi4ELb1ELb0EEvPKcS1_S1_S1_S1_PKiPfP15HIP_vector_typeIfLj2EEffffjfiS5_IjLj3EEiiiiiiiiiiiliiliiiiil,comdat
.Lfunc_end10:
	.size	_ZL18flash_attn_ext_f16ILi80ELi80ELi16ELi4ELb1ELb0EEvPKcS1_S1_S1_S1_PKiPfP15HIP_vector_typeIfLj2EEffffjfiS5_IjLj3EEiiiiiiiiiiiliiliiiiil, .Lfunc_end10-_ZL18flash_attn_ext_f16ILi80ELi80ELi16ELi4ELb1ELb0EEvPKcS1_S1_S1_S1_PKiPfP15HIP_vector_typeIfLj2EEffffjfiS5_IjLj3EEiiiiiiiiiiiliiliiiiil
                                        ; -- End function
	.set _ZL18flash_attn_ext_f16ILi80ELi80ELi16ELi4ELb1ELb0EEvPKcS1_S1_S1_S1_PKiPfP15HIP_vector_typeIfLj2EEffffjfiS5_IjLj3EEiiiiiiiiiiiliiliiiiil.num_vgpr, max(1, .L_ZL14no_device_codePKciS0_iS0_.num_vgpr)
	.set _ZL18flash_attn_ext_f16ILi80ELi80ELi16ELi4ELb1ELb0EEvPKcS1_S1_S1_S1_PKiPfP15HIP_vector_typeIfLj2EEffffjfiS5_IjLj3EEiiiiiiiiiiiliiliiiiil.num_agpr, max(0, .L_ZL14no_device_codePKciS0_iS0_.num_agpr)
	.set _ZL18flash_attn_ext_f16ILi80ELi80ELi16ELi4ELb1ELb0EEvPKcS1_S1_S1_S1_PKiPfP15HIP_vector_typeIfLj2EEffffjfiS5_IjLj3EEiiiiiiiiiiiliiliiiiil.numbered_sgpr, max(33, .L_ZL14no_device_codePKciS0_iS0_.numbered_sgpr)
	.set _ZL18flash_attn_ext_f16ILi80ELi80ELi16ELi4ELb1ELb0EEvPKcS1_S1_S1_S1_PKiPfP15HIP_vector_typeIfLj2EEffffjfiS5_IjLj3EEiiiiiiiiiiiliiliiiiil.num_named_barrier, max(0, .L_ZL14no_device_codePKciS0_iS0_.num_named_barrier)
	.set _ZL18flash_attn_ext_f16ILi80ELi80ELi16ELi4ELb1ELb0EEvPKcS1_S1_S1_S1_PKiPfP15HIP_vector_typeIfLj2EEffffjfiS5_IjLj3EEiiiiiiiiiiiliiliiiiil.private_seg_size, 0+max(.L_ZL14no_device_codePKciS0_iS0_.private_seg_size)
	.set _ZL18flash_attn_ext_f16ILi80ELi80ELi16ELi4ELb1ELb0EEvPKcS1_S1_S1_S1_PKiPfP15HIP_vector_typeIfLj2EEffffjfiS5_IjLj3EEiiiiiiiiiiiliiliiiiil.uses_vcc, or(1, .L_ZL14no_device_codePKciS0_iS0_.uses_vcc)
	.set _ZL18flash_attn_ext_f16ILi80ELi80ELi16ELi4ELb1ELb0EEvPKcS1_S1_S1_S1_PKiPfP15HIP_vector_typeIfLj2EEffffjfiS5_IjLj3EEiiiiiiiiiiiliiliiiiil.uses_flat_scratch, or(0, .L_ZL14no_device_codePKciS0_iS0_.uses_flat_scratch)
	.set _ZL18flash_attn_ext_f16ILi80ELi80ELi16ELi4ELb1ELb0EEvPKcS1_S1_S1_S1_PKiPfP15HIP_vector_typeIfLj2EEffffjfiS5_IjLj3EEiiiiiiiiiiiliiliiiiil.has_dyn_sized_stack, or(0, .L_ZL14no_device_codePKciS0_iS0_.has_dyn_sized_stack)
	.set _ZL18flash_attn_ext_f16ILi80ELi80ELi16ELi4ELb1ELb0EEvPKcS1_S1_S1_S1_PKiPfP15HIP_vector_typeIfLj2EEffffjfiS5_IjLj3EEiiiiiiiiiiiliiliiiiil.has_recursion, or(0, .L_ZL14no_device_codePKciS0_iS0_.has_recursion)
	.set _ZL18flash_attn_ext_f16ILi80ELi80ELi16ELi4ELb1ELb0EEvPKcS1_S1_S1_S1_PKiPfP15HIP_vector_typeIfLj2EEffffjfiS5_IjLj3EEiiiiiiiiiiiliiliiiiil.has_indirect_call, or(0, .L_ZL14no_device_codePKciS0_iS0_.has_indirect_call)
	.section	.AMDGPU.csdata,"",@progbits
; Kernel info:
; codeLenInByte = 48
; TotalNumSgprs: 40
; NumVgprs: 52
; NumAgprs: 0
; TotalNumVgprs: 52
; ScratchSize: 16
; MemoryBound: 0
; FloatMode: 240
; IeeeMode: 1
; LDSByteSize: 0 bytes/workgroup (compile time only)
; SGPRBlocks: 4
; VGPRBlocks: 6
; NumSGPRsForWavesPerEU: 40
; NumVGPRsForWavesPerEU: 52
; AccumOffset: 52
; Occupancy: 8
; WaveLimiterHint : 1
; COMPUTE_PGM_RSRC2:SCRATCH_EN: 1
; COMPUTE_PGM_RSRC2:USER_SGPR: 2
; COMPUTE_PGM_RSRC2:TRAP_HANDLER: 0
; COMPUTE_PGM_RSRC2:TGID_X_EN: 1
; COMPUTE_PGM_RSRC2:TGID_Y_EN: 0
; COMPUTE_PGM_RSRC2:TGID_Z_EN: 0
; COMPUTE_PGM_RSRC2:TIDIG_COMP_CNT: 0
; COMPUTE_PGM_RSRC3_GFX90A:ACCUM_OFFSET: 12
; COMPUTE_PGM_RSRC3_GFX90A:TG_SPLIT: 0
	.section	.text._ZL33flash_attn_stream_k_fixup_uniformILi80ELi16ELi4EEvPfPK15HIP_vector_typeIfLj2EEiiiiiiS1_IjLj3EES5_S5_,"axG",@progbits,_ZL33flash_attn_stream_k_fixup_uniformILi80ELi16ELi4EEvPfPK15HIP_vector_typeIfLj2EEiiiiiiS1_IjLj3EES5_S5_,comdat
	.globl	_ZL33flash_attn_stream_k_fixup_uniformILi80ELi16ELi4EEvPfPK15HIP_vector_typeIfLj2EEiiiiiiS1_IjLj3EES5_S5_ ; -- Begin function _ZL33flash_attn_stream_k_fixup_uniformILi80ELi16ELi4EEvPfPK15HIP_vector_typeIfLj2EEiiiiiiS1_IjLj3EES5_S5_
	.p2align	8
	.type	_ZL33flash_attn_stream_k_fixup_uniformILi80ELi16ELi4EEvPfPK15HIP_vector_typeIfLj2EEiiiiiiS1_IjLj3EES5_S5_,@function
_ZL33flash_attn_stream_k_fixup_uniformILi80ELi16ELi4EEvPfPK15HIP_vector_typeIfLj2EEiiiiiiS1_IjLj3EES5_S5_: ; @_ZL33flash_attn_stream_k_fixup_uniformILi80ELi16ELi4EEvPfPK15HIP_vector_typeIfLj2EEiiiiiiS1_IjLj3EES5_S5_
; %bb.0:
	s_load_dwordx8 s[8:15], s[0:1], 0x1c
	s_load_dwordx2 s[6:7], s[0:1], 0x10
	s_load_dwordx4 s[16:19], s[0:1], 0x3c
	s_waitcnt lgkmcnt(0)
	s_mul_hi_u32 s5, s11, s2
	s_add_i32 s5, s2, s5
	s_lshr_b32 s5, s5, s12
	s_mul_i32 s11, s5, s13
	s_sub_i32 s12, s2, s11
	s_mul_hi_u32 s11, s12, s14
	s_add_i32 s11, s12, s11
	s_lshr_b32 s11, s11, s15
	s_mul_i32 s13, s11, s16
	s_sub_i32 s12, s12, s13
	;; [unrolled: 5-line block ×3, first 2 shown]
	s_lshl_b32 s12, s16, 4
	s_lshl_b32 s17, s13, 2
	s_add_i32 s12, s12, s3
	s_cmp_lt_i32 s12, s6
	s_cselect_b64 s[12:13], -1, 0
	s_add_i32 s17, s17, s4
	s_cmp_lt_i32 s17, s9
	s_cselect_b64 s[14:15], -1, 0
	s_and_b64 s[12:13], s[12:13], s[14:15]
	s_andn2_b64 vcc, exec, s[12:13]
	s_cbranch_vccnz .LBB11_6
; %bb.1:
	s_load_dwordx4 s[12:15], s[0:1], 0x0
	s_mul_i32 s0, s5, s6
	s_mul_i32 s11, s11, s9
	s_add_i32 s0, s0, s3
	s_mul_i32 s0, s0, s7
	s_add_i32 s5, s17, s11
	;; [unrolled: 2-line block ×3, first 2 shown]
	s_mulk_i32 s1, 0x500
	s_mulk_i32 s0, 0x50
	s_add_i32 s0, s0, s1
	v_add_u32_e32 v4, s0, v0
	s_waitcnt lgkmcnt(0)
	v_mov_b32_e32 v2, s12
	v_mov_b32_e32 v3, s13
	v_ashrrev_i32_e32 v5, 31, v4
	v_lshl_add_u64 v[2:3], v[4:5], 2, v[2:3]
	global_load_dword v5, v[2:3], off
	s_mul_i32 s5, s10, s2
	s_lshl_b32 s11, s3, 2
	s_add_i32 s9, s5, s10
	s_add_i32 s0, s11, s4
	s_lshl_b32 s1, s9, 6
	s_add_i32 s0, s0, s1
	s_sub_i32 s0, s0, 64
	s_ashr_i32 s1, s0, 31
	s_lshl_b64 s[0:1], s[0:1], 3
	s_add_u32 s0, s14, s0
	s_addc_u32 s1, s15, s1
	s_load_dword s12, s[0:1], 0x4
	s_add_i32 s6, s9, -2
	s_cmp_lt_i32 s6, s5
	s_cbranch_scc1 .LBB11_4
; %bb.2:
	s_lshl_b32 s6, s8, 8
	s_ashr_i32 s7, s6, 31
	s_lshl_b64 s[6:7], s[6:7], 2
	s_add_u32 s6, s14, s6
	s_addc_u32 s7, s15, s7
	s_add_i32 s2, s2, 1
	s_load_dword s0, s[0:1], 0x0
	s_mul_i32 s1, s10, s2
	s_lshl_b32 s2, s1, 6
	s_add_i32 s2, s4, s2
	s_mulk_i32 s3, 0x140
	s_mulk_i32 s4, 0x50
	s_lshl_b32 s8, s8, 6
	s_mulk_i32 s1, 0x1400
	s_add_i32 s3, s4, s3
	s_add_i32 s2, s2, s8
	;; [unrolled: 1-line block ×4, first 2 shown]
	v_add_u32_e32 v0, s3, v0
	s_add_i32 s9, s9, -1
	s_addk_i32 s2, 0xff80
	v_add_u32_e32 v0, 0xffffd800, v0
	s_waitcnt lgkmcnt(0)
	v_mov_b32_e32 v7, s0
	v_mov_b32_e32 v4, s12
	s_mov_b32 s4, 0x3fb8aa3b
	s_mov_b32 s8, 0xc2ce8ed0
	;; [unrolled: 1-line block ×3, first 2 shown]
	v_mov_b32_e32 v6, 0x7f800000
	s_mov_b32 s11, 0xc1a00000
.LBB11_3:                               ; =>This Inner Loop Header: Depth=1
	v_ashrrev_i32_e32 v1, 31, v0
	v_lshl_add_u64 v[8:9], v[0:1], 2, s[6:7]
	global_load_dword v9, v[8:9], off
	s_ashr_i32 s3, s2, 31
	s_lshl_b64 s[0:1], s[2:3], 3
	s_add_u32 s0, s14, s0
	s_addc_u32 s1, s15, s1
	s_load_dwordx2 s[0:1], s[0:1], 0x0
	v_max_f32_e32 v1, v7, v7
	s_add_i32 s9, s9, -1
	s_sub_i32 s2, s2, 64
	v_add_u32_e32 v0, 0xffffec00, v0
	s_waitcnt lgkmcnt(0)
	v_max_f32_e64 v10, s0, s0
	v_max_f32_e32 v1, v1, v10
	v_sub_f32_e32 v11, s0, v1
	v_sub_f32_e32 v10, v7, v1
	v_mul_f32_e32 v12, 0x3fb8aa3b, v11
	v_mov_b32_e32 v7, v1
	v_mul_f32_e32 v1, 0x3fb8aa3b, v10
	v_fma_f32 v15, v11, s4, -v12
	v_rndne_f32_e32 v16, v12
	v_fma_f32 v13, v10, s4, -v1
	v_rndne_f32_e32 v14, v1
	v_fmac_f32_e32 v15, 0x32a5705f, v11
	v_sub_f32_e32 v12, v12, v16
	v_fmac_f32_e32 v13, 0x32a5705f, v10
	v_sub_f32_e32 v1, v1, v14
	v_add_f32_e32 v12, v12, v15
	v_cvt_i32_f32_e32 v16, v16
	v_add_f32_e32 v1, v1, v13
	v_exp_f32_e32 v12, v12
	v_cvt_i32_f32_e32 v14, v14
	v_exp_f32_e32 v1, v1
	v_cmp_ngt_f32_e32 vcc, s8, v11
	v_ldexp_f32 v12, v12, v16
	v_mov_b32_e32 v8, s1
	v_ldexp_f32 v1, v1, v14
	v_cmp_ngt_f32_e64 s[0:1], s8, v10
	v_cndmask_b32_e32 v12, 0, v12, vcc
	v_cmp_nlt_f32_e32 vcc, s10, v11
	v_cndmask_b32_e64 v1, 0, v1, s[0:1]
	v_cmp_nlt_f32_e64 s[0:1], s10, v10
	v_cndmask_b32_e32 v12, v6, v12, vcc
	v_cmp_le_f32_e32 vcc, s11, v11
	v_cndmask_b32_e64 v1, v6, v1, s[0:1]
	v_cmp_le_f32_e64 s[0:1], s11, v10
	v_cndmask_b32_e32 v12, 0, v12, vcc
	s_cmp_le_i32 s9, s5
	v_cndmask_b32_e64 v10, 0, v1, s[0:1]
	s_waitcnt vmcnt(0)
	v_pk_mul_f32 v[8:9], v[8:9], v[12:13] op_sel_hi:[1,0]
	s_nop 0
	v_pk_fma_f32 v[4:5], v[4:5], v[10:11], v[8:9] op_sel_hi:[1,0,1]
	s_cbranch_scc0 .LBB11_3
	s_branch .LBB11_5
.LBB11_4:
	s_waitcnt lgkmcnt(0)
	v_mov_b32_e32 v4, s12
.LBB11_5:
	s_waitcnt vmcnt(0)
	v_div_scale_f32 v0, s[0:1], v4, v4, v5
	v_rcp_f32_e32 v1, v0
	v_div_scale_f32 v6, vcc, v5, v4, v5
	v_fma_f32 v7, -v0, v1, 1.0
	v_fmac_f32_e32 v1, v7, v1
	v_mul_f32_e32 v7, v6, v1
	v_fma_f32 v8, -v0, v7, v6
	v_fmac_f32_e32 v7, v8, v1
	v_fma_f32 v0, -v0, v7, v6
	v_div_fmas_f32 v0, v0, v1, v7
	v_div_fixup_f32 v0, v0, v4, v5
	global_store_dword v[2:3], v0, off
.LBB11_6:
	s_endpgm
	.section	.rodata,"a",@progbits
	.p2align	6, 0x0
	.amdhsa_kernel _ZL33flash_attn_stream_k_fixup_uniformILi80ELi16ELi4EEvPfPK15HIP_vector_typeIfLj2EEiiiiiiS1_IjLj3EES5_S5_
		.amdhsa_group_segment_fixed_size 0
		.amdhsa_private_segment_fixed_size 0
		.amdhsa_kernarg_size 76
		.amdhsa_user_sgpr_count 2
		.amdhsa_user_sgpr_dispatch_ptr 0
		.amdhsa_user_sgpr_queue_ptr 0
		.amdhsa_user_sgpr_kernarg_segment_ptr 1
		.amdhsa_user_sgpr_dispatch_id 0
		.amdhsa_user_sgpr_kernarg_preload_length 0
		.amdhsa_user_sgpr_kernarg_preload_offset 0
		.amdhsa_user_sgpr_private_segment_size 0
		.amdhsa_uses_dynamic_stack 0
		.amdhsa_enable_private_segment 0
		.amdhsa_system_sgpr_workgroup_id_x 1
		.amdhsa_system_sgpr_workgroup_id_y 1
		.amdhsa_system_sgpr_workgroup_id_z 1
		.amdhsa_system_sgpr_workgroup_info 0
		.amdhsa_system_vgpr_workitem_id 0
		.amdhsa_next_free_vgpr 17
		.amdhsa_next_free_sgpr 20
		.amdhsa_accum_offset 20
		.amdhsa_reserve_vcc 1
		.amdhsa_float_round_mode_32 0
		.amdhsa_float_round_mode_16_64 0
		.amdhsa_float_denorm_mode_32 3
		.amdhsa_float_denorm_mode_16_64 3
		.amdhsa_dx10_clamp 1
		.amdhsa_ieee_mode 1
		.amdhsa_fp16_overflow 0
		.amdhsa_tg_split 0
		.amdhsa_exception_fp_ieee_invalid_op 0
		.amdhsa_exception_fp_denorm_src 0
		.amdhsa_exception_fp_ieee_div_zero 0
		.amdhsa_exception_fp_ieee_overflow 0
		.amdhsa_exception_fp_ieee_underflow 0
		.amdhsa_exception_fp_ieee_inexact 0
		.amdhsa_exception_int_div_zero 0
	.end_amdhsa_kernel
	.section	.text._ZL33flash_attn_stream_k_fixup_uniformILi80ELi16ELi4EEvPfPK15HIP_vector_typeIfLj2EEiiiiiiS1_IjLj3EES5_S5_,"axG",@progbits,_ZL33flash_attn_stream_k_fixup_uniformILi80ELi16ELi4EEvPfPK15HIP_vector_typeIfLj2EEiiiiiiS1_IjLj3EES5_S5_,comdat
.Lfunc_end11:
	.size	_ZL33flash_attn_stream_k_fixup_uniformILi80ELi16ELi4EEvPfPK15HIP_vector_typeIfLj2EEiiiiiiS1_IjLj3EES5_S5_, .Lfunc_end11-_ZL33flash_attn_stream_k_fixup_uniformILi80ELi16ELi4EEvPfPK15HIP_vector_typeIfLj2EEiiiiiiS1_IjLj3EES5_S5_
                                        ; -- End function
	.set _ZL33flash_attn_stream_k_fixup_uniformILi80ELi16ELi4EEvPfPK15HIP_vector_typeIfLj2EEiiiiiiS1_IjLj3EES5_S5_.num_vgpr, 17
	.set _ZL33flash_attn_stream_k_fixup_uniformILi80ELi16ELi4EEvPfPK15HIP_vector_typeIfLj2EEiiiiiiS1_IjLj3EES5_S5_.num_agpr, 0
	.set _ZL33flash_attn_stream_k_fixup_uniformILi80ELi16ELi4EEvPfPK15HIP_vector_typeIfLj2EEiiiiiiS1_IjLj3EES5_S5_.numbered_sgpr, 20
	.set _ZL33flash_attn_stream_k_fixup_uniformILi80ELi16ELi4EEvPfPK15HIP_vector_typeIfLj2EEiiiiiiS1_IjLj3EES5_S5_.num_named_barrier, 0
	.set _ZL33flash_attn_stream_k_fixup_uniformILi80ELi16ELi4EEvPfPK15HIP_vector_typeIfLj2EEiiiiiiS1_IjLj3EES5_S5_.private_seg_size, 0
	.set _ZL33flash_attn_stream_k_fixup_uniformILi80ELi16ELi4EEvPfPK15HIP_vector_typeIfLj2EEiiiiiiS1_IjLj3EES5_S5_.uses_vcc, 1
	.set _ZL33flash_attn_stream_k_fixup_uniformILi80ELi16ELi4EEvPfPK15HIP_vector_typeIfLj2EEiiiiiiS1_IjLj3EES5_S5_.uses_flat_scratch, 0
	.set _ZL33flash_attn_stream_k_fixup_uniformILi80ELi16ELi4EEvPfPK15HIP_vector_typeIfLj2EEiiiiiiS1_IjLj3EES5_S5_.has_dyn_sized_stack, 0
	.set _ZL33flash_attn_stream_k_fixup_uniformILi80ELi16ELi4EEvPfPK15HIP_vector_typeIfLj2EEiiiiiiS1_IjLj3EES5_S5_.has_recursion, 0
	.set _ZL33flash_attn_stream_k_fixup_uniformILi80ELi16ELi4EEvPfPK15HIP_vector_typeIfLj2EEiiiiiiS1_IjLj3EES5_S5_.has_indirect_call, 0
	.section	.AMDGPU.csdata,"",@progbits
; Kernel info:
; codeLenInByte = 832
; TotalNumSgprs: 26
; NumVgprs: 17
; NumAgprs: 0
; TotalNumVgprs: 17
; ScratchSize: 0
; MemoryBound: 0
; FloatMode: 240
; IeeeMode: 1
; LDSByteSize: 0 bytes/workgroup (compile time only)
; SGPRBlocks: 3
; VGPRBlocks: 2
; NumSGPRsForWavesPerEU: 26
; NumVGPRsForWavesPerEU: 17
; AccumOffset: 20
; Occupancy: 8
; WaveLimiterHint : 0
; COMPUTE_PGM_RSRC2:SCRATCH_EN: 0
; COMPUTE_PGM_RSRC2:USER_SGPR: 2
; COMPUTE_PGM_RSRC2:TRAP_HANDLER: 0
; COMPUTE_PGM_RSRC2:TGID_X_EN: 1
; COMPUTE_PGM_RSRC2:TGID_Y_EN: 1
; COMPUTE_PGM_RSRC2:TGID_Z_EN: 1
; COMPUTE_PGM_RSRC2:TIDIG_COMP_CNT: 0
; COMPUTE_PGM_RSRC3_GFX90A:ACCUM_OFFSET: 4
; COMPUTE_PGM_RSRC3_GFX90A:TG_SPLIT: 0
	.section	.text._ZL33flash_attn_stream_k_fixup_generalILi80ELi16ELi4EEvPfPK15HIP_vector_typeIfLj2EEiiiiS1_IjLj3EES5_S5_S5_,"axG",@progbits,_ZL33flash_attn_stream_k_fixup_generalILi80ELi16ELi4EEvPfPK15HIP_vector_typeIfLj2EEiiiiS1_IjLj3EES5_S5_S5_,comdat
	.globl	_ZL33flash_attn_stream_k_fixup_generalILi80ELi16ELi4EEvPfPK15HIP_vector_typeIfLj2EEiiiiS1_IjLj3EES5_S5_S5_ ; -- Begin function _ZL33flash_attn_stream_k_fixup_generalILi80ELi16ELi4EEvPfPK15HIP_vector_typeIfLj2EEiiiiS1_IjLj3EES5_S5_S5_
	.p2align	8
	.type	_ZL33flash_attn_stream_k_fixup_generalILi80ELi16ELi4EEvPfPK15HIP_vector_typeIfLj2EEiiiiS1_IjLj3EES5_S5_S5_,@function
_ZL33flash_attn_stream_k_fixup_generalILi80ELi16ELi4EEvPfPK15HIP_vector_typeIfLj2EEiiiiS1_IjLj3EES5_S5_S5_: ; @_ZL33flash_attn_stream_k_fixup_generalILi80ELi16ELi4EEvPfPK15HIP_vector_typeIfLj2EEiiiiS1_IjLj3EES5_S5_S5_
; %bb.0:
	s_load_dwordx4 s[8:11], s[0:1], 0x10
	s_load_dword s22, s[0:1], 0x50
	s_mov_b32 s12, 0
	s_waitcnt lgkmcnt(0)
	s_mul_hi_i32 s13, s11, s2
	s_cmp_lg_u64 s[12:13], 0
	s_mul_i32 s5, s11, s2
	s_cbranch_scc0 .LBB12_20
; %bb.1:
	s_add_u32 s6, s22, 0
	s_addc_u32 s7, 0, 0
	s_xor_b64 s[6:7], s[6:7], 0
	v_cvt_f32_u32_e32 v1, s6
	v_cvt_f32_u32_e32 v2, s7
	s_sub_u32 s12, 0, s6
	s_subb_u32 s18, 0, s7
	v_fmamk_f32 v1, v2, 0x4f800000, v1
	v_rcp_f32_e32 v1, v1
	s_nop 0
	v_mul_f32_e32 v1, 0x5f7ffffc, v1
	v_mul_f32_e32 v2, 0x2f800000, v1
	v_trunc_f32_e32 v2, v2
	v_fmamk_f32 v1, v2, 0xcf800000, v1
	v_cvt_u32_f32_e32 v2, v2
	v_cvt_u32_f32_e32 v1, v1
	v_readfirstlane_b32 s19, v2
	v_readfirstlane_b32 s14, v1
	s_mul_i32 s15, s12, s19
	s_mul_hi_u32 s21, s12, s14
	s_mul_i32 s20, s18, s14
	s_add_i32 s15, s21, s15
	s_add_i32 s15, s15, s20
	s_mul_i32 s23, s12, s14
	s_mul_i32 s21, s14, s15
	s_mul_hi_u32 s24, s14, s23
	s_mul_hi_u32 s20, s14, s15
	s_add_u32 s21, s24, s21
	s_addc_u32 s20, 0, s20
	s_mul_hi_u32 s25, s19, s23
	s_mul_i32 s23, s19, s23
	s_add_u32 s21, s21, s23
	s_mul_hi_u32 s24, s19, s15
	s_addc_u32 s20, s20, s25
	s_addc_u32 s21, s24, 0
	s_mul_i32 s15, s19, s15
	s_add_u32 s15, s20, s15
	s_addc_u32 s20, 0, s21
	s_add_u32 s21, s14, s15
	s_cselect_b64 s[14:15], -1, 0
	s_cmp_lg_u64 s[14:15], 0
	s_addc_u32 s19, s19, s20
	s_mul_i32 s14, s12, s19
	s_mul_hi_u32 s15, s12, s21
	s_add_i32 s14, s15, s14
	s_mul_i32 s18, s18, s21
	s_add_i32 s14, s14, s18
	s_mul_i32 s12, s12, s21
	s_mul_hi_u32 s18, s19, s12
	s_mul_i32 s20, s19, s12
	s_mul_i32 s24, s21, s14
	s_mul_hi_u32 s12, s21, s12
	s_mul_hi_u32 s23, s21, s14
	s_add_u32 s12, s12, s24
	s_addc_u32 s23, 0, s23
	s_add_u32 s12, s12, s20
	s_mul_hi_u32 s15, s19, s14
	s_addc_u32 s12, s23, s18
	s_addc_u32 s15, s15, 0
	s_mul_i32 s14, s19, s14
	s_add_u32 s12, s12, s14
	s_addc_u32 s18, 0, s15
	s_add_u32 s20, s21, s12
	s_cselect_b64 s[14:15], -1, 0
	s_cmp_lg_u64 s[14:15], 0
	s_addc_u32 s18, s19, s18
	s_ashr_i32 s14, s13, 31
	s_add_u32 s12, s5, s14
	s_mov_b32 s15, s14
	s_addc_u32 s13, s13, s14
	s_xor_b64 s[12:13], s[12:13], s[14:15]
	s_mul_i32 s21, s12, s18
	s_mul_hi_u32 s23, s12, s20
	s_mul_hi_u32 s19, s12, s18
	s_add_u32 s21, s23, s21
	s_addc_u32 s19, 0, s19
	s_mul_hi_u32 s24, s13, s20
	s_mul_i32 s20, s13, s20
	s_add_u32 s20, s21, s20
	s_mul_hi_u32 s23, s13, s18
	s_addc_u32 s19, s19, s24
	s_addc_u32 s20, s23, 0
	s_mul_i32 s18, s13, s18
	s_add_u32 s23, s19, s18
	s_addc_u32 s24, 0, s20
	s_mul_i32 s18, s6, s24
	s_mul_hi_u32 s19, s6, s23
	s_add_i32 s18, s19, s18
	s_mul_i32 s19, s7, s23
	s_add_i32 s25, s18, s19
	s_sub_i32 s20, s13, s25
	s_mul_i32 s18, s6, s23
	s_sub_u32 s12, s12, s18
	s_cselect_b64 s[18:19], -1, 0
	s_cmp_lg_u64 s[18:19], 0
	s_subb_u32 s26, s20, s7
	s_sub_u32 s27, s12, s6
	s_cselect_b64 s[20:21], -1, 0
	s_cmp_lg_u64 s[20:21], 0
	s_subb_u32 s20, s26, 0
	s_cmp_ge_u32 s20, s7
	s_cselect_b32 s21, -1, 0
	s_cmp_ge_u32 s27, s6
	s_cselect_b32 s26, -1, 0
	s_cmp_eq_u32 s20, s7
	s_cselect_b32 s20, s26, s21
	s_add_u32 s21, s23, 1
	s_addc_u32 s26, s24, 0
	s_add_u32 s27, s23, 2
	s_addc_u32 s28, s24, 0
	s_cmp_lg_u32 s20, 0
	s_cselect_b32 s20, s27, s21
	s_cselect_b32 s21, s28, s26
	s_cmp_lg_u64 s[18:19], 0
	s_subb_u32 s13, s13, s25
	s_cmp_ge_u32 s13, s7
	s_cselect_b32 s18, -1, 0
	s_cmp_ge_u32 s12, s6
	s_cselect_b32 s6, -1, 0
	s_cmp_eq_u32 s13, s7
	s_cselect_b32 s6, s6, s18
	s_cmp_lg_u32 s6, 0
	s_cselect_b32 s7, s21, s24
	s_cselect_b32 s6, s20, s23
	s_xor_b64 s[12:13], s[14:15], 0
	s_xor_b64 s[6:7], s[6:7], s[12:13]
	s_sub_u32 s6, s6, s12
	s_load_dwordx4 s[12:15], s[0:1], 0x44
	s_cbranch_execnz .LBB12_3
.LBB12_2:
	v_cvt_f32_u32_e32 v1, s22
	s_sub_i32 s6, 0, s22
	v_rcp_iflag_f32_e32 v1, v1
	s_nop 0
	v_mul_f32_e32 v1, 0x4f7ffffe, v1
	v_cvt_u32_f32_e32 v1, v1
	s_nop 0
	v_readfirstlane_b32 s7, v1
	s_mul_i32 s6, s6, s7
	s_mul_hi_u32 s6, s7, s6
	s_add_i32 s7, s7, s6
	s_mul_hi_u32 s6, s5, s7
	s_waitcnt lgkmcnt(0)
	s_mul_i32 s15, s6, s22
	s_sub_i32 s5, s5, s15
	s_add_i32 s7, s6, 1
	s_sub_i32 s15, s5, s22
	s_cmp_ge_u32 s5, s22
	s_cselect_b32 s6, s7, s6
	s_cselect_b32 s5, s15, s5
	s_add_i32 s7, s6, 1
	s_cmp_ge_u32 s5, s22
	s_cselect_b32 s6, s7, s6
.LBB12_3:
	s_add_i32 s5, s2, 1
	s_mul_hi_i32 s21, s11, s5
	s_mov_b32 s20, 0
	s_cmp_lg_u64 s[20:21], 0
	s_mul_i32 s5, s11, s5
	s_cbranch_scc0 .LBB12_21
; %bb.4:
	s_add_u32 s16, s22, 0
	s_addc_u32 s17, 0, 0
	s_xor_b64 s[18:19], s[16:17], 0
	v_cvt_f32_u32_e32 v1, s18
	v_cvt_f32_u32_e32 v2, s19
	s_sub_u32 s7, 0, s18
	s_waitcnt lgkmcnt(0)
	s_subb_u32 s15, 0, s19
	v_fmamk_f32 v1, v2, 0x4f800000, v1
	v_rcp_f32_e32 v1, v1
	s_nop 0
	v_mul_f32_e32 v1, 0x5f7ffffc, v1
	v_mul_f32_e32 v2, 0x2f800000, v1
	v_trunc_f32_e32 v2, v2
	v_fmamk_f32 v1, v2, 0xcf800000, v1
	v_cvt_u32_f32_e32 v2, v2
	v_cvt_u32_f32_e32 v1, v1
	v_readfirstlane_b32 s20, v2
	v_readfirstlane_b32 s23, v1
	s_mul_i32 s24, s7, s20
	s_mul_hi_u32 s26, s7, s23
	s_mul_i32 s25, s15, s23
	s_add_i32 s24, s26, s24
	s_add_i32 s24, s24, s25
	s_mul_i32 s27, s7, s23
	s_mul_i32 s26, s23, s24
	s_mul_hi_u32 s28, s23, s27
	s_mul_hi_u32 s25, s23, s24
	s_add_u32 s26, s28, s26
	s_addc_u32 s25, 0, s25
	s_mul_hi_u32 s29, s20, s27
	s_mul_i32 s27, s20, s27
	s_add_u32 s26, s26, s27
	s_mul_hi_u32 s28, s20, s24
	s_addc_u32 s25, s25, s29
	s_addc_u32 s26, s28, 0
	s_mul_i32 s24, s20, s24
	s_add_u32 s24, s25, s24
	s_addc_u32 s26, 0, s26
	s_add_u32 s23, s23, s24
	s_cselect_b64 s[24:25], -1, 0
	s_cmp_lg_u64 s[24:25], 0
	s_addc_u32 s20, s20, s26
	s_mul_i32 s24, s7, s20
	s_mul_hi_u32 s25, s7, s23
	s_add_i32 s24, s25, s24
	s_mul_i32 s15, s15, s23
	s_add_i32 s24, s24, s15
	s_mul_i32 s7, s7, s23
	s_mul_hi_u32 s25, s20, s7
	s_mul_i32 s26, s20, s7
	s_mul_i32 s28, s23, s24
	s_mul_hi_u32 s7, s23, s7
	s_mul_hi_u32 s27, s23, s24
	s_add_u32 s7, s7, s28
	s_addc_u32 s27, 0, s27
	s_add_u32 s7, s7, s26
	s_mul_hi_u32 s15, s20, s24
	s_addc_u32 s7, s27, s25
	s_addc_u32 s15, s15, 0
	s_mul_i32 s24, s20, s24
	s_add_u32 s7, s7, s24
	s_addc_u32 s15, 0, s15
	s_add_u32 s7, s23, s7
	s_cselect_b64 s[24:25], -1, 0
	s_cmp_lg_u64 s[24:25], 0
	s_addc_u32 s15, s20, s15
	s_ashr_i32 s24, s21, 31
	s_add_u32 s20, s5, s24
	s_mov_b32 s25, s24
	s_addc_u32 s21, s21, s24
	s_xor_b64 s[20:21], s[20:21], s[24:25]
	s_mul_i32 s26, s20, s15
	s_mul_hi_u32 s27, s20, s7
	s_mul_hi_u32 s23, s20, s15
	s_add_u32 s26, s27, s26
	s_addc_u32 s23, 0, s23
	s_mul_hi_u32 s28, s21, s7
	s_mul_i32 s7, s21, s7
	s_add_u32 s7, s26, s7
	s_mul_hi_u32 s27, s21, s15
	s_addc_u32 s7, s23, s28
	s_addc_u32 s23, s27, 0
	s_mul_i32 s15, s21, s15
	s_add_u32 s7, s7, s15
	s_addc_u32 s15, 0, s23
	s_mul_i32 s23, s18, s15
	s_mul_hi_u32 s26, s18, s7
	s_add_i32 s23, s26, s23
	s_mul_i32 s26, s19, s7
	s_add_i32 s23, s23, s26
	s_sub_i32 s28, s21, s23
	s_mul_i32 s26, s18, s7
	s_sub_u32 s20, s20, s26
	s_cselect_b64 s[26:27], -1, 0
	s_cmp_lg_u64 s[26:27], 0
	s_subb_u32 s30, s28, s19
	s_sub_u32 s31, s20, s18
	s_cselect_b64 s[28:29], -1, 0
	s_cmp_lg_u64 s[28:29], 0
	s_subb_u32 s28, s30, 0
	s_cmp_ge_u32 s28, s19
	s_cselect_b32 s29, -1, 0
	s_cmp_ge_u32 s31, s18
	s_cselect_b32 s30, -1, 0
	s_cmp_eq_u32 s28, s19
	s_cselect_b32 s28, s30, s29
	s_add_u32 s29, s7, 1
	s_addc_u32 s30, s15, 0
	s_add_u32 s31, s7, 2
	s_addc_u32 s33, s15, 0
	s_cmp_lg_u32 s28, 0
	s_cselect_b32 s28, s31, s29
	s_cselect_b32 s29, s33, s30
	s_cmp_lg_u64 s[26:27], 0
	s_subb_u32 s21, s21, s23
	s_cmp_ge_u32 s21, s19
	s_cselect_b32 s23, -1, 0
	s_cmp_ge_u32 s20, s18
	s_cselect_b32 s18, -1, 0
	s_cmp_eq_u32 s21, s19
	s_cselect_b32 s18, s18, s23
	s_cmp_lg_u32 s18, 0
	s_cselect_b32 s19, s29, s15
	s_cselect_b32 s18, s28, s7
	s_xor_b64 s[20:21], s[24:25], 0
	s_xor_b64 s[18:19], s[18:19], s[20:21]
	s_sub_u32 s18, s18, s20
	s_cbranch_execnz .LBB12_6
.LBB12_5:
	v_cvt_f32_u32_e32 v1, s22
	s_sub_i32 s7, 0, s22
	v_rcp_iflag_f32_e32 v1, v1
	s_nop 0
	v_mul_f32_e32 v1, 0x4f7ffffe, v1
	v_cvt_u32_f32_e32 v1, v1
	s_waitcnt lgkmcnt(0)
	v_readfirstlane_b32 s15, v1
	s_mul_i32 s7, s7, s15
	s_mul_hi_u32 s7, s15, s7
	s_add_i32 s15, s15, s7
	s_mul_hi_u32 s7, s5, s15
	s_mul_i32 s16, s7, s22
	s_sub_i32 s5, s5, s16
	s_add_i32 s15, s7, 1
	s_sub_i32 s16, s5, s22
	s_cmp_ge_u32 s5, s22
	s_cselect_b32 s7, s15, s7
	s_cselect_b32 s5, s16, s5
	s_add_i32 s15, s7, 1
	s_cmp_ge_u32 s5, s22
	s_cselect_b32 s18, s15, s7
.LBB12_6:
	s_cmp_eq_u32 s6, s18
	s_waitcnt lgkmcnt(0)
	s_mul_hi_u32 s5, s6, s12
	s_cselect_b64 s[16:17], -1, 0
	s_add_i32 s5, s5, s6
	s_lshr_b32 s7, s5, s13
	s_mul_i32 s5, s7, s14
	s_cmp_eq_u32 s5, s6
	s_mul_hi_u32 s5, s18, s12
	s_cselect_b64 s[20:21], -1, 0
	s_add_i32 s5, s5, s18
	s_lshr_b32 s5, s5, s13
	s_cmp_eq_u32 s7, s5
	s_mul_i32 s5, s5, s14
	s_cselect_b64 s[24:25], -1, 0
	s_cmp_lg_u32 s5, s18
	s_cselect_b64 s[18:19], -1, 0
	s_and_b64 s[18:19], s[24:25], s[18:19]
	s_or_b64 s[16:17], s[16:17], s[20:21]
	s_or_b64 s[16:17], s[16:17], s[18:19]
	s_and_b64 vcc, exec, s[16:17]
	s_cbranch_vccnz .LBB12_23
; %bb.7:
	s_load_dwordx8 s[24:31], s[0:1], 0x20
	s_load_dword s5, s[0:1], 0x40
	s_waitcnt lgkmcnt(0)
	s_mul_hi_u32 s15, s6, s24
	s_add_i32 s15, s15, s6
	s_lshr_b32 s20, s15, s25
	s_mul_i32 s15, s20, s26
	s_sub_i32 s15, s6, s15
	s_mul_hi_u32 s16, s15, s27
	s_add_i32 s16, s15, s16
	s_lshr_b32 s21, s16, s28
	s_mul_i32 s16, s21, s29
	s_sub_i32 s15, s15, s16
	;; [unrolled: 5-line block ×3, first 2 shown]
	s_mul_hi_u32 s15, s5, s12
	s_add_i32 s5, s5, s15
	s_lshr_b32 s23, s5, s13
	s_lshl_b32 s5, s23, 4
	s_lshl_b32 s24, s16, 2
	s_add_i32 s5, s5, s3
	s_cmp_lt_i32 s5, s8
	s_cselect_b64 s[16:17], -1, 0
	s_add_i32 s24, s24, s4
	s_cmp_lt_i32 s24, s10
	s_cselect_b64 s[18:19], -1, 0
	s_and_b64 s[16:17], s[16:17], s[18:19]
	s_andn2_b64 vcc, exec, s[16:17]
	s_cbranch_vccnz .LBB12_23
; %bb.8:
	s_load_dwordx4 s[16:19], s[0:1], 0x0
	s_mov_b32 s0, 0
	s_lshl_b32 s15, s3, 2
	s_lshl_b32 s26, s22, 8
	s_mov_b32 s27, s0
	s_add_i32 s15, s15, s4
	s_lshl_b64 s[4:5], s[26:27], 2
	s_waitcnt lgkmcnt(0)
	s_add_u32 s4, s18, s4
	s_mul_i32 s1, s20, s8
	s_addc_u32 s5, s19, s5
	s_mul_i32 s21, s21, s10
	s_add_i32 s1, s1, s3
	s_mul_i32 s1, s1, s9
	s_add_i32 s3, s24, s21
	;; [unrolled: 2-line block ×3, first 2 shown]
	s_mulk_i32 s8, 0x500
	s_mulk_i32 s1, 0x50
	s_add_i32 s8, s8, s1
	v_add_u32_e32 v4, s8, v0
	v_mov_b32_e32 v2, s16
	v_mov_b32_e32 v3, s17
	v_ashrrev_i32_e32 v5, 31, v4
	v_lshl_add_u64 v[2:3], v[4:5], 2, v[2:3]
	global_load_dword v1, v[2:3], off
	v_cvt_f32_u32_e32 v4, s22
	s_lshl_b32 s1, s2, 6
	s_add_i32 s8, s15, s1
	s_ashr_i32 s9, s8, 31
	s_lshl_b64 s[8:9], s[8:9], 3
	v_rcp_iflag_f32_e32 v4, v4
	s_add_u32 s8, s18, s8
	s_addc_u32 s9, s19, s9
	s_load_dwordx2 s[8:9], s[8:9], 0x0
	v_mul_f32_e32 v4, 0x4f7ffffe, v4
	v_cvt_u32_f32_e32 v7, v4
	s_mul_i32 s1, s15, 0x50
	s_add_i32 s21, s2, -1
	v_add_u32_e32 v6, s1, v0
	s_waitcnt lgkmcnt(0)
	v_mov_b32_e32 v0, s9
	v_mov_b32_e32 v9, s8
	s_mov_b32 s10, 0x3fb8aa3b
	s_mov_b32 s20, 0xc2ce8ed0
	;; [unrolled: 1-line block ×4, first 2 shown]
	v_mov_b32_e32 v8, 0x7f800000
	s_mul_hi_i32 s1, s21, s11
	s_cmp_lg_u64 s[0:1], 0
	s_mul_i32 s16, s21, s11
	s_cbranch_scc0 .LBB12_19
.LBB12_9:
	s_add_u32 s2, s22, 0
	s_addc_u32 s3, 0, 0
	s_xor_b64 s[2:3], s[2:3], 0
	v_cvt_f32_u32_e32 v4, s2
	v_cvt_f32_u32_e32 v5, s3
	s_sub_u32 s17, 0, s2
	s_subb_u32 s25, 0, s3
	v_fmac_f32_e32 v4, 0x4f800000, v5
	v_rcp_f32_e32 v4, v4
	s_nop 0
	v_mul_f32_e32 v4, 0x5f7ffffc, v4
	v_mul_f32_e32 v5, 0x2f800000, v4
	v_trunc_f32_e32 v5, v5
	v_fmac_f32_e32 v4, 0xcf800000, v5
	v_cvt_u32_f32_e32 v5, v5
	v_cvt_u32_f32_e32 v4, v4
	v_readfirstlane_b32 s26, v5
	v_readfirstlane_b32 s8, v4
	s_mul_i32 s9, s17, s26
	s_mul_hi_u32 s28, s17, s8
	s_mul_i32 s27, s25, s8
	s_add_i32 s9, s28, s9
	s_mul_i32 s29, s17, s8
	s_add_i32 s9, s9, s27
	s_mul_i32 s28, s8, s9
	s_mul_hi_u32 s30, s8, s29
	s_mul_hi_u32 s27, s8, s9
	s_add_u32 s28, s30, s28
	s_addc_u32 s27, 0, s27
	s_mul_hi_u32 s31, s26, s29
	s_mul_i32 s29, s26, s29
	s_add_u32 s28, s28, s29
	s_mul_hi_u32 s30, s26, s9
	s_addc_u32 s27, s27, s31
	s_addc_u32 s28, s30, 0
	s_mul_i32 s9, s26, s9
	s_add_u32 s9, s27, s9
	s_addc_u32 s27, 0, s28
	s_add_u32 s28, s8, s9
	s_cselect_b64 s[8:9], -1, 0
	s_cmp_lg_u64 s[8:9], 0
	s_addc_u32 s26, s26, s27
	s_mul_i32 s8, s17, s26
	s_mul_hi_u32 s9, s17, s28
	s_add_i32 s8, s9, s8
	s_mul_i32 s25, s25, s28
	s_add_i32 s8, s8, s25
	s_mul_i32 s17, s17, s28
	s_mul_hi_u32 s25, s26, s17
	s_mul_i32 s27, s26, s17
	s_mul_i32 s30, s28, s8
	s_mul_hi_u32 s17, s28, s17
	s_mul_hi_u32 s29, s28, s8
	s_add_u32 s17, s17, s30
	s_addc_u32 s29, 0, s29
	s_add_u32 s17, s17, s27
	s_mul_hi_u32 s9, s26, s8
	s_addc_u32 s17, s29, s25
	s_addc_u32 s9, s9, 0
	s_mul_i32 s8, s26, s8
	s_add_u32 s8, s17, s8
	s_addc_u32 s17, 0, s9
	s_add_u32 s25, s28, s8
	s_cselect_b64 s[8:9], -1, 0
	s_cmp_lg_u64 s[8:9], 0
	s_addc_u32 s17, s26, s17
	s_ashr_i32 s8, s1, 31
	s_add_u32 s26, s16, s8
	s_mov_b32 s9, s8
	s_addc_u32 s27, s1, s8
	s_xor_b64 s[26:27], s[26:27], s[8:9]
	s_mul_i32 s28, s26, s17
	s_mul_hi_u32 s29, s26, s25
	s_mul_hi_u32 s1, s26, s17
	s_add_u32 s28, s29, s28
	s_addc_u32 s1, 0, s1
	s_mul_hi_u32 s30, s27, s25
	s_mul_i32 s25, s27, s25
	s_add_u32 s25, s28, s25
	s_mul_hi_u32 s29, s27, s17
	s_addc_u32 s1, s1, s30
	s_addc_u32 s25, s29, 0
	s_mul_i32 s17, s27, s17
	s_add_u32 s1, s1, s17
	s_addc_u32 s17, 0, s25
	s_mul_i32 s25, s2, s17
	s_mul_hi_u32 s28, s2, s1
	s_add_i32 s25, s28, s25
	s_mul_i32 s28, s3, s1
	s_add_i32 s25, s25, s28
	s_sub_i32 s30, s27, s25
	s_mul_i32 s28, s2, s1
	s_sub_u32 s26, s26, s28
	s_cselect_b64 s[28:29], -1, 0
	s_cmp_lg_u64 s[28:29], 0
	s_subb_u32 s33, s30, s3
	s_sub_u32 s34, s26, s2
	s_cselect_b64 s[30:31], -1, 0
	s_cmp_lg_u64 s[30:31], 0
	s_subb_u32 s30, s33, 0
	s_cmp_ge_u32 s30, s3
	s_cselect_b32 s31, -1, 0
	s_cmp_ge_u32 s34, s2
	s_cselect_b32 s33, -1, 0
	s_cmp_eq_u32 s30, s3
	s_cselect_b32 s30, s33, s31
	s_add_u32 s31, s1, 1
	s_addc_u32 s33, s17, 0
	s_add_u32 s34, s1, 2
	s_addc_u32 s35, s17, 0
	s_cmp_lg_u32 s30, 0
	s_cselect_b32 s30, s34, s31
	s_cselect_b32 s31, s35, s33
	s_cmp_lg_u64 s[28:29], 0
	s_subb_u32 s25, s27, s25
	s_cmp_ge_u32 s25, s3
	s_cselect_b32 s27, -1, 0
	s_cmp_ge_u32 s26, s2
	s_cselect_b32 s2, -1, 0
	s_cmp_eq_u32 s25, s3
	s_cselect_b32 s2, s2, s27
	s_cmp_lg_u32 s2, 0
	s_cselect_b32 s3, s31, s17
	s_cselect_b32 s2, s30, s1
	s_xor_b64 s[8:9], s[8:9], 0
	s_xor_b64 s[2:3], s[2:3], s[8:9]
	s_sub_u32 s8, s2, s8
	s_cbranch_execnz .LBB12_11
.LBB12_10:
	s_sub_i32 s1, 0, s22
	v_readfirstlane_b32 s2, v7
	s_mul_i32 s1, s1, s2
	s_mul_hi_u32 s1, s2, s1
	s_add_i32 s2, s2, s1
	s_mul_hi_u32 s1, s16, s2
	s_mul_i32 s3, s1, s22
	s_sub_i32 s3, s16, s3
	s_add_i32 s2, s1, 1
	s_sub_i32 s8, s3, s22
	s_cmp_ge_u32 s3, s22
	s_cselect_b32 s1, s2, s1
	s_cselect_b32 s3, s8, s3
	s_add_i32 s2, s1, 1
	s_cmp_ge_u32 s3, s22
	s_cselect_b32 s8, s2, s1
.LBB12_11:
	s_cmp_lg_u32 s6, s8
	s_cbranch_scc0 .LBB12_15
; %bb.12:
	s_add_i32 s1, s21, s22
	s_lshl_b32 s1, s1, 6
	s_add_i32 s2, s1, s15
	s_mov_b32 s3, s0
	s_lshl_b64 s[2:3], s[2:3], 3
	s_add_u32 s16, s18, s2
	s_mul_hi_u32 s1, s8, s12
	s_addc_u32 s17, s19, s3
	s_add_i32 s1, s1, s8
	s_lshr_b32 s1, s1, s13
	s_mul_i32 s2, s1, s14
	s_cmp_eq_u32 s2, s8
	s_cselect_b64 s[2:3], -1, 0
	s_cmp_lt_u32 s1, s7
	s_cselect_b64 s[26:27], -1, 0
	s_or_b64 s[26:27], s[26:27], s[2:3]
	s_mov_b64 s[2:3], -1
	s_and_b64 vcc, exec, s[26:27]
	s_mov_b32 s1, s21
	s_mov_b32 s25, s6
	s_cbranch_vccnz .LBB12_14
; %bb.13:
	s_add_i32 s1, s21, -1
	s_mov_b64 s[2:3], 0
	s_mov_b32 s25, s8
.LBB12_14:
	s_mul_i32 s8, s21, 0x1400
	v_add_u32_e32 v4, s8, v6
	v_ashrrev_i32_e32 v5, 31, v4
	v_lshl_add_u64 v[4:5], v[4:5], 2, s[4:5]
	global_load_dword v5, v[4:5], off
	s_load_dwordx2 s[8:9], s[16:17], 0x0
	v_max_f32_e32 v4, v9, v9
	s_waitcnt lgkmcnt(0)
	v_max_f32_e64 v10, s8, s8
	v_max_f32_e32 v10, v4, v10
	v_sub_f32_e32 v11, v9, v10
	v_sub_f32_e32 v13, s8, v10
	v_mul_f32_e32 v4, 0x3fb8aa3b, v11
	v_mul_f32_e32 v12, 0x3fb8aa3b, v13
	v_fma_f32 v14, v11, s10, -v4
	v_rndne_f32_e32 v15, v4
	v_fma_f32 v16, v13, s10, -v12
	v_rndne_f32_e32 v17, v12
	v_fmac_f32_e32 v14, 0x32a5705f, v11
	v_sub_f32_e32 v4, v4, v15
	v_fmac_f32_e32 v16, 0x32a5705f, v13
	v_sub_f32_e32 v12, v12, v17
	v_add_f32_e32 v4, v4, v14
	v_cvt_i32_f32_e32 v15, v15
	v_add_f32_e32 v12, v12, v16
	v_exp_f32_e32 v14, v4
	v_cvt_i32_f32_e32 v17, v17
	v_exp_f32_e32 v12, v12
	v_cmp_ngt_f32_e32 vcc, s20, v11
	v_ldexp_f32 v14, v14, v15
	v_mov_b32_e32 v4, s9
	v_ldexp_f32 v12, v12, v17
	v_cndmask_b32_e32 v14, 0, v14, vcc
	v_cmp_ngt_f32_e32 vcc, s20, v13
	s_nop 1
	v_cndmask_b32_e32 v12, 0, v12, vcc
	v_cmp_nlt_f32_e32 vcc, s23, v11
	s_nop 1
	v_cndmask_b32_e32 v14, v8, v14, vcc
	v_cmp_nlt_f32_e32 vcc, s23, v13
	s_nop 1
	v_cndmask_b32_e32 v15, v8, v12, vcc
	v_cmp_le_f32_e32 vcc, s24, v11
	s_nop 1
	v_cndmask_b32_e32 v12, 0, v14, vcc
	v_cmp_le_f32_e32 vcc, s24, v13
	s_nop 1
	v_cndmask_b32_e32 v14, 0, v15, vcc
	s_waitcnt vmcnt(0)
	v_pk_mul_f32 v[4:5], v[4:5], v[14:15] op_sel_hi:[1,0]
	s_nop 0
	v_pk_fma_f32 v[4:5], v[0:1], v[12:13], v[4:5] op_sel_hi:[1,0,1]
	s_cbranch_execz .LBB12_16
	s_branch .LBB12_17
.LBB12_15:
                                        ; implicit-def: $vgpr4_vgpr5
                                        ; implicit-def: $sgpr2_sgpr3
                                        ; implicit-def: $vgpr10
                                        ; implicit-def: $sgpr1
                                        ; implicit-def: $sgpr25
.LBB12_16:
	s_add_i32 s1, s21, -1
	s_mov_b64 s[2:3], 0
	s_mov_b32 s25, s6
	v_mov_b32_e32 v10, v9
	s_waitcnt vmcnt(0)
	v_mov_b64_e32 v[4:5], v[0:1]
.LBB12_17:
	s_andn2_b64 vcc, exec, s[2:3]
	s_cbranch_vccz .LBB12_22
; %bb.18:
	s_mov_b32 s6, s25
	s_mov_b32 s21, s1
	v_mov_b32_e32 v9, v10
	s_waitcnt vmcnt(0)
	v_mov_b64_e32 v[0:1], v[4:5]
	s_mul_hi_i32 s1, s21, s11
	s_cmp_lg_u64 s[0:1], 0
	s_mul_i32 s16, s21, s11
	s_cbranch_scc1 .LBB12_9
.LBB12_19:
                                        ; implicit-def: $sgpr8_sgpr9
	s_branch .LBB12_10
.LBB12_20:
                                        ; implicit-def: $sgpr6_sgpr7
	s_load_dwordx4 s[12:15], s[0:1], 0x44
	s_branch .LBB12_2
.LBB12_21:
                                        ; implicit-def: $sgpr18_sgpr19
	s_branch .LBB12_5
.LBB12_22:
	v_div_scale_f32 v0, s[0:1], v4, v4, v5
	s_waitcnt vmcnt(0)
	v_rcp_f32_e32 v1, v0
	v_div_scale_f32 v6, vcc, v5, v4, v5
	v_fma_f32 v7, -v0, v1, 1.0
	v_fmac_f32_e32 v1, v7, v1
	v_mul_f32_e32 v7, v6, v1
	v_fma_f32 v8, -v0, v7, v6
	v_fmac_f32_e32 v7, v8, v1
	v_fma_f32 v0, -v0, v7, v6
	v_div_fmas_f32 v0, v0, v1, v7
	v_div_fixup_f32 v0, v0, v4, v5
	global_store_dword v[2:3], v0, off
.LBB12_23:
	s_endpgm
	.section	.rodata,"a",@progbits
	.p2align	6, 0x0
	.amdhsa_kernel _ZL33flash_attn_stream_k_fixup_generalILi80ELi16ELi4EEvPfPK15HIP_vector_typeIfLj2EEiiiiS1_IjLj3EES5_S5_S5_
		.amdhsa_group_segment_fixed_size 0
		.amdhsa_private_segment_fixed_size 0
		.amdhsa_kernarg_size 336
		.amdhsa_user_sgpr_count 2
		.amdhsa_user_sgpr_dispatch_ptr 0
		.amdhsa_user_sgpr_queue_ptr 0
		.amdhsa_user_sgpr_kernarg_segment_ptr 1
		.amdhsa_user_sgpr_dispatch_id 0
		.amdhsa_user_sgpr_kernarg_preload_length 0
		.amdhsa_user_sgpr_kernarg_preload_offset 0
		.amdhsa_user_sgpr_private_segment_size 0
		.amdhsa_uses_dynamic_stack 0
		.amdhsa_enable_private_segment 0
		.amdhsa_system_sgpr_workgroup_id_x 1
		.amdhsa_system_sgpr_workgroup_id_y 1
		.amdhsa_system_sgpr_workgroup_id_z 1
		.amdhsa_system_sgpr_workgroup_info 0
		.amdhsa_system_vgpr_workitem_id 0
		.amdhsa_next_free_vgpr 18
		.amdhsa_next_free_sgpr 36
		.amdhsa_accum_offset 20
		.amdhsa_reserve_vcc 1
		.amdhsa_float_round_mode_32 0
		.amdhsa_float_round_mode_16_64 0
		.amdhsa_float_denorm_mode_32 3
		.amdhsa_float_denorm_mode_16_64 3
		.amdhsa_dx10_clamp 1
		.amdhsa_ieee_mode 1
		.amdhsa_fp16_overflow 0
		.amdhsa_tg_split 0
		.amdhsa_exception_fp_ieee_invalid_op 0
		.amdhsa_exception_fp_denorm_src 0
		.amdhsa_exception_fp_ieee_div_zero 0
		.amdhsa_exception_fp_ieee_overflow 0
		.amdhsa_exception_fp_ieee_underflow 0
		.amdhsa_exception_fp_ieee_inexact 0
		.amdhsa_exception_int_div_zero 0
	.end_amdhsa_kernel
	.section	.text._ZL33flash_attn_stream_k_fixup_generalILi80ELi16ELi4EEvPfPK15HIP_vector_typeIfLj2EEiiiiS1_IjLj3EES5_S5_S5_,"axG",@progbits,_ZL33flash_attn_stream_k_fixup_generalILi80ELi16ELi4EEvPfPK15HIP_vector_typeIfLj2EEiiiiS1_IjLj3EES5_S5_S5_,comdat
.Lfunc_end12:
	.size	_ZL33flash_attn_stream_k_fixup_generalILi80ELi16ELi4EEvPfPK15HIP_vector_typeIfLj2EEiiiiS1_IjLj3EES5_S5_S5_, .Lfunc_end12-_ZL33flash_attn_stream_k_fixup_generalILi80ELi16ELi4EEvPfPK15HIP_vector_typeIfLj2EEiiiiS1_IjLj3EES5_S5_S5_
                                        ; -- End function
	.set _ZL33flash_attn_stream_k_fixup_generalILi80ELi16ELi4EEvPfPK15HIP_vector_typeIfLj2EEiiiiS1_IjLj3EES5_S5_S5_.num_vgpr, 18
	.set _ZL33flash_attn_stream_k_fixup_generalILi80ELi16ELi4EEvPfPK15HIP_vector_typeIfLj2EEiiiiS1_IjLj3EES5_S5_S5_.num_agpr, 0
	.set _ZL33flash_attn_stream_k_fixup_generalILi80ELi16ELi4EEvPfPK15HIP_vector_typeIfLj2EEiiiiS1_IjLj3EES5_S5_S5_.numbered_sgpr, 36
	.set _ZL33flash_attn_stream_k_fixup_generalILi80ELi16ELi4EEvPfPK15HIP_vector_typeIfLj2EEiiiiS1_IjLj3EES5_S5_S5_.num_named_barrier, 0
	.set _ZL33flash_attn_stream_k_fixup_generalILi80ELi16ELi4EEvPfPK15HIP_vector_typeIfLj2EEiiiiS1_IjLj3EES5_S5_S5_.private_seg_size, 0
	.set _ZL33flash_attn_stream_k_fixup_generalILi80ELi16ELi4EEvPfPK15HIP_vector_typeIfLj2EEiiiiS1_IjLj3EES5_S5_S5_.uses_vcc, 1
	.set _ZL33flash_attn_stream_k_fixup_generalILi80ELi16ELi4EEvPfPK15HIP_vector_typeIfLj2EEiiiiS1_IjLj3EES5_S5_S5_.uses_flat_scratch, 0
	.set _ZL33flash_attn_stream_k_fixup_generalILi80ELi16ELi4EEvPfPK15HIP_vector_typeIfLj2EEiiiiS1_IjLj3EES5_S5_S5_.has_dyn_sized_stack, 0
	.set _ZL33flash_attn_stream_k_fixup_generalILi80ELi16ELi4EEvPfPK15HIP_vector_typeIfLj2EEiiiiS1_IjLj3EES5_S5_S5_.has_recursion, 0
	.set _ZL33flash_attn_stream_k_fixup_generalILi80ELi16ELi4EEvPfPK15HIP_vector_typeIfLj2EEiiiiS1_IjLj3EES5_S5_S5_.has_indirect_call, 0
	.section	.AMDGPU.csdata,"",@progbits
; Kernel info:
; codeLenInByte = 2944
; TotalNumSgprs: 42
; NumVgprs: 18
; NumAgprs: 0
; TotalNumVgprs: 18
; ScratchSize: 0
; MemoryBound: 0
; FloatMode: 240
; IeeeMode: 1
; LDSByteSize: 0 bytes/workgroup (compile time only)
; SGPRBlocks: 5
; VGPRBlocks: 2
; NumSGPRsForWavesPerEU: 42
; NumVGPRsForWavesPerEU: 18
; AccumOffset: 20
; Occupancy: 8
; WaveLimiterHint : 0
; COMPUTE_PGM_RSRC2:SCRATCH_EN: 0
; COMPUTE_PGM_RSRC2:USER_SGPR: 2
; COMPUTE_PGM_RSRC2:TRAP_HANDLER: 0
; COMPUTE_PGM_RSRC2:TGID_X_EN: 1
; COMPUTE_PGM_RSRC2:TGID_Y_EN: 1
; COMPUTE_PGM_RSRC2:TGID_Z_EN: 1
; COMPUTE_PGM_RSRC2:TIDIG_COMP_CNT: 0
; COMPUTE_PGM_RSRC3_GFX90A:ACCUM_OFFSET: 4
; COMPUTE_PGM_RSRC3_GFX90A:TG_SPLIT: 0
	.section	.text._ZL26flash_attn_combine_resultsILi80EEvPKfPK15HIP_vector_typeIfLj2EEPfi,"axG",@progbits,_ZL26flash_attn_combine_resultsILi80EEvPKfPK15HIP_vector_typeIfLj2EEPfi,comdat
	.globl	_ZL26flash_attn_combine_resultsILi80EEvPKfPK15HIP_vector_typeIfLj2EEPfi ; -- Begin function _ZL26flash_attn_combine_resultsILi80EEvPKfPK15HIP_vector_typeIfLj2EEPfi
	.p2align	8
	.type	_ZL26flash_attn_combine_resultsILi80EEvPKfPK15HIP_vector_typeIfLj2EEPfi,@function
_ZL26flash_attn_combine_resultsILi80EEvPKfPK15HIP_vector_typeIfLj2EEPfi: ; @_ZL26flash_attn_combine_resultsILi80EEvPKfPK15HIP_vector_typeIfLj2EEPfi
; %bb.0:
	s_load_dwordx2 s[6:7], s[0:1], 0x20
	s_load_dword s23, s[0:1], 0x18
	s_load_dwordx4 s[16:19], s[0:1], 0x0
	s_load_dwordx2 s[14:15], s[0:1], 0x10
	s_waitcnt lgkmcnt(0)
	s_mul_i32 s0, s6, s4
	s_add_i32 s0, s0, s2
	s_mul_i32 s22, s0, s7
	s_add_i32 s22, s22, s3
	s_lshl_b32 s12, s23, 1
	s_mul_i32 s2, s22, s23
	v_cmp_gt_i32_e32 vcc, s12, v0
	s_and_saveexec_b64 s[0:1], vcc
	s_cbranch_execz .LBB13_13
; %bb.1:
	v_xad_u32 v1, v0, -1, s12
	s_movk_i32 s4, 0x4f
	s_ashr_i32 s3, s2, 31
	v_cmp_lt_u32_e32 vcc, s4, v1
	s_mov_b64 s[6:7], -1
	v_mov_b32_e32 v2, v0
	s_and_saveexec_b64 s[4:5], vcc
	s_cbranch_execz .LBB13_10
; %bb.2:
	s_mov_b32 s6, 0xcccccccd
	v_mul_hi_u32 v1, v1, s6
	v_lshrrev_b32_e32 v6, 6, v1
	s_lshl_b64 s[6:7], s[2:3], 3
	v_add_u32_e32 v2, -1, v6
	s_add_u32 s6, s18, s6
	v_add_u32_e32 v1, 0x50, v0
	v_lshrrev_b32_e32 v3, 1, v2
	s_addc_u32 s7, s19, s7
	v_add_u32_e32 v7, 1, v3
	v_cmp_lt_u32_e32 vcc, 13, v2
	v_mov_b32_e32 v4, 0
	v_mov_b64_e32 v[2:3], v[0:1]
	s_and_saveexec_b64 s[8:9], vcc
	s_cbranch_execz .LBB13_6
; %bb.3:
	v_and_b32_e32 v8, -8, v7
	s_mov_b32 s13, 0
	v_lshl_add_u32 v9, v0, 2, 0
	s_mov_b64 s[10:11], 0
	v_mov_b32_e32 v5, 0
	v_mov_b64_e32 v[2:3], v[0:1]
.LBB13_4:                               ; =>This Inner Loop Header: Depth=1
	v_mov_b32_e32 v4, v2
	v_lshl_add_u64 v[24:25], v[4:5], 2, s[6:7]
	v_mov_b32_e32 v4, v3
	v_add_u32_e32 v10, 0xa0, v3
	v_mov_b32_e32 v11, v5
	v_lshl_add_u64 v[26:27], v[4:5], 2, s[6:7]
	v_add_u32_e32 v4, 0xa0, v2
	v_lshl_add_u64 v[10:11], v[10:11], 2, s[6:7]
	global_load_dword v1, v[24:25], off
	v_lshl_add_u64 v[24:25], v[4:5], 2, s[6:7]
	v_add_u32_e32 v4, 0x140, v2
	global_load_dword v28, v[26:27], off
	global_load_dword v29, v[24:25], off
	;; [unrolled: 1-line block ×3, first 2 shown]
	v_lshl_add_u64 v[10:11], v[4:5], 2, s[6:7]
	v_add_u32_e32 v4, 0x1e0, v2
	v_add_u32_e32 v12, 0x140, v3
	v_mov_b32_e32 v13, v5
	v_add_u32_e32 v14, 0x1e0, v3
	v_mov_b32_e32 v15, v5
	v_lshl_add_u64 v[24:25], v[4:5], 2, s[6:7]
	v_add_u32_e32 v4, 0x280, v2
	v_lshl_add_u64 v[12:13], v[12:13], 2, s[6:7]
	v_lshl_add_u64 v[14:15], v[14:15], 2, s[6:7]
	global_load_dword v26, v[10:11], off
	global_load_dword v27, v[12:13], off
	;; [unrolled: 1-line block ×4, first 2 shown]
	v_lshl_add_u64 v[10:11], v[4:5], 2, s[6:7]
	v_add_u32_e32 v4, 0x320, v2
	v_add_u32_e32 v16, 0x280, v3
	v_mov_b32_e32 v17, v5
	v_add_u32_e32 v18, 0x320, v3
	v_mov_b32_e32 v19, v5
	v_lshl_add_u64 v[12:13], v[4:5], 2, s[6:7]
	v_add_u32_e32 v4, 0x3c0, v2
	v_add_u32_e32 v20, 0x3c0, v3
	v_mov_b32_e32 v21, v5
	v_add_u32_e32 v22, 0x460, v3
	v_mov_b32_e32 v23, v5
	v_lshl_add_u64 v[16:17], v[16:17], 2, s[6:7]
	v_lshl_add_u64 v[18:19], v[18:19], 2, s[6:7]
	global_load_dword v14, v[10:11], off
	global_load_dword v15, v[16:17], off
	;; [unrolled: 1-line block ×4, first 2 shown]
	v_lshl_add_u64 v[10:11], v[4:5], 2, s[6:7]
	v_add_u32_e32 v4, 0x460, v2
	v_lshl_add_u64 v[20:21], v[20:21], 2, s[6:7]
	v_lshl_add_u64 v[22:23], v[22:23], 2, s[6:7]
	v_lshl_add_u64 v[12:13], v[4:5], 2, s[6:7]
	global_load_dword v16, v[10:11], off
	global_load_dword v17, v[20:21], off
	;; [unrolled: 1-line block ×4, first 2 shown]
	v_add_u32_e32 v8, -8, v8
	s_add_i32 s13, s13, 16
	v_cmp_eq_u32_e32 vcc, 0, v8
	v_add_u32_e32 v10, 0x400, v9
	v_add_u32_e32 v11, 0x600, v9
	;; [unrolled: 1-line block ×7, first 2 shown]
	v_mov_b32_e32 v4, s13
	s_or_b64 s[10:11], vcc, s[10:11]
	v_add_u32_e32 v2, 0x500, v2
	s_waitcnt vmcnt(14)
	ds_write2_b32 v9, v1, v28 offset1:80
	s_waitcnt vmcnt(12)
	ds_write2_b32 v9, v29, v30 offset0:160 offset1:240
	v_add_u32_e32 v9, 0x1400, v9
	s_waitcnt vmcnt(10)
	ds_write2_b32 v10, v26, v27 offset0:64 offset1:144
	s_waitcnt vmcnt(8)
	ds_write2_b32 v11, v31, v32 offset0:96 offset1:176
	;; [unrolled: 2-line block ×6, first 2 shown]
	s_andn2_b64 exec, exec, s[10:11]
	s_cbranch_execnz .LBB13_4
; %bb.5:
	s_or_b64 exec, exec, s[10:11]
.LBB13_6:
	s_or_b64 exec, exec, s[8:9]
	v_and_b32_e32 v1, 7, v7
	v_cmp_ne_u32_e32 vcc, 0, v1
	s_and_saveexec_b64 s[8:9], vcc
	s_cbranch_execz .LBB13_9
; %bb.7:
	s_movk_i32 s10, 0x140
	v_mul_lo_u32 v4, v4, s10
	v_lshlrev_b32_e32 v5, 2, v0
	v_add3_u32 v7, v4, v5, 0
	s_mov_b64 s[10:11], 0
	v_mov_b32_e32 v5, 0
.LBB13_8:                               ; =>This Inner Loop Header: Depth=1
	v_mov_b32_e32 v4, v2
	v_lshl_add_u64 v[8:9], v[4:5], 2, s[6:7]
	v_mov_b32_e32 v4, v3
	v_lshl_add_u64 v[10:11], v[4:5], 2, s[6:7]
	global_load_dword v4, v[8:9], off
	global_load_dword v12, v[10:11], off
	v_add_u32_e32 v1, -1, v1
	v_cmp_eq_u32_e32 vcc, 0, v1
	v_add_u32_e32 v2, 0xa0, v2
	v_add_u32_e32 v3, 0xa0, v3
	s_or_b64 s[10:11], vcc, s[10:11]
	s_waitcnt vmcnt(0)
	ds_write2_b32 v7, v4, v12 offset1:80
	v_add_u32_e32 v7, 0x280, v7
	s_andn2_b64 exec, exec, s[10:11]
	s_cbranch_execnz .LBB13_8
.LBB13_9:
	s_or_b64 exec, exec, s[8:9]
	v_add_u32_e32 v1, 1, v6
	v_and_b32_e32 v4, 0x7fffffe, v1
	s_movk_i32 s6, 0x50
	v_mad_u64_u32 v[2:3], s[6:7], v4, s6, v[0:1]
	v_cmp_ne_u32_e32 vcc, v1, v4
	s_orn2_b64 s[6:7], vcc, exec
.LBB13_10:
	s_or_b64 exec, exec, s[4:5]
	s_and_b64 exec, exec, s[6:7]
	s_cbranch_execz .LBB13_13
; %bb.11:
	s_lshl_b64 s[4:5], s[2:3], 3
	s_add_u32 s4, s18, s4
	v_mov_b32_e32 v3, 0
	s_addc_u32 s5, s19, s5
	v_lshl_add_u64 v[4:5], v[2:3], 2, s[4:5]
	v_lshl_add_u32 v1, v2, 2, 0
	s_mov_b64 s[4:5], 0
	s_mov_b64 s[6:7], 0x140
.LBB13_12:                              ; =>This Inner Loop Header: Depth=1
	global_load_dword v3, v[4:5], off
	v_add_u32_e32 v2, 0x50, v2
	v_cmp_le_i32_e32 vcc, s12, v2
	v_lshl_add_u64 v[4:5], v[4:5], 0, s[6:7]
	s_or_b64 s[4:5], vcc, s[4:5]
	s_waitcnt vmcnt(0)
	ds_write_b32 v1, v3
	v_add_u32_e32 v1, 0x140, v1
	s_andn2_b64 exec, exec, s[4:5]
	s_cbranch_execnz .LBB13_12
.LBB13_13:
	s_or_b64 exec, exec, s[0:1]
	v_mov_b32_e32 v1, 0
	s_waitcnt lgkmcnt(0)
	s_barrier
	ds_read_b32 v1, v1
	s_cmp_lt_i32 s23, 2
	s_cbranch_scc1 .LBB13_21
; %bb.14:
	s_cmp_eq_u32 s23, 2
	s_cbranch_scc1 .LBB13_18
; %bb.15:
	s_add_i32 s3, s23, -1
	s_and_b32 s4, s3, -2
	s_add_i32 s6, 0, 8
	s_mov_b32 s5, 2
	s_waitcnt lgkmcnt(0)
	v_mov_b32_e32 v4, v1
.LBB13_16:                              ; =>This Inner Loop Header: Depth=1
	v_mov_b32_e32 v2, v1
	v_mov_b32_e32 v1, s6
	v_mov_b32_e32 v3, v4
	ds_read2_b32 v[4:5], v1 offset1:2
	s_cmp_lg_u32 s4, s5
	s_cselect_b64 s[8:9], -1, 0
	v_max_f32_e32 v1, v3, v3
	v_max_f32_e32 v6, v2, v2
	s_waitcnt lgkmcnt(0)
	v_cmp_u_f32_e32 vcc, v5, v5
	v_max_f32_e32 v7, v5, v5
	v_max_f32_e32 v8, v4, v4
	v_cndmask_b32_e64 v5, 0, 1, vcc
	v_cmp_u_f32_e32 vcc, v4, v4
	v_readfirstlane_b32 s0, v5
	s_lshl_b32 s0, s0, 1
	v_cndmask_b32_e64 v9, 0, 1, vcc
	v_max_f32_e32 v4, v1, v7
	v_readfirstlane_b32 s1, v9
	s_or_b32 s0, s1, s0
	s_and_b32 s7, s0, 3
	s_cmp_lg_u32 s7, 0
	s_cselect_b64 s[0:1], -1, 0
	s_cmp_eq_u32 s7, 0
	s_cselect_b64 s[10:11], -1, 0
	s_and_b64 s[8:9], s[10:11], s[8:9]
	v_max_f32_e32 v1, v6, v8
	s_add_i32 s5, s5, 2
	s_add_i32 s6, s6, 16
	s_and_b64 vcc, exec, s[8:9]
	s_cbranch_vccnz .LBB13_16
; %bb.17:
	s_add_i32 s5, s5, -4
	s_and_b64 s[6:7], s[0:1], exec
	s_cselect_b32 s5, s5, s3
	s_or_b32 s5, s5, 1
	v_cndmask_b32_e64 v1, v1, v2, s[0:1]
	v_cndmask_b32_e64 v2, v4, v3, s[0:1]
	s_cmp_lg_u32 s3, s4
	v_max_f32_e32 v2, v2, v2
	v_max_f32_e32 v1, v1, v1
	s_cselect_b64 s[6:7], -1, 0
	v_max_f32_e32 v1, v1, v2
	s_or_b64 s[0:1], s[6:7], s[0:1]
	s_and_b64 vcc, exec, s[0:1]
	s_cbranch_vccnz .LBB13_19
	s_branch .LBB13_21
.LBB13_18:
	s_mov_b32 s5, 1
	s_cbranch_execz .LBB13_21
.LBB13_19:
	s_lshl_b32 s1, s5, 3
	s_sub_i32 s0, s23, s5
	s_add_i32 s1, s1, 0
.LBB13_20:                              ; =>This Inner Loop Header: Depth=1
	v_mov_b32_e32 v2, s1
	ds_read_b32 v2, v2
	s_waitcnt lgkmcnt(1)
	v_max_f32_e32 v1, v1, v1
	s_add_i32 s0, s0, -1
	s_add_i32 s1, s1, 8
	s_cmp_eq_u32 s0, 0
	s_waitcnt lgkmcnt(0)
	v_max_f32_e32 v2, v2, v2
	v_max_f32_e32 v1, v1, v2
	s_cbranch_scc0 .LBB13_20
.LBB13_21:
	s_cmp_lt_i32 s23, 1
	s_cbranch_scc1 .LBB13_26
; %bb.22:
	s_mul_i32 s18, s2, 0x50
	s_ashr_i32 s19, s18, 31
	s_cmp_lt_u32 s23, 8
	s_cbranch_scc1 .LBB13_27
; %bb.23:
	s_lshl_b64 s[0:1], s[18:19], 2
	s_add_u32 s20, s16, s0
	v_mov_b32_e32 v7, 0
	s_addc_u32 s21, s17, s1
	s_and_b32 s24, s23, 0x7ffffff8
	v_add_u32_e32 v4, 0x140, v0
	s_mov_b32 s25, 0
	s_mov_b32 s26, 0x3fb8aa3b
	;; [unrolled: 1-line block ×4, first 2 shown]
	v_mov_b32_e32 v8, 0x7f800000
	s_mov_b32 s29, 0
	v_mov_b32_e32 v2, v7
	v_mov_b32_e32 v3, v7
.LBB13_24:                              ; =>This Inner Loop Header: Depth=1
	v_add_u32_e32 v6, 0xfffffec0, v4
	v_mov_b32_e32 v9, s25
	v_lshl_add_u64 v[26:27], v[6:7], 2, s[20:21]
	v_add_u32_e32 v6, 0xffffff10, v4
	ds_read2_b64 v[10:13], v9 offset1:1
	ds_read2_b64 v[14:17], v9 offset0:2 offset1:3
	ds_read2_b64 v[18:21], v9 offset0:4 offset1:5
	;; [unrolled: 1-line block ×3, first 2 shown]
	v_lshl_add_u64 v[30:31], v[6:7], 2, s[20:21]
	v_add_u32_e32 v6, 0xffffff60, v4
	global_load_dword v33, v[26:27], off
	global_load_dword v35, v[30:31], off
	v_lshl_add_u64 v[26:27], v[6:7], 2, s[20:21]
	v_add_u32_e32 v6, 0xffffffb0, v4
	v_mov_b32_e32 v5, v7
	v_lshl_add_u64 v[30:31], v[6:7], 2, s[20:21]
	v_add_u32_e32 v6, 0x50, v4
	v_lshl_add_u64 v[28:29], v[4:5], 2, s[20:21]
	global_load_dword v37, v[26:27], off
	global_load_dword v39, v[30:31], off
	;; [unrolled: 1-line block ×3, first 2 shown]
	v_lshl_add_u64 v[26:27], v[6:7], 2, s[20:21]
	v_add_u32_e32 v6, 0xa0, v4
	s_waitcnt lgkmcnt(3)
	v_mov_b32_e32 v32, v11
	v_sub_f32_e32 v9, v12, v1
	v_mov_b32_e32 v34, v13
	global_load_dword v11, v[26:27], off
	v_lshl_add_u64 v[12:13], v[6:7], 2, s[20:21]
	v_add_u32_e32 v6, 0xf0, v4
	s_waitcnt lgkmcnt(2)
	v_mov_b32_e32 v36, v15
	global_load_dword v15, v[12:13], off
	v_lshl_add_u64 v[12:13], v[6:7], 2, s[20:21]
	v_mov_b32_e32 v38, v17
	global_load_dword v17, v[12:13], off
	v_sub_f32_e32 v5, v10, v1
	s_waitcnt lgkmcnt(1)
	v_mov_b32_e32 v40, v19
	v_sub_f32_e32 v19, v20, v1
	s_waitcnt lgkmcnt(0)
	v_sub_f32_e32 v20, v22, v1
	v_mul_f32_e32 v22, 0x3fb8aa3b, v5
	v_sub_f32_e32 v28, v14, v1
	v_sub_f32_e32 v29, v16, v1
	v_mov_b32_e32 v14, v23
	v_mul_f32_e32 v23, 0x3fb8aa3b, v9
	v_fma_f32 v6, v5, s26, -v22
	v_rndne_f32_e32 v42, v22
	v_sub_f32_e32 v18, v18, v1
	v_mov_b32_e32 v10, v21
	v_sub_f32_e32 v21, v24, v1
	v_mov_b32_e32 v16, v25
	v_mul_f32_e32 v24, 0x3fb8aa3b, v28
	v_mul_f32_e32 v25, 0x3fb8aa3b, v29
	v_fma_f32 v43, v9, s26, -v23
	v_rndne_f32_e32 v44, v23
	v_fmac_f32_e32 v6, 0x32a5705f, v5
	v_sub_f32_e32 v12, v22, v42
	v_mul_f32_e32 v26, 0x3fb8aa3b, v18
	v_mul_f32_e32 v27, 0x3fb8aa3b, v19
	;; [unrolled: 1-line block ×3, first 2 shown]
	v_fma_f32 v45, v28, s26, -v24
	v_rndne_f32_e32 v46, v24
	v_fma_f32 v47, v29, s26, -v25
	v_rndne_f32_e32 v48, v25
	v_fmac_f32_e32 v43, 0x32a5705f, v9
	v_sub_f32_e32 v22, v23, v44
	v_add_f32_e32 v6, v12, v6
	v_fma_f32 v49, v18, s26, -v26
	v_rndne_f32_e32 v50, v26
	v_fma_f32 v51, v19, s26, -v27
	v_rndne_f32_e32 v52, v27
	;; [unrolled: 2-line block ×3, first 2 shown]
	v_cvt_i32_f32_e32 v13, v42
	v_fmac_f32_e32 v45, 0x32a5705f, v28
	v_sub_f32_e32 v24, v24, v46
	v_fmac_f32_e32 v47, 0x32a5705f, v29
	v_sub_f32_e32 v25, v25, v48
	v_add_f32_e32 v12, v22, v43
	v_exp_f32_e32 v6, v6
	v_cvt_i32_f32_e32 v23, v44
	v_fmac_f32_e32 v49, 0x32a5705f, v18
	v_sub_f32_e32 v26, v26, v50
	v_fmac_f32_e32 v51, 0x32a5705f, v19
	v_sub_f32_e32 v27, v27, v52
	;; [unrolled: 2-line block ×3, first 2 shown]
	v_add_f32_e32 v22, v24, v45
	v_add_f32_e32 v24, v25, v47
	v_exp_f32_e32 v12, v12
	v_mul_f32_e32 v31, 0x3fb8aa3b, v21
	v_cvt_i32_f32_e32 v42, v46
	v_cvt_i32_f32_e32 v44, v48
	v_add_f32_e32 v25, v26, v49
	v_add_f32_e32 v26, v27, v51
	;; [unrolled: 1-line block ×3, first 2 shown]
	v_exp_f32_e32 v22, v22
	v_exp_f32_e32 v24, v24
	v_fma_f32 v55, v21, s26, -v31
	v_rndne_f32_e32 v56, v31
	v_cvt_i32_f32_e32 v46, v50
	v_cvt_i32_f32_e32 v48, v52
	v_cvt_i32_f32_e32 v50, v54
	v_exp_f32_e32 v25, v25
	v_exp_f32_e32 v26, v26
	;; [unrolled: 1-line block ×3, first 2 shown]
	v_fmac_f32_e32 v55, 0x32a5705f, v21
	v_sub_f32_e32 v31, v31, v56
	v_ldexp_f32 v6, v6, v13
	v_cmp_ngt_f32_e64 s[12:13], s27, v5
	v_add_f32_e32 v30, v31, v55
	v_ldexp_f32 v12, v12, v23
	v_cmp_ngt_f32_e32 vcc, s27, v9
	v_cndmask_b32_e64 v6, 0, v6, s[12:13]
	v_cmp_nlt_f32_e64 s[12:13], s28, v5
	v_cvt_i32_f32_e32 v52, v56
	v_exp_f32_e32 v30, v30
	v_ldexp_f32 v13, v22, v42
	v_cmp_ngt_f32_e64 s[0:1], s27, v28
	v_ldexp_f32 v22, v24, v44
	v_cmp_ngt_f32_e64 s[2:3], s27, v29
	v_cndmask_b32_e32 v12, 0, v12, vcc
	v_cmp_nlt_f32_e32 vcc, s28, v9
	v_cndmask_b32_e64 v6, v8, v6, s[12:13]
	v_ldexp_f32 v23, v25, v46
	v_cmp_ngt_f32_e64 s[4:5], s27, v18
	v_ldexp_f32 v24, v26, v48
	v_cmp_ngt_f32_e64 s[6:7], s27, v19
	;; [unrolled: 2-line block ×3, first 2 shown]
	v_cndmask_b32_e64 v9, 0, v13, s[0:1]
	v_cmp_nlt_f32_e64 s[0:1], s28, v28
	v_cndmask_b32_e64 v13, 0, v22, s[2:3]
	v_cndmask_b32_e32 v12, v8, v12, vcc
	s_waitcnt vmcnt(7)
	v_pk_fma_f32 v[2:3], v[6:7], v[32:33], v[2:3] op_sel_hi:[0,1,1]
	v_cmp_nlt_f32_e64 s[2:3], s28, v29
	v_cndmask_b32_e64 v22, 0, v23, s[4:5]
	v_cmp_nlt_f32_e64 s[4:5], s28, v18
	v_cndmask_b32_e64 v23, 0, v24, s[6:7]
	;; [unrolled: 2-line block ×3, first 2 shown]
	v_cndmask_b32_e64 v18, v8, v9, s[0:1]
	s_waitcnt vmcnt(6)
	v_pk_fma_f32 v[2:3], v[12:13], v[34:35], v[2:3] op_sel_hi:[0,1,1]
	v_cmp_nlt_f32_e64 s[8:9], s28, v20
	v_cndmask_b32_e64 v20, v8, v13, s[2:3]
	s_waitcnt vmcnt(5)
	v_pk_fma_f32 v[2:3], v[18:19], v[36:37], v[2:3] op_sel_hi:[0,1,1]
	v_ldexp_f32 v26, v30, v52
	v_cmp_ngt_f32_e64 s[10:11], s27, v21
	v_cndmask_b32_e64 v22, v8, v22, s[4:5]
	s_waitcnt vmcnt(4)
	v_pk_fma_f32 v[2:3], v[20:21], v[38:39], v[2:3] op_sel_hi:[0,1,1]
	v_cndmask_b32_e64 v25, 0, v26, s[10:11]
	v_cndmask_b32_e64 v24, v8, v23, s[6:7]
	s_waitcnt vmcnt(3)
	v_pk_fma_f32 v[2:3], v[22:23], v[40:41], v[2:3] op_sel_hi:[0,1,1]
	v_cmp_nlt_f32_e64 s[10:11], s28, v21
	v_cndmask_b32_e64 v26, v8, v19, s[8:9]
	s_waitcnt vmcnt(2)
	v_pk_fma_f32 v[2:3], v[24:25], v[10:11], v[2:3] op_sel_hi:[0,1,1]
	s_add_i32 s29, s29, 8
	s_add_i32 s25, s25, 64
	v_cndmask_b32_e64 v28, v8, v25, s[10:11]
	s_waitcnt vmcnt(1)
	v_pk_fma_f32 v[2:3], v[26:27], v[14:15], v[2:3] op_sel_hi:[0,1,1]
	s_cmp_eq_u32 s24, s29
	v_add_u32_e32 v4, 0x280, v4
	s_waitcnt vmcnt(0)
	v_pk_fma_f32 v[2:3], v[28:29], v[16:17], v[2:3] op_sel_hi:[0,1,1]
	s_cbranch_scc0 .LBB13_24
; %bb.25:
	s_and_b32 s2, s23, 7
	s_cmp_eq_u32 s2, 0
	s_cbranch_scc0 .LBB13_28
	s_branch .LBB13_30
.LBB13_26:
	s_waitcnt lgkmcnt(0)
	v_mov_b32_e32 v1, 0x7fc00000
	s_branch .LBB13_31
.LBB13_27:
	v_mov_b32_e32 v2, 0
	s_mov_b32 s24, 0
	v_mov_b32_e32 v3, v2
	s_and_b32 s2, s23, 7
	s_cmp_eq_u32 s2, 0
	s_cbranch_scc1 .LBB13_30
.LBB13_28:
	s_lshl_b64 s[0:1], s[18:19], 2
	s_mul_i32 s3, s24, 0x50
	s_add_u32 s0, s16, s0
	v_add_u32_e32 v4, s3, v0
	v_mov_b32_e32 v5, 0
	s_addc_u32 s1, s17, s1
	v_lshl_add_u64 v[4:5], v[4:5], 2, s[0:1]
	s_lshl_b32 s0, s24, 3
	s_add_i32 s3, s0, 0
	s_mov_b32 s4, 0x3fb8aa3b
	s_mov_b32 s5, 0xc2ce8ed0
	;; [unrolled: 1-line block ×3, first 2 shown]
	v_mov_b32_e32 v6, 0x7f800000
	s_mov_b64 s[0:1], 0x140
.LBB13_29:                              ; =>This Inner Loop Header: Depth=1
	global_load_dword v9, v[4:5], off
	v_mov_b32_e32 v7, s3
	ds_read_b64 v[10:11], v7
	s_add_i32 s3, s3, 8
	s_add_i32 s2, s2, -1
	v_lshl_add_u64 v[4:5], v[4:5], 0, s[0:1]
	s_cmp_lg_u32 s2, 0
	s_waitcnt lgkmcnt(0)
	v_sub_f32_e32 v7, v10, v1
	v_mul_f32_e32 v8, 0x3fb8aa3b, v7
	v_fma_f32 v10, v7, s4, -v8
	v_rndne_f32_e32 v12, v8
	v_fmac_f32_e32 v10, 0x32a5705f, v7
	v_sub_f32_e32 v8, v8, v12
	v_add_f32_e32 v8, v8, v10
	v_cvt_i32_f32_e32 v12, v12
	v_exp_f32_e32 v10, v8
	v_cmp_ngt_f32_e32 vcc, s5, v7
	v_mov_b32_e32 v8, v11
	v_ldexp_f32 v10, v10, v12
	v_cndmask_b32_e32 v10, 0, v10, vcc
	v_cmp_nlt_f32_e32 vcc, s6, v7
	s_nop 1
	v_cndmask_b32_e32 v10, v6, v10, vcc
	s_waitcnt vmcnt(0)
	v_pk_fma_f32 v[2:3], v[10:11], v[8:9], v[2:3] op_sel_hi:[0,1,1]
	s_cbranch_scc1 .LBB13_29
.LBB13_30:
	s_waitcnt lgkmcnt(0)
	v_div_scale_f32 v1, s[0:1], v2, v2, v3
	v_rcp_f32_e32 v4, v1
	v_div_scale_f32 v5, vcc, v3, v2, v3
	v_fma_f32 v6, -v1, v4, 1.0
	v_fmac_f32_e32 v4, v6, v4
	v_mul_f32_e32 v6, v5, v4
	v_fma_f32 v7, -v1, v6, v5
	v_fmac_f32_e32 v6, v7, v4
	v_fma_f32 v1, -v1, v6, v5
	v_div_fmas_f32 v1, v1, v4, v6
	v_div_fixup_f32 v1, v1, v2, v3
.LBB13_31:
	s_mul_i32 s0, s22, 0x50
	s_ashr_i32 s1, s0, 31
	s_lshl_b64 s[0:1], s[0:1], 2
	s_add_u32 s0, s14, s0
	s_addc_u32 s1, s15, s1
	v_lshlrev_b32_e32 v0, 2, v0
	global_store_dword v0, v1, s[0:1]
	s_endpgm
	.section	.rodata,"a",@progbits
	.p2align	6, 0x0
	.amdhsa_kernel _ZL26flash_attn_combine_resultsILi80EEvPKfPK15HIP_vector_typeIfLj2EEPfi
		.amdhsa_group_segment_fixed_size 0
		.amdhsa_private_segment_fixed_size 0
		.amdhsa_kernarg_size 288
		.amdhsa_user_sgpr_count 2
		.amdhsa_user_sgpr_dispatch_ptr 0
		.amdhsa_user_sgpr_queue_ptr 0
		.amdhsa_user_sgpr_kernarg_segment_ptr 1
		.amdhsa_user_sgpr_dispatch_id 0
		.amdhsa_user_sgpr_kernarg_preload_length 0
		.amdhsa_user_sgpr_kernarg_preload_offset 0
		.amdhsa_user_sgpr_private_segment_size 0
		.amdhsa_uses_dynamic_stack 0
		.amdhsa_enable_private_segment 0
		.amdhsa_system_sgpr_workgroup_id_x 1
		.amdhsa_system_sgpr_workgroup_id_y 1
		.amdhsa_system_sgpr_workgroup_id_z 1
		.amdhsa_system_sgpr_workgroup_info 0
		.amdhsa_system_vgpr_workitem_id 0
		.amdhsa_next_free_vgpr 57
		.amdhsa_next_free_sgpr 30
		.amdhsa_accum_offset 60
		.amdhsa_reserve_vcc 1
		.amdhsa_float_round_mode_32 0
		.amdhsa_float_round_mode_16_64 0
		.amdhsa_float_denorm_mode_32 3
		.amdhsa_float_denorm_mode_16_64 3
		.amdhsa_dx10_clamp 1
		.amdhsa_ieee_mode 1
		.amdhsa_fp16_overflow 0
		.amdhsa_tg_split 0
		.amdhsa_exception_fp_ieee_invalid_op 0
		.amdhsa_exception_fp_denorm_src 0
		.amdhsa_exception_fp_ieee_div_zero 0
		.amdhsa_exception_fp_ieee_overflow 0
		.amdhsa_exception_fp_ieee_underflow 0
		.amdhsa_exception_fp_ieee_inexact 0
		.amdhsa_exception_int_div_zero 0
	.end_amdhsa_kernel
	.section	.text._ZL26flash_attn_combine_resultsILi80EEvPKfPK15HIP_vector_typeIfLj2EEPfi,"axG",@progbits,_ZL26flash_attn_combine_resultsILi80EEvPKfPK15HIP_vector_typeIfLj2EEPfi,comdat
.Lfunc_end13:
	.size	_ZL26flash_attn_combine_resultsILi80EEvPKfPK15HIP_vector_typeIfLj2EEPfi, .Lfunc_end13-_ZL26flash_attn_combine_resultsILi80EEvPKfPK15HIP_vector_typeIfLj2EEPfi
                                        ; -- End function
	.set _ZL26flash_attn_combine_resultsILi80EEvPKfPK15HIP_vector_typeIfLj2EEPfi.num_vgpr, 57
	.set _ZL26flash_attn_combine_resultsILi80EEvPKfPK15HIP_vector_typeIfLj2EEPfi.num_agpr, 0
	.set _ZL26flash_attn_combine_resultsILi80EEvPKfPK15HIP_vector_typeIfLj2EEPfi.numbered_sgpr, 30
	.set _ZL26flash_attn_combine_resultsILi80EEvPKfPK15HIP_vector_typeIfLj2EEPfi.num_named_barrier, 0
	.set _ZL26flash_attn_combine_resultsILi80EEvPKfPK15HIP_vector_typeIfLj2EEPfi.private_seg_size, 0
	.set _ZL26flash_attn_combine_resultsILi80EEvPKfPK15HIP_vector_typeIfLj2EEPfi.uses_vcc, 1
	.set _ZL26flash_attn_combine_resultsILi80EEvPKfPK15HIP_vector_typeIfLj2EEPfi.uses_flat_scratch, 0
	.set _ZL26flash_attn_combine_resultsILi80EEvPKfPK15HIP_vector_typeIfLj2EEPfi.has_dyn_sized_stack, 0
	.set _ZL26flash_attn_combine_resultsILi80EEvPKfPK15HIP_vector_typeIfLj2EEPfi.has_recursion, 0
	.set _ZL26flash_attn_combine_resultsILi80EEvPKfPK15HIP_vector_typeIfLj2EEPfi.has_indirect_call, 0
	.section	.AMDGPU.csdata,"",@progbits
; Kernel info:
; codeLenInByte = 3032
; TotalNumSgprs: 36
; NumVgprs: 57
; NumAgprs: 0
; TotalNumVgprs: 57
; ScratchSize: 0
; MemoryBound: 0
; FloatMode: 240
; IeeeMode: 1
; LDSByteSize: 0 bytes/workgroup (compile time only)
; SGPRBlocks: 4
; VGPRBlocks: 7
; NumSGPRsForWavesPerEU: 36
; NumVGPRsForWavesPerEU: 57
; AccumOffset: 60
; Occupancy: 8
; WaveLimiterHint : 0
; COMPUTE_PGM_RSRC2:SCRATCH_EN: 0
; COMPUTE_PGM_RSRC2:USER_SGPR: 2
; COMPUTE_PGM_RSRC2:TRAP_HANDLER: 0
; COMPUTE_PGM_RSRC2:TGID_X_EN: 1
; COMPUTE_PGM_RSRC2:TGID_Y_EN: 1
; COMPUTE_PGM_RSRC2:TGID_Z_EN: 1
; COMPUTE_PGM_RSRC2:TIDIG_COMP_CNT: 0
; COMPUTE_PGM_RSRC3_GFX90A:ACCUM_OFFSET: 14
; COMPUTE_PGM_RSRC3_GFX90A:TG_SPLIT: 0
	.section	.text._ZL18flash_attn_ext_f16ILi96ELi96ELi16ELi4ELb0ELb0EEvPKcS1_S1_S1_S1_PKiPfP15HIP_vector_typeIfLj2EEffffjfiS5_IjLj3EEiiiiiiiiiiiliiliiiiil,"axG",@progbits,_ZL18flash_attn_ext_f16ILi96ELi96ELi16ELi4ELb0ELb0EEvPKcS1_S1_S1_S1_PKiPfP15HIP_vector_typeIfLj2EEffffjfiS5_IjLj3EEiiiiiiiiiiiliiliiiiil,comdat
	.globl	_ZL18flash_attn_ext_f16ILi96ELi96ELi16ELi4ELb0ELb0EEvPKcS1_S1_S1_S1_PKiPfP15HIP_vector_typeIfLj2EEffffjfiS5_IjLj3EEiiiiiiiiiiiliiliiiiil ; -- Begin function _ZL18flash_attn_ext_f16ILi96ELi96ELi16ELi4ELb0ELb0EEvPKcS1_S1_S1_S1_PKiPfP15HIP_vector_typeIfLj2EEffffjfiS5_IjLj3EEiiiiiiiiiiiliiliiiiil
	.p2align	8
	.type	_ZL18flash_attn_ext_f16ILi96ELi96ELi16ELi4ELb0ELb0EEvPKcS1_S1_S1_S1_PKiPfP15HIP_vector_typeIfLj2EEffffjfiS5_IjLj3EEiiiiiiiiiiiliiliiiiil,@function
_ZL18flash_attn_ext_f16ILi96ELi96ELi16ELi4ELb0ELb0EEvPKcS1_S1_S1_S1_PKiPfP15HIP_vector_typeIfLj2EEffffjfiS5_IjLj3EEiiiiiiiiiiiliiliiiiil: ; @_ZL18flash_attn_ext_f16ILi96ELi96ELi16ELi4ELb0ELb0EEvPKcS1_S1_S1_S1_PKiPfP15HIP_vector_typeIfLj2EEffffjfiS5_IjLj3EEiiiiiiiiiiiliiliiiiil
; %bb.0:
	s_mov_b32 s28, s2
	s_load_dwordx2 s[2:3], s[0:1], 0x80
	s_load_dwordx4 s[8:11], s[0:1], 0x64
                                        ; implicit-def: $vgpr232 : SGPR spill to VGPR lane
	s_load_dword s29, s[0:1], 0xd0
	s_mov_b32 s6, 0
	s_waitcnt lgkmcnt(0)
	s_abs_i32 s4, s3
	v_cvt_f32_u32_e32 v1, s4
	s_sub_i32 s12, 0, s4
	s_abs_i32 s7, s9
	s_xor_b32 s5, s9, s3
	v_rcp_iflag_f32_e32 v1, v1
	s_ashr_i32 s5, s5, 31
	v_mul_f32_e32 v1, 0x4f7ffffe, v1
	v_cvt_u32_f32_e32 v1, v1
	s_nop 0
	v_readfirstlane_b32 s13, v1
	s_mul_i32 s12, s12, s13
	s_mul_hi_u32 s12, s13, s12
	s_add_i32 s13, s13, s12
	s_mul_hi_u32 s12, s7, s13
	s_mul_i32 s13, s12, s4
	s_sub_i32 s7, s7, s13
	s_add_i32 s14, s12, 1
	s_sub_i32 s13, s7, s4
	s_cmp_ge_u32 s7, s4
	s_cselect_b32 s12, s14, s12
	s_cselect_b32 s7, s13, s7
	s_add_i32 s13, s12, 1
	s_cmp_ge_u32 s7, s4
	s_cselect_b32 s4, s13, s12
	s_add_i32 s2, s2, 63
	s_xor_b32 s4, s4, s5
	s_ashr_i32 s7, s2, 31
	s_sub_i32 s33, s4, s5
	s_lshr_b32 s4, s7, 26
	s_add_i32 s2, s2, s4
	s_ashr_i32 s98, s2, 6
	s_add_i32 s2, s8, 15
	s_lshr_b32 s5, s2, 4
	s_add_i32 s2, s33, 3
	s_ashr_i32 s4, s2, 31
	s_lshr_b32 s4, s4, 30
	s_add_i32 s2, s2, s4
	s_ashr_i32 s2, s2, 2
	s_mul_i32 s95, s5, s98
	s_mul_i32 s96, s95, s2
	;; [unrolled: 1-line block ×4, first 2 shown]
	s_ashr_i32 s3, s2, 31
	v_writelane_b32 v232, s5, 0
	s_mul_i32 s4, s3, s28
	s_mul_hi_u32 s5, s2, s28
	s_add_i32 s7, s5, s4
	s_add_u32 s4, s0, 0xd0
	s_addc_u32 s5, s1, 0
	v_writelane_b32 v232, s4, 1
	s_cmp_lg_u64 s[6:7], 0
	s_mul_i32 s6, s2, s28
	v_writelane_b32 v232, s5, 2
	s_cbranch_scc0 .LBB14_5
; %bb.1:
	s_add_u32 s4, s29, 0
	s_addc_u32 s5, 0, 0
	s_xor_b64 s[12:13], s[4:5], 0
	v_cvt_f32_u32_e32 v1, s12
	v_cvt_f32_u32_e32 v2, s13
	s_sub_u32 s10, 0, s12
	s_subb_u32 s16, 0, s13
	v_fmamk_f32 v1, v2, 0x4f800000, v1
	v_rcp_f32_e32 v1, v1
	s_nop 0
	v_mul_f32_e32 v1, 0x5f7ffffc, v1
	v_mul_f32_e32 v2, 0x2f800000, v1
	v_trunc_f32_e32 v2, v2
	v_fmamk_f32 v1, v2, 0xcf800000, v1
	v_cvt_u32_f32_e32 v2, v2
	v_cvt_u32_f32_e32 v1, v1
	v_readfirstlane_b32 s17, v2
	v_readfirstlane_b32 s14, v1
	s_mul_i32 s15, s10, s17
	s_mul_hi_u32 s19, s10, s14
	s_mul_i32 s18, s16, s14
	s_add_i32 s15, s19, s15
	s_add_i32 s15, s15, s18
	s_mul_i32 s20, s10, s14
	s_mul_i32 s19, s14, s15
	s_mul_hi_u32 s21, s14, s20
	s_mul_hi_u32 s18, s14, s15
	s_add_u32 s19, s21, s19
	s_addc_u32 s18, 0, s18
	s_mul_hi_u32 s22, s17, s20
	s_mul_i32 s20, s17, s20
	s_add_u32 s19, s19, s20
	s_mul_hi_u32 s21, s17, s15
	s_addc_u32 s18, s18, s22
	s_addc_u32 s19, s21, 0
	s_mul_i32 s15, s17, s15
	s_add_u32 s15, s18, s15
	s_addc_u32 s18, 0, s19
	s_add_u32 s19, s14, s15
	s_cselect_b64 s[14:15], -1, 0
	s_cmp_lg_u64 s[14:15], 0
	s_addc_u32 s17, s17, s18
	s_mul_i32 s14, s10, s17
	s_mul_hi_u32 s15, s10, s19
	s_add_i32 s14, s15, s14
	s_mul_i32 s16, s16, s19
	s_add_i32 s14, s14, s16
	s_mul_i32 s10, s10, s19
	s_mul_hi_u32 s16, s17, s10
	s_mul_i32 s18, s17, s10
	s_mul_i32 s21, s19, s14
	s_mul_hi_u32 s10, s19, s10
	s_mul_hi_u32 s20, s19, s14
	s_add_u32 s10, s10, s21
	s_addc_u32 s20, 0, s20
	s_add_u32 s10, s10, s18
	s_mul_hi_u32 s15, s17, s14
	s_addc_u32 s10, s20, s16
	s_addc_u32 s15, s15, 0
	s_mul_i32 s14, s17, s14
	s_add_u32 s10, s10, s14
	s_addc_u32 s16, 0, s15
	s_add_u32 s10, s19, s10
	s_cselect_b64 s[14:15], -1, 0
	s_cmp_lg_u64 s[14:15], 0
	s_addc_u32 s18, s17, s16
	s_ashr_i32 s14, s7, 31
	s_add_u32 s16, s6, s14
	s_mov_b32 s15, s14
	s_addc_u32 s17, s7, s14
	s_xor_b64 s[16:17], s[16:17], s[14:15]
	s_mul_i32 s19, s16, s18
	s_mul_hi_u32 s20, s16, s10
	s_mul_hi_u32 s7, s16, s18
	s_add_u32 s19, s20, s19
	s_addc_u32 s7, 0, s7
	s_mul_hi_u32 s21, s17, s10
	s_mul_i32 s10, s17, s10
	s_add_u32 s10, s19, s10
	s_mul_hi_u32 s20, s17, s18
	s_addc_u32 s7, s7, s21
	s_addc_u32 s10, s20, 0
	s_mul_i32 s18, s17, s18
	s_add_u32 s7, s7, s18
	s_addc_u32 s10, 0, s10
	s_mul_i32 s18, s12, s10
	s_mul_hi_u32 s19, s12, s7
	s_add_i32 s18, s19, s18
	s_mul_i32 s19, s13, s7
	s_add_i32 s22, s18, s19
	s_sub_i32 s20, s17, s22
	s_mul_i32 s18, s12, s7
	s_sub_u32 s16, s16, s18
	s_cselect_b64 s[18:19], -1, 0
	s_cmp_lg_u64 s[18:19], 0
	s_subb_u32 s23, s20, s13
	s_sub_u32 s24, s16, s12
	s_cselect_b64 s[20:21], -1, 0
	s_cmp_lg_u64 s[20:21], 0
	s_subb_u32 s20, s23, 0
	s_cmp_ge_u32 s20, s13
	s_cselect_b32 s21, -1, 0
	s_cmp_ge_u32 s24, s12
	s_cselect_b32 s23, -1, 0
	s_cmp_eq_u32 s20, s13
	s_cselect_b32 s20, s23, s21
	s_add_u32 s21, s7, 1
	s_addc_u32 s23, s10, 0
	s_add_u32 s24, s7, 2
	s_addc_u32 s25, s10, 0
	s_cmp_lg_u32 s20, 0
	s_cselect_b32 s20, s24, s21
	s_cselect_b32 s21, s25, s23
	s_cmp_lg_u64 s[18:19], 0
	s_subb_u32 s17, s17, s22
	s_cmp_ge_u32 s17, s13
	s_cselect_b32 s18, -1, 0
	s_cmp_ge_u32 s16, s12
	s_cselect_b32 s12, -1, 0
	s_cmp_eq_u32 s17, s13
	s_cselect_b32 s12, s12, s18
	s_cmp_lg_u32 s12, 0
	s_cselect_b32 s13, s21, s10
	s_cselect_b32 s12, s20, s7
	s_xor_b64 s[14:15], s[14:15], 0
	s_xor_b64 s[12:13], s[12:13], s[14:15]
	s_sub_u32 s26, s12, s14
	s_load_dwordx2 s[24:25], s[0:1], 0x74
	v_cvt_f32_u32_e32 v1, s29
	s_cbranch_execnz .LBB14_3
.LBB14_2:
	v_rcp_iflag_f32_e32 v2, v1
	s_sub_i32 s4, 0, s29
	v_mul_f32_e32 v2, 0x4f7ffffe, v2
	v_cvt_u32_f32_e32 v2, v2
	s_nop 0
	v_readfirstlane_b32 s5, v2
	s_mul_i32 s4, s4, s5
	s_mul_hi_u32 s4, s5, s4
	s_add_i32 s5, s5, s4
	s_mul_hi_u32 s4, s6, s5
	s_mul_i32 s7, s4, s29
	s_sub_i32 s6, s6, s7
	s_add_i32 s5, s4, 1
	s_sub_i32 s7, s6, s29
	s_cmp_ge_u32 s6, s29
	s_cselect_b32 s4, s5, s4
	s_cselect_b32 s6, s7, s6
	s_add_i32 s5, s4, 1
	s_cmp_ge_u32 s6, s29
	s_cselect_b32 s26, s5, s4
.LBB14_3:
	s_add_i32 s4, s28, 1
	s_mul_i32 s3, s3, s4
	s_mul_hi_u32 s5, s2, s4
	s_add_i32 s13, s5, s3
	s_mov_b32 s12, 0
	s_cmp_lg_u64 s[12:13], 0
	s_mul_i32 s2, s2, s4
	s_cbranch_scc0 .LBB14_6
; %bb.4:
	s_add_u32 s4, s29, 0
	s_addc_u32 s5, 0, 0
	s_xor_b64 s[6:7], s[4:5], 0
	v_cvt_f32_u32_e32 v2, s6
	v_cvt_f32_u32_e32 v3, s7
	s_sub_u32 s3, 0, s6
	s_subb_u32 s10, 0, s7
	s_mov_b64 s[4:5], 0
	v_fmamk_f32 v2, v3, 0x4f800000, v2
	v_rcp_f32_e32 v2, v2
	s_nop 0
	v_mul_f32_e32 v2, 0x5f7ffffc, v2
	v_mul_f32_e32 v3, 0x2f800000, v2
	v_trunc_f32_e32 v3, v3
	v_fmamk_f32 v2, v3, 0xcf800000, v2
	v_cvt_u32_f32_e32 v3, v3
	v_cvt_u32_f32_e32 v2, v2
	v_readfirstlane_b32 s12, v3
	v_readfirstlane_b32 s14, v2
	s_mul_i32 s15, s3, s12
	s_mul_hi_u32 s17, s3, s14
	s_mul_i32 s16, s10, s14
	s_add_i32 s15, s17, s15
	s_add_i32 s15, s15, s16
	s_mul_i32 s18, s3, s14
	s_mul_i32 s17, s14, s15
	s_mul_hi_u32 s19, s14, s18
	s_mul_hi_u32 s16, s14, s15
	s_add_u32 s17, s19, s17
	s_addc_u32 s16, 0, s16
	s_mul_hi_u32 s20, s12, s18
	s_mul_i32 s18, s12, s18
	s_add_u32 s17, s17, s18
	s_mul_hi_u32 s19, s12, s15
	s_addc_u32 s16, s16, s20
	s_addc_u32 s17, s19, 0
	s_mul_i32 s15, s12, s15
	s_add_u32 s15, s16, s15
	s_addc_u32 s16, 0, s17
	s_add_u32 s17, s14, s15
	s_cselect_b64 s[14:15], -1, 0
	s_cmp_lg_u64 s[14:15], 0
	s_addc_u32 s12, s12, s16
	s_mul_i32 s14, s3, s12
	s_mul_hi_u32 s15, s3, s17
	s_add_i32 s14, s15, s14
	s_mul_i32 s10, s10, s17
	s_add_i32 s14, s14, s10
	s_mul_i32 s3, s3, s17
	s_mul_hi_u32 s15, s12, s3
	s_mul_i32 s16, s12, s3
	s_mul_i32 s19, s17, s14
	s_mul_hi_u32 s3, s17, s3
	s_mul_hi_u32 s18, s17, s14
	s_add_u32 s3, s3, s19
	s_addc_u32 s18, 0, s18
	s_add_u32 s3, s3, s16
	s_mul_hi_u32 s10, s12, s14
	s_addc_u32 s3, s18, s15
	s_addc_u32 s10, s10, 0
	s_mul_i32 s14, s12, s14
	s_add_u32 s3, s3, s14
	s_addc_u32 s10, 0, s10
	s_add_u32 s3, s17, s3
	s_cselect_b64 s[14:15], -1, 0
	s_cmp_lg_u64 s[14:15], 0
	s_addc_u32 s10, s12, s10
	s_ashr_i32 s14, s13, 31
	s_add_u32 s12, s2, s14
	s_mov_b32 s15, s14
	s_addc_u32 s13, s13, s14
	s_xor_b64 s[12:13], s[12:13], s[14:15]
	s_mul_i32 s17, s12, s10
	s_mul_hi_u32 s18, s12, s3
	s_mul_hi_u32 s16, s12, s10
	s_add_u32 s17, s18, s17
	s_addc_u32 s16, 0, s16
	s_mul_hi_u32 s19, s13, s3
	s_mul_i32 s3, s13, s3
	s_add_u32 s3, s17, s3
	s_mul_hi_u32 s18, s13, s10
	s_addc_u32 s3, s16, s19
	s_addc_u32 s16, s18, 0
	s_mul_i32 s10, s13, s10
	s_add_u32 s3, s3, s10
	s_addc_u32 s10, 0, s16
	s_mul_i32 s16, s6, s10
	s_mul_hi_u32 s17, s6, s3
	s_add_i32 s16, s17, s16
	s_mul_i32 s17, s7, s3
	s_add_i32 s20, s16, s17
	s_sub_i32 s18, s13, s20
	s_mul_i32 s16, s6, s3
	s_sub_u32 s12, s12, s16
	s_cselect_b64 s[16:17], -1, 0
	s_cmp_lg_u64 s[16:17], 0
	s_subb_u32 s21, s18, s7
	s_sub_u32 s22, s12, s6
	s_cselect_b64 s[18:19], -1, 0
	s_cmp_lg_u64 s[18:19], 0
	s_subb_u32 s18, s21, 0
	s_cmp_ge_u32 s18, s7
	s_cselect_b32 s19, -1, 0
	s_cmp_ge_u32 s22, s6
	s_cselect_b32 s21, -1, 0
	s_cmp_eq_u32 s18, s7
	s_cselect_b32 s18, s21, s19
	s_add_u32 s19, s3, 1
	s_addc_u32 s21, s10, 0
	s_add_u32 s22, s3, 2
	s_addc_u32 s23, s10, 0
	s_cmp_lg_u32 s18, 0
	s_cselect_b32 s18, s22, s19
	s_cselect_b32 s19, s23, s21
	s_cmp_lg_u64 s[16:17], 0
	s_subb_u32 s13, s13, s20
	s_cmp_ge_u32 s13, s7
	s_cselect_b32 s16, -1, 0
	s_cmp_ge_u32 s12, s6
	s_cselect_b32 s6, -1, 0
	s_cmp_eq_u32 s13, s7
	s_cselect_b32 s6, s6, s16
	s_cmp_lg_u32 s6, 0
	s_cselect_b32 s7, s19, s10
	s_cselect_b32 s6, s18, s3
	s_xor_b64 s[12:13], s[14:15], 0
	s_xor_b64 s[6:7], s[6:7], s[12:13]
	s_sub_u32 s30, s6, s12
	s_branch .LBB14_7
.LBB14_5:
                                        ; implicit-def: $sgpr26_sgpr27
	s_load_dwordx2 s[24:25], s[0:1], 0x74
	v_cvt_f32_u32_e32 v1, s29
	s_branch .LBB14_2
.LBB14_6:
	s_mov_b64 s[4:5], -1
                                        ; implicit-def: $sgpr30_sgpr31
.LBB14_7:
	s_load_dwordx2 s[16:17], s[0:1], 0x5c
	s_andn2_b64 vcc, exec, s[4:5]
	v_writelane_b32 v232, s28, 3
	s_cbranch_vccnz .LBB14_9
; %bb.8:
	v_rcp_iflag_f32_e32 v1, v1
	s_sub_i32 s3, 0, s29
	v_mul_f32_e32 v1, 0x4f7ffffe, v1
	v_cvt_u32_f32_e32 v1, v1
	s_nop 0
	v_readfirstlane_b32 s4, v1
	s_mul_i32 s3, s3, s4
	s_mul_hi_u32 s3, s4, s3
	s_add_i32 s4, s4, s3
	s_mul_hi_u32 s3, s2, s4
	s_mul_i32 s5, s3, s29
	s_sub_i32 s2, s2, s5
	s_add_i32 s4, s3, 1
	s_sub_i32 s5, s2, s29
	s_cmp_ge_u32 s2, s29
	s_cselect_b32 s3, s4, s3
	s_cselect_b32 s2, s5, s2
	s_add_i32 s4, s3, 1
	s_cmp_ge_u32 s2, s29
	s_cselect_b32 s30, s4, s3
.LBB14_9:
	s_abs_i32 s99, s98
	v_cvt_f32_u32_e32 v1, s99
	s_load_dwordx16 s[36:51], s[0:1], 0x0
	s_load_dword s6, s[0:1], 0x40
	s_load_dwordx2 s[22:23], s[0:1], 0x8c
	s_load_dwordx4 s[12:15], s[0:1], 0x98
	s_load_dwordx2 s[18:19], s[0:1], 0xa8
	s_load_dwordx2 s[34:35], s[0:1], 0xb8
	;; [unrolled: 1-line block ×3, first 2 shown]
	s_waitcnt lgkmcnt(0)
	s_ashr_i32 s54, s22, 2
	s_sub_i32 s2, 0, s99
	v_rcp_iflag_f32_e32 v1, v1
	s_abs_i32 s1, s26
	s_ashr_i32 s27, s11, 3
	s_ashr_i32 s60, s24, 3
	v_mul_f32_e32 v1, 0x4f7ffffe, v1
	v_cvt_u32_f32_e32 v1, v1
	s_ashr_i32 s10, s35, 1
	s_ashr_i32 s56, s14, 2
	;; [unrolled: 1-line block ×3, first 2 shown]
	v_readfirstlane_b32 s22, v1
	s_mul_i32 s2, s2, s22
	s_mul_hi_u32 s2, s22, s2
	s_add_i32 s22, s22, s2
	s_mul_hi_u32 s2, s1, s22
	s_mul_i32 s2, s2, s99
	s_sub_i32 s1, s1, s2
	s_ashr_i32 s14, s98, 31
	s_sub_i32 s2, s1, s99
	s_cmp_ge_u32 s1, s99
	s_cselect_b32 s1, s2, s1
	s_sub_i32 s2, s1, s99
	s_cmp_ge_u32 s1, s99
	s_cselect_b32 s1, s2, s1
	s_xor_b32 s1, s1, s0
	s_sub_i32 s70, s1, s0
	s_sub_i32 s0, s30, s26
	s_add_i32 s2, s0, s70
	s_min_i32 s35, s98, s2
	s_cmp_gt_i32 s30, s26
	s_cselect_b64 s[4:5], -1, 0
	s_cmp_le_i32 s30, s26
	s_cselect_b64 s[0:1], -1, 0
	s_cmp_gt_i32 s98, s2
	v_cvt_f16_f32_e32 v1, s6
	v_writelane_b32 v232, s29, 4
	s_cselect_b64 s[2:3], -1, 0
	s_or_b64 s[0:1], s[2:3], s[0:1]
	v_bfe_u32 v2, v0, 5, 5
	v_bfe_u32 v39, v0, 10, 10
	v_writelane_b32 v232, s60, 5
	s_mov_b32 s29, 0
	s_and_b64 vcc, exec, s[0:1]
	v_lshl_add_u32 v41, v39, 1, v2
	v_and_b32_e32 v40, 31, v0
	v_writelane_b32 v232, s34, 6
	s_nop 1
	v_writelane_b32 v232, s35, 7
	s_cbranch_vccnz .LBB14_252
; %bb.10:
	s_cmp_eq_u64 s[44:45], 0
	s_cselect_b64 s[58:59], -1, 0
	s_cmp_lg_u64 s[46:47], 0
	s_cselect_b64 s[0:1], -1, 0
	v_writelane_b32 v232, s0, 8
	s_mov_b32 s3, s29
	v_bfe_u32 v5, v0, 3, 7
	v_writelane_b32 v232, s1, 9
	s_ashr_i32 s11, s10, 31
	v_readlane_b32 s2, v232, 3
	s_lshl_b32 s28, s2, 6
	s_ashr_i32 s55, s54, 31
	v_writelane_b32 v232, s2, 10
	s_ashr_i32 s57, s56, 31
	v_and_b32_e32 v38, 15, v0
	v_writelane_b32 v232, s3, 11
	s_lshl_b64 s[2:3], s[28:29], 3
	v_lshlrev_b32_e32 v6, 2, v5
	v_lshl_add_u32 v10, v39, 3, v5
	v_lshlrev_b32_e32 v5, 1, v5
	s_add_u32 s4, s50, s2
	s_movk_i32 s6, 0xd0
	v_mul_u32_u24_e32 v11, 0xd0, v10
	v_mul_lo_u32 v48, s54, v10
	v_mul_lo_u32 v54, s56, v10
	v_and_b32_e32 v10, 60, v5
	v_lshl_add_u32 v121, v38, 1, 0
	s_addc_u32 s5, s51, s3
	s_abs_i32 s29, s97
	v_mad_u32_u24 v122, v10, s6, v121
	v_cvt_f32_u32_e32 v10, s29
	s_movk_i32 s0, 0xd00
	v_mad_u32_u24 v3, v39, s0, 0
	v_mul_u32_u24_e32 v4, 0xd0, v38
	v_and_b32_e32 v7, 0x78, v6
	v_add3_u32 v45, v3, v4, v7
	v_and_b32_e32 v4, 0x3ff, v0
	v_lshlrev_b32_e32 v3, 4, v39
	v_lshlrev_b32_e32 v9, 2, v4
	v_rcp_iflag_f32_e32 v10, v10
	v_and_b32_e32 v44, 12, v9
	v_and_b32_e32 v46, 28, v9
	v_and_or_b32 v9, v0, 12, v3
	s_movk_i32 s0, 0x90
	v_lshrrev_b32_e32 v9, 2, v9
	v_lshrrev_b32_e32 v12, 1, v0
	v_bfe_u32 v8, v0, 2, 8
	v_and_b32_e32 v12, 0x78, v12
	v_add_u32_e32 v77, 0, v7
	v_mad_u32_u24 v7, v9, s0, 0
	s_abs_i32 s28, s96
	v_add_u32_e32 v8, v3, v8
	v_add_u32_e32 v79, v7, v12
	v_cvt_f32_u32_e32 v12, s28
	v_mul_f32_e32 v10, 0x4f7ffffe, v10
	v_mul_lo_u32 v42, s54, v8
	v_mul_lo_u32 v52, s56, v8
	v_mad_u32_u24 v8, v8, s6, 0
	v_lshlrev_b32_e32 v14, 2, v44
	s_movk_i32 s1, 0x80
	v_or_b32_e32 v6, 4, v6
	v_cvt_u32_f32_e32 v10, v10
	v_or_b32_e32 v13, 2, v5
	v_or_b32_e32 v5, 3, v5
	v_add3_u32 v73, v8, v14, s1
	v_lshlrev_b32_e32 v8, 2, v46
	v_add_u32_e32 v120, v7, v6
	v_add_u32_e32 v6, 24, v41
	;; [unrolled: 1-line block ×3, first 2 shown]
	s_abs_i32 s52, s95
	v_mul_u32_u24_e32 v47, 0xd0, v13
	v_mul_u32_u24_e32 v63, 0xd0, v5
	v_add3_u32 v75, 0, v11, v8
	v_mad_u32_u24 v123, v13, s6, v121
	v_mad_u32_u24 v124, v5, s6, v121
	v_add_u32_e32 v5, 16, v41
	v_lshrrev_b32_e32 v126, 2, v6
	v_add_u32_e32 v6, 32, v41
	v_lshrrev_b32_e32 v128, 2, v7
	v_add_u32_e32 v7, 48, v41
	v_and_b32_e32 v11, 15, v41
	s_movk_i32 s2, 0x7f0
	v_cvt_f32_u32_e32 v13, s52
	v_lshrrev_b32_e32 v125, 2, v5
	v_lshrrev_b32_e32 v127, 2, v6
	;; [unrolled: 1-line block ×3, first 2 shown]
	v_and_or_b32 v5, v5, s2, v11
	v_and_or_b32 v6, v6, s2, v11
	;; [unrolled: 1-line block ×3, first 2 shown]
	v_rcp_iflag_f32_e32 v11, v12
	s_sub_i32 s2, 0, s29
	v_mul_lo_u32 v12, s2, v10
	v_mul_hi_u32 v12, v10, v12
	s_abs_i32 s53, s34
	v_add_u32_e32 v136, v10, v12
	v_rcp_iflag_f32_e32 v12, v13
	v_cvt_f32_u32_e32 v13, s53
	v_mul_f32_e32 v11, 0x4f7ffffe, v11
	v_cvt_u32_f32_e32 v11, v11
	s_sub_i32 s2, 0, s28
	v_rcp_iflag_f32_e32 v13, v13
	v_mul_f32_e32 v12, 0x4f7ffffe, v12
	v_mul_lo_u32 v10, s2, v11
	v_mul_hi_u32 v10, v11, v10
	v_cvt_u32_f32_e32 v12, v12
	v_add_u32_e32 v137, v11, v10
	v_mul_f32_e32 v11, 0x4f7ffffe, v13
	v_cvt_u32_f32_e32 v11, v11
	s_sub_i32 s2, 0, s52
	v_mul_lo_u32 v10, s2, v12
	v_mul_hi_u32 v10, v12, v10
	s_sub_i32 s2, 0, s53
	v_bfe_u32 v2, v0, 4, 6
	v_add_u32_e32 v138, v12, v10
	v_mul_lo_u32 v10, s2, v11
	v_lshl_add_u32 v2, v39, 2, v2
	v_add_u32_e32 v8, 56, v41
	v_mul_hi_u32 v10, v11, v10
	v_lshrrev_b32_e32 v130, 2, v8
	v_lshrrev_b32_e32 v131, 2, v2
	v_mul_u32_u24_e32 v132, 0xd0, v2
	v_mad_u32_u24 v133, v2, s6, 0
	v_add_u32_e32 v8, 16, v2
	v_add_u32_e32 v9, 32, v2
	;; [unrolled: 1-line block ×4, first 2 shown]
	v_and_b32_e32 v2, 15, v2
	s_movk_i32 s2, 0xff0
	v_lshrrev_b32_e32 v134, 2, v8
	v_lshrrev_b32_e32 v135, 2, v9
	v_and_or_b32 v8, v8, s2, v2
	v_and_or_b32 v9, v9, s2, v2
	;; [unrolled: 1-line block ×3, first 2 shown]
	v_lshrrev_b32_e32 v140, 2, v10
	v_or_b32_e32 v10, v3, v4
	v_mov_b32_e32 v59, 0
	v_lshlrev_b32_e32 v58, 3, v10
	v_and_b32_e32 v62, 3, v0
	v_ashrrev_i32_e32 v53, 31, v52
	v_or_b32_e32 v3, v3, v38
	v_mul_u32_u24_e32 v11, 0xd0, v5
	v_mad_u32_u24 v142, v5, s6, 0
	v_mul_u32_u24_e32 v5, 0xd0, v6
	v_mad_u32_u24 v143, v6, s6, 0
	v_mul_u32_u24_e32 v6, 0xd0, v7
	v_mad_u32_u24 v144, v7, s6, 0
	v_mul_u32_u24_e32 v7, 0xd0, v8
	v_mad_u32_u24 v145, v8, s6, 0
	v_mul_u32_u24_e32 v8, 0xd0, v9
	v_mad_u32_u24 v146, v9, s6, 0
	v_mul_u32_u24_e32 v9, 0xd0, v2
	v_mad_u32_u24 v147, v2, s6, 0
	v_lshlrev_b32_e32 v2, 2, v38
	v_lshl_add_u64 v[64:65], s[4:5], 0, v[58:59]
	v_lshlrev_b32_e32 v58, 4, v62
	v_mul_u32_u24_e32 v141, 0xd0, v3
	v_add_u32_e32 v148, 0, v2
	v_add_u32_e32 v149, v133, v2
	;; [unrolled: 1-line block ×5, first 2 shown]
	v_lshl_add_u64 v[2:3], v[52:53], 2, v[58:59]
	v_lshl_add_u64 v[2:3], s[40:41], 0, v[2:3]
	s_mov_b64 s[64:65], 0x80
	v_ashrrev_i32_e32 v43, 31, v42
	v_lshl_add_u64 v[66:67], v[2:3], 0, s[64:65]
	v_and_b32_e32 v2, 7, v0
	v_lshlrev_b32_e32 v68, 4, v2
	v_lshl_add_u64 v[2:3], v[42:43], 2, v[58:59]
	v_lshl_add_u64 v[2:3], s[38:39], 0, v[2:3]
	v_lshl_add_u32 v50, s54, 5, v48
	v_lshl_add_u32 v56, s56, 5, v54
	v_lshlrev_b32_e32 v60, 2, v40
	s_lshl_b64 s[62:63], s[10:11], 1
	v_lshl_add_u64 v[70:71], v[2:3], 0, s[64:65]
	v_lshlrev_b32_e32 v2, 1, v4
	v_bfe_u32 v74, v4, 4, 2
	v_mad_u32_u24 v176, v41, s6, 0
	s_mov_b32 s7, 0x10001
	v_ashrrev_i32_e32 v49, 31, v48
	v_ashrrev_i32_e32 v51, 31, v50
	;; [unrolled: 1-line block ×4, first 2 shown]
	v_mul_u32_u24_e32 v10, 0xd0, v10
	v_writelane_b32 v232, s62, 12
	v_add_u32_e32 v153, 0, v60
	v_and_b32_e32 v72, 62, v2
	v_add_u32_e32 v163, 8, v41
	v_mul_lo_u32 v2, v74, s60
	v_add_u32_e32 v178, 0x680, v176
	v_add_u32_e32 v181, 0x1380, v176
	;; [unrolled: 1-line block ×4, first 2 shown]
	v_mbcnt_lo_u32_b32 v189, -1, 0
	v_and_b32_e32 v78, 3, v41
	v_cmp_gt_u32_e64 s[0:1], 16, v4
	s_ashr_i32 s31, s97, 31
	s_ashr_i32 s3, s96, 31
	s_ashr_i32 s2, s95, 31
	v_mov_b32_e32 v61, v59
	v_writelane_b32 v232, s63, 13
	s_lshl_b64 s[66:67], s[56:57], 8
	v_mov_b32_e32 v69, v59
	s_lshl_b64 s[68:69], s[54:55], 8
	s_mov_b32 s11, 0x3fb8aa3b
	s_mov_b32 s63, 0xc2ce8ed0
	;; [unrolled: 1-line block ×5, first 2 shown]
	v_add_u32_e32 v154, v153, v11
	v_add_u32_e32 v155, v153, v5
	;; [unrolled: 1-line block ×7, first 2 shown]
	v_mul_lo_u32 v161, v1, s7
	v_mul_u32_u24_e32 v162, 0x90, v41
	v_lshl_add_u32 v164, v72, 1, 0
	v_add_u32_e32 v165, 0x1a00, v75
	v_mad_u32_u24 v166, v38, s6, v77
	v_add_u32_e32 v167, 32, v79
	v_add_u32_e32 v168, 64, v79
	v_add_u32_e32 v169, 0x60, v79
	v_lshrrev_b32_e32 v170, 2, v41
	v_mul_u32_u24_e32 v171, 0xd0, v41
	v_lshrrev_b32_e32 v172, 2, v163
	v_add3_u32 v76, v2, v38, 32
	v_add_u32_e32 v173, 0xd00, v149
	v_add_u32_e32 v174, 0x1a00, v149
	;; [unrolled: 1-line block ×11, first 2 shown]
	v_mbcnt_hi_u32_b32 v190, -1, v189
	v_mov_b32_e32 v191, 0x7f800000
	v_mad_u64_u32 v[80:81], s[4:5], v78, s60, v[40:41]
	v_lshl_add_u64 v[82:83], v[54:55], 2, s[40:41]
	v_lshl_add_u64 v[84:85], v[56:57], 2, s[40:41]
	;; [unrolled: 1-line block ×4, first 2 shown]
	s_branch .LBB14_12
.LBB14_11:                              ;   in Loop: Header=BB14_12 Depth=1
	s_or_b64 exec, exec, s[4:5]
	s_add_i32 s4, s26, s98
	s_abs_i32 s6, s4
	s_mul_hi_u32 s7, s6, s22
	s_mul_i32 s7, s7, s99
	s_sub_i32 s6, s6, s7
	s_ashr_i32 s5, s4, 31
	s_sub_i32 s7, s6, s99
	s_cmp_ge_u32 s6, s99
	s_cselect_b32 s6, s7, s6
	s_sub_i32 s7, s6, s99
	s_cmp_ge_u32 s6, s99
	s_cselect_b32 s6, s7, s6
	s_xor_b32 s6, s6, s5
	s_sub_i32 s5, s5, s6
	s_add_i32 s26, s4, s5
	s_sub_i32 s6, s30, s26
	s_min_i32 s35, s98, s6
	s_cmp_gt_i32 s30, s26
	s_cselect_b64 s[4:5], -1, 0
	s_cmp_le_i32 s98, s6
	s_cselect_b64 s[6:7], -1, 0
	s_and_b64 s[6:7], s[6:7], s[4:5]
	s_mov_b32 s70, 0
	s_and_b64 vcc, exec, s[6:7]
	s_cbranch_vccz .LBB14_252
.LBB14_12:                              ; =>This Loop Header: Depth=1
                                        ;     Child Loop BB14_67 Depth 2
                                        ;     Child Loop BB14_185 Depth 2
	s_abs_i32 s5, s26
	v_mul_hi_u32 v2, s5, v136
	v_mul_lo_u32 v3, v2, s29
	v_sub_u32_e32 v3, s5, v3
	v_add_u32_e32 v4, 1, v2
	v_subrev_u32_e32 v5, s29, v3
	v_cmp_le_u32_e32 vcc, s29, v3
	s_ashr_i32 s4, s26, 31
	s_xor_b32 s4, s4, s31
	v_cndmask_b32_e32 v2, v2, v4, vcc
	v_cndmask_b32_e32 v3, v3, v5, vcc
	v_add_u32_e32 v4, 1, v2
	v_cmp_le_u32_e32 vcc, s29, v3
	s_nop 1
	v_cndmask_b32_e32 v2, v2, v4, vcc
	v_xor_b32_e32 v2, s4, v2
	v_subrev_u32_e32 v2, s4, v2
	v_mul_lo_u32 v3, v2, s97
	v_sub_u32_e32 v4, s26, v3
	v_sub_u32_e32 v5, 0, v4
	v_max_i32_e32 v5, v4, v5
	v_mul_hi_u32 v6, v5, v137
	v_mul_lo_u32 v7, v6, s28
	v_sub_u32_e32 v5, v5, v7
	v_add_u32_e32 v7, 1, v6
	v_subrev_u32_e32 v8, s28, v5
	v_cmp_le_u32_e32 vcc, s28, v5
	v_ashrrev_i32_e32 v3, 31, v4
	v_xor_b32_e32 v3, s3, v3
	v_cndmask_b32_e32 v6, v6, v7, vcc
	v_cndmask_b32_e32 v5, v5, v8, vcc
	v_add_u32_e32 v7, 1, v6
	v_cmp_le_u32_e32 vcc, s28, v5
	v_readlane_b32 s4, v232, 8
	v_readlane_b32 s5, v232, 9
	v_cndmask_b32_e32 v5, v6, v7, vcc
	v_xor_b32_e32 v5, v5, v3
	v_sub_u32_e32 v3, v5, v3
	v_mul_lo_u32 v5, v3, s96
	v_sub_u32_e32 v4, v4, v5
	v_sub_u32_e32 v6, 0, v4
	v_max_i32_e32 v6, v4, v6
	v_mul_hi_u32 v7, v6, v138
	v_mul_lo_u32 v8, v7, s52
	v_sub_u32_e32 v6, v6, v8
	v_add_u32_e32 v8, 1, v7
	v_subrev_u32_e32 v9, s52, v6
	v_cmp_le_u32_e32 vcc, s52, v6
	v_ashrrev_i32_e32 v5, 31, v4
	v_xor_b32_e32 v5, s2, v5
	v_cndmask_b32_e32 v7, v7, v8, vcc
	v_cndmask_b32_e32 v6, v6, v9, vcc
	v_add_u32_e32 v8, 1, v7
	v_cmp_le_u32_e32 vcc, s52, v6
	s_nop 1
	v_cndmask_b32_e32 v6, v7, v8, vcc
	v_xor_b32_e32 v6, v6, v5
	v_sub_u32_e32 v5, v6, v5
	v_mul_lo_u32 v6, v5, s95
	v_sub_u32_e32 v4, v4, v6
	v_sub_u32_e32 v7, 0, v4
	v_ashrrev_i32_e32 v6, 31, v4
	v_max_i32_e32 v4, v4, v7
	v_mul_hi_u32 v7, v4, s22
	v_mul_lo_u32 v8, v7, s99
	v_sub_u32_e32 v4, v4, v8
	v_add_u32_e32 v8, 1, v7
	v_subrev_u32_e32 v9, s99, v4
	v_cmp_le_u32_e32 vcc, s99, v4
	v_xor_b32_e32 v6, s14, v6
	s_nop 0
	v_cndmask_b32_e32 v7, v7, v8, vcc
	v_cndmask_b32_e32 v4, v4, v9, vcc
	v_add_u32_e32 v8, 1, v7
	v_cmp_le_u32_e32 vcc, s99, v4
	s_nop 1
	v_cndmask_b32_e32 v4, v7, v8, vcc
	v_xor_b32_e32 v4, v4, v6
	s_andn2_b64 vcc, exec, s[4:5]
	v_sub_u32_e32 v4, v4, v6
	s_cbranch_vccnz .LBB14_14
; %bb.13:                               ;   in Loop: Header=BB14_12 Depth=1
	v_readlane_b32 s4, v232, 0
	s_nop 1
	v_mul_lo_u32 v6, v2, s4
	v_add_u32_e32 v6, v4, v6
	v_ashrrev_i32_e32 v7, 31, v6
	v_lshlrev_b64 v[6:7], 2, v[6:7]
	v_lshl_add_u64 v[6:7], s[46:47], 0, v[6:7]
	global_load_dword v6, v[6:7], off
	s_waitcnt vmcnt(0)
	v_readfirstlane_b32 s4, v6
	s_ashr_i32 s5, s4, 31
	s_lshr_b32 s5, s5, 26
	s_add_i32 s4, s4, s5
	s_ashr_i32 s4, s4, 6
	s_min_i32 s35, s35, s4
.LBB14_14:                              ;   in Loop: Header=BB14_12 Depth=1
	v_mul_lo_u32 v6, v3, s33
	v_lshlrev_b32_e32 v194, 2, v5
	v_add_u32_e32 v6, v194, v6
	v_mul_lo_u32 v8, v2, s25
	v_ashrrev_i32_e32 v9, 31, v8
	v_mul_lo_u32 v10, v6, s24
	v_lshl_add_u64 v[8:9], s[36:37], 0, v[8:9]
	v_ashrrev_i32_e32 v11, 31, v10
	v_ashrrev_i32_e32 v5, 31, v2
	v_lshl_add_u64 v[108:109], v[8:9], 0, v[10:11]
	v_mul_hi_u32 v7, s12, v2
	v_mul_lo_u32 v8, s12, v5
	v_add_u32_e32 v7, v7, v8
	v_mul_lo_u32 v8, s13, v2
	v_add_u32_e32 v101, v7, v8
	v_mul_lo_u32 v100, s12, v2
	v_mul_lo_u32 v102, v3, s23
	v_sub_u32_e32 v7, 0, v2
	v_lshl_add_u64 v[8:9], s[38:39], 0, v[100:101]
	v_ashrrev_i32_e32 v103, 31, v102
	v_max_i32_e32 v7, v2, v7
	v_lshl_add_u64 v[96:97], v[8:9], 0, v[102:103]
	v_mul_hi_u32 v8, v7, v139
	v_mul_lo_u32 v8, v8, s53
	v_sub_u32_e32 v7, v7, v8
	v_subrev_u32_e32 v8, s53, v7
	v_cmp_le_u32_e32 vcc, s53, v7
	s_mul_i32 s4, s8, s9
	v_mul_lo_u32 v104, s18, v2
	v_cndmask_b32_e32 v7, v7, v8, vcc
	v_subrev_u32_e32 v8, s53, v7
	v_cmp_le_u32_e32 vcc, s53, v7
	v_mul_lo_u32 v106, v3, s15
	v_ashrrev_i32_e32 v107, 31, v106
	v_cndmask_b32_e32 v7, v7, v8, vcc
	v_xor_b32_e32 v7, v7, v5
	v_sub_u32_e32 v7, v7, v5
	v_ashrrev_i32_e32 v8, 31, v7
	v_mul_lo_u32 v8, s20, v8
	v_mul_hi_u32 v9, s20, v7
	v_add_u32_e32 v8, v9, v8
	v_mul_lo_u32 v9, s21, v7
	v_add_u32_e32 v9, v8, v9
	v_mul_lo_u32 v8, s20, v7
	v_mul_lo_u32 v7, s4, v2
	v_add_u32_e32 v7, v6, v7
	v_mul_lo_u32 v58, v7, 48
	v_mul_hi_u32 v7, s18, v2
	v_mul_lo_u32 v5, s18, v5
	v_add_u32_e32 v5, v7, v5
	v_mul_lo_u32 v7, s19, v2
	v_add_u32_e32 v105, v5, v7
	v_ashrrev_i32_e32 v7, 31, v6
	v_lshl_add_u64 v[98:99], s[42:43], 0, v[8:9]
	v_lshlrev_b64 v[8:9], 3, v[58:59]
	v_lshlrev_b64 v[2:3], 2, v[6:7]
	v_lshl_add_u64 v[90:91], s[48:49], 0, v[8:9]
	v_lshl_add_u64 v[8:9], s[40:41], 0, v[104:105]
	;; [unrolled: 1-line block ×3, first 2 shown]
	v_lshlrev_b32_e32 v193, 4, v4
	v_lshl_add_u64 v[94:95], v[8:9], 0, v[106:107]
	v_cndmask_b32_e64 v93, v3, 0, s[58:59]
	v_cndmask_b32_e64 v92, v2, 0, s[58:59]
	s_cmp_lg_u32 s70, 0
	v_add_u32_e32 v192, v170, v193
	v_or_b32_e32 v195, v78, v194
	s_cbranch_scc0 .LBB14_68
; %bb.15:                               ;   in Loop: Header=BB14_12 Depth=1
	v_cmp_le_i32_e64 s[4:5], s8, v192
	v_cmp_le_i32_e64 s[6:7], s33, v195
	v_cmp_gt_i32_e32 vcc, s33, v195
	s_or_b64 s[4:5], s[4:5], s[6:7]
	s_and_saveexec_b64 s[6:7], s[4:5]
	s_xor_b64 s[4:5], exec, s[6:7]
; %bb.16:                               ;   in Loop: Header=BB14_12 Depth=1
	v_add_u32_e32 v2, v153, v171
	ds_write_b32 v2, v59
; %bb.17:                               ;   in Loop: Header=BB14_12 Depth=1
	s_andn2_saveexec_b64 s[4:5], s[4:5]
	s_cbranch_execz .LBB14_19
; %bb.18:                               ;   in Loop: Header=BB14_12 Depth=1
	v_mad_u64_u32 v[2:3], s[6:7], v192, s27, v[80:81]
	v_ashrrev_i32_e32 v3, 31, v2
	v_lshl_add_u64 v[2:3], v[2:3], 3, v[108:109]
	global_load_dwordx2 v[2:3], v[2:3], off
	s_waitcnt vmcnt(0)
	v_cvt_pk_f16_f32 v2, v2, v3
	v_pk_mul_f16 v2, v2, v161
	v_add_u32_e32 v3, v153, v171
	ds_write_b32 v3, v2
.LBB14_19:                              ;   in Loop: Header=BB14_12 Depth=1
	s_or_b64 exec, exec, s[4:5]
	v_add_u32_e32 v206, v172, v193
	v_cmp_le_i32_e64 s[4:5], s8, v206
	s_xor_b64 s[6:7], vcc, -1
	s_or_b64 s[4:5], s[4:5], s[6:7]
	s_and_saveexec_b64 s[60:61], s[4:5]
	s_xor_b64 s[4:5], exec, s[60:61]
; %bb.20:                               ;   in Loop: Header=BB14_12 Depth=1
	v_add_u32_e32 v2, v153, v171
	ds_write_b32 v2, v59 offset:1664
; %bb.21:                               ;   in Loop: Header=BB14_12 Depth=1
	s_andn2_saveexec_b64 s[4:5], s[4:5]
	s_cbranch_execz .LBB14_23
; %bb.22:                               ;   in Loop: Header=BB14_12 Depth=1
	v_mad_u64_u32 v[2:3], s[60:61], v206, s27, v[80:81]
	v_ashrrev_i32_e32 v3, 31, v2
	v_lshl_add_u64 v[2:3], v[2:3], 3, v[108:109]
	global_load_dwordx2 v[2:3], v[2:3], off
	s_waitcnt vmcnt(0)
	v_cvt_pk_f16_f32 v2, v2, v3
	v_pk_mul_f16 v2, v2, v161
	v_add_u32_e32 v3, v153, v171
	ds_write_b32 v3, v2 offset:1664
.LBB14_23:                              ;   in Loop: Header=BB14_12 Depth=1
	s_or_b64 exec, exec, s[4:5]
	v_add_u32_e32 v205, v125, v193
	v_cmp_le_i32_e32 vcc, s8, v205
	s_or_b64 s[4:5], vcc, s[6:7]
	s_and_saveexec_b64 s[60:61], s[4:5]
	s_xor_b64 s[4:5], exec, s[60:61]
; %bb.24:                               ;   in Loop: Header=BB14_12 Depth=1
	v_add_u32_e32 v2, v153, v171
	ds_write_b32 v2, v59 offset:3328
; %bb.25:                               ;   in Loop: Header=BB14_12 Depth=1
	s_andn2_saveexec_b64 s[4:5], s[4:5]
	s_cbranch_execz .LBB14_27
; %bb.26:                               ;   in Loop: Header=BB14_12 Depth=1
	v_mad_u64_u32 v[2:3], s[60:61], v205, s27, v[80:81]
	v_ashrrev_i32_e32 v3, 31, v2
	v_lshl_add_u64 v[2:3], v[2:3], 3, v[108:109]
	global_load_dwordx2 v[2:3], v[2:3], off
	s_waitcnt vmcnt(0)
	v_cvt_pk_f16_f32 v2, v2, v3
	v_pk_mul_f16 v2, v2, v161
	v_add_u32_e32 v3, v153, v171
	ds_write_b32 v3, v2 offset:3328
.LBB14_27:                              ;   in Loop: Header=BB14_12 Depth=1
	s_or_b64 exec, exec, s[4:5]
	v_add_u32_e32 v204, v126, v193
	v_cmp_le_i32_e32 vcc, s8, v204
	s_or_b64 s[4:5], vcc, s[6:7]
	s_and_saveexec_b64 s[60:61], s[4:5]
	s_xor_b64 s[4:5], exec, s[60:61]
; %bb.28:                               ;   in Loop: Header=BB14_12 Depth=1
	v_add_u32_e32 v2, v153, v171
	ds_write_b32 v2, v59 offset:4992
; %bb.29:                               ;   in Loop: Header=BB14_12 Depth=1
	s_andn2_saveexec_b64 s[4:5], s[4:5]
	s_cbranch_execz .LBB14_31
; %bb.30:                               ;   in Loop: Header=BB14_12 Depth=1
	v_mad_u64_u32 v[2:3], s[60:61], v204, s27, v[80:81]
	v_ashrrev_i32_e32 v3, 31, v2
	v_lshl_add_u64 v[2:3], v[2:3], 3, v[108:109]
	global_load_dwordx2 v[2:3], v[2:3], off
	s_waitcnt vmcnt(0)
	v_cvt_pk_f16_f32 v2, v2, v3
	v_pk_mul_f16 v2, v2, v161
	v_add_u32_e32 v3, v153, v171
	ds_write_b32 v3, v2 offset:4992
.LBB14_31:                              ;   in Loop: Header=BB14_12 Depth=1
	s_or_b64 exec, exec, s[4:5]
	v_add_u32_e32 v203, v127, v193
	v_cmp_le_i32_e32 vcc, s8, v203
	s_or_b64 s[4:5], vcc, s[6:7]
	s_and_saveexec_b64 s[60:61], s[4:5]
	s_xor_b64 s[4:5], exec, s[60:61]
; %bb.32:                               ;   in Loop: Header=BB14_12 Depth=1
	v_add_u32_e32 v2, v153, v171
	ds_write_b32 v2, v59 offset:6656
; %bb.33:                               ;   in Loop: Header=BB14_12 Depth=1
	s_andn2_saveexec_b64 s[4:5], s[4:5]
	s_cbranch_execz .LBB14_35
; %bb.34:                               ;   in Loop: Header=BB14_12 Depth=1
	v_mad_u64_u32 v[2:3], s[60:61], v203, s27, v[80:81]
	v_ashrrev_i32_e32 v3, 31, v2
	v_lshl_add_u64 v[2:3], v[2:3], 3, v[108:109]
	global_load_dwordx2 v[2:3], v[2:3], off
	s_waitcnt vmcnt(0)
	v_cvt_pk_f16_f32 v2, v2, v3
	v_pk_mul_f16 v2, v2, v161
	v_add_u32_e32 v3, v153, v171
	ds_write_b32 v3, v2 offset:6656
.LBB14_35:                              ;   in Loop: Header=BB14_12 Depth=1
	s_or_b64 exec, exec, s[4:5]
	v_add_u32_e32 v202, v128, v193
	v_cmp_le_i32_e32 vcc, s8, v202
	s_or_b64 s[4:5], vcc, s[6:7]
	s_and_saveexec_b64 s[60:61], s[4:5]
	s_xor_b64 s[4:5], exec, s[60:61]
; %bb.36:                               ;   in Loop: Header=BB14_12 Depth=1
	v_add_u32_e32 v2, v153, v171
	ds_write_b32 v2, v59 offset:8320
; %bb.37:                               ;   in Loop: Header=BB14_12 Depth=1
	s_andn2_saveexec_b64 s[4:5], s[4:5]
	s_cbranch_execz .LBB14_39
; %bb.38:                               ;   in Loop: Header=BB14_12 Depth=1
	v_mad_u64_u32 v[2:3], s[60:61], v202, s27, v[80:81]
	v_ashrrev_i32_e32 v3, 31, v2
	v_lshl_add_u64 v[2:3], v[2:3], 3, v[108:109]
	global_load_dwordx2 v[2:3], v[2:3], off
	s_waitcnt vmcnt(0)
	v_cvt_pk_f16_f32 v2, v2, v3
	v_pk_mul_f16 v2, v2, v161
	v_add_u32_e32 v3, v153, v171
	ds_write_b32 v3, v2 offset:8320
.LBB14_39:                              ;   in Loop: Header=BB14_12 Depth=1
	s_or_b64 exec, exec, s[4:5]
	v_add_u32_e32 v201, v129, v193
	v_cmp_le_i32_e32 vcc, s8, v201
	s_or_b64 s[4:5], vcc, s[6:7]
	s_and_saveexec_b64 s[60:61], s[4:5]
	s_xor_b64 s[4:5], exec, s[60:61]
; %bb.40:                               ;   in Loop: Header=BB14_12 Depth=1
	v_add_u32_e32 v2, v153, v171
	ds_write_b32 v2, v59 offset:9984
; %bb.41:                               ;   in Loop: Header=BB14_12 Depth=1
	s_andn2_saveexec_b64 s[4:5], s[4:5]
	s_cbranch_execz .LBB14_43
; %bb.42:                               ;   in Loop: Header=BB14_12 Depth=1
	v_mad_u64_u32 v[2:3], s[60:61], v201, s27, v[80:81]
	v_ashrrev_i32_e32 v3, 31, v2
	v_lshl_add_u64 v[2:3], v[2:3], 3, v[108:109]
	global_load_dwordx2 v[2:3], v[2:3], off
	s_waitcnt vmcnt(0)
	v_cvt_pk_f16_f32 v2, v2, v3
	v_pk_mul_f16 v2, v2, v161
	v_add_u32_e32 v3, v153, v171
	ds_write_b32 v3, v2 offset:9984
.LBB14_43:                              ;   in Loop: Header=BB14_12 Depth=1
	s_or_b64 exec, exec, s[4:5]
	v_add_u32_e32 v199, v130, v193
	v_cmp_le_i32_e32 vcc, s8, v199
	s_or_b64 s[4:5], vcc, s[6:7]
	s_and_saveexec_b64 s[6:7], s[4:5]
	s_xor_b64 s[4:5], exec, s[6:7]
; %bb.44:                               ;   in Loop: Header=BB14_12 Depth=1
	v_add_u32_e32 v2, v153, v171
	ds_write_b32 v2, v59 offset:11648
; %bb.45:                               ;   in Loop: Header=BB14_12 Depth=1
	s_andn2_saveexec_b64 s[4:5], s[4:5]
	s_cbranch_execz .LBB14_47
; %bb.46:                               ;   in Loop: Header=BB14_12 Depth=1
	v_mad_u64_u32 v[2:3], s[6:7], v199, s27, v[80:81]
	v_ashrrev_i32_e32 v3, 31, v2
	v_lshl_add_u64 v[2:3], v[2:3], 3, v[108:109]
	global_load_dwordx2 v[2:3], v[2:3], off
	s_waitcnt vmcnt(0)
	v_cvt_pk_f16_f32 v2, v2, v3
	v_pk_mul_f16 v2, v2, v161
	v_add_u32_e32 v3, v153, v171
	ds_write_b32 v3, v2 offset:11648
.LBB14_47:                              ;   in Loop: Header=BB14_12 Depth=1
	s_or_b64 exec, exec, s[4:5]
	v_add_u32_e32 v198, v131, v193
	v_or_b32_e32 v200, v74, v194
	v_cmp_le_i32_e64 s[4:5], s8, v198
	v_cmp_le_i32_e64 s[6:7], s33, v200
	v_cmp_gt_i32_e32 vcc, s33, v200
	s_or_b64 s[4:5], s[4:5], s[6:7]
	s_and_saveexec_b64 s[6:7], s[4:5]
	s_xor_b64 s[4:5], exec, s[6:7]
; %bb.48:                               ;   in Loop: Header=BB14_12 Depth=1
	ds_write_b32 v149, v59 offset:128
; %bb.49:                               ;   in Loop: Header=BB14_12 Depth=1
	s_andn2_saveexec_b64 s[4:5], s[4:5]
	s_cbranch_execz .LBB14_51
; %bb.50:                               ;   in Loop: Header=BB14_12 Depth=1
	v_mad_u64_u32 v[2:3], s[6:7], v198, s27, v[76:77]
	v_ashrrev_i32_e32 v3, 31, v2
	v_lshl_add_u64 v[2:3], v[2:3], 3, v[108:109]
	global_load_dwordx2 v[2:3], v[2:3], off
	s_waitcnt vmcnt(0)
	v_cvt_pk_f16_f32 v2, v2, v3
	v_pk_mul_f16 v2, v2, v161
	v_add_u32_e32 v3, v148, v132
	ds_write_b32 v3, v2 offset:128
.LBB14_51:                              ;   in Loop: Header=BB14_12 Depth=1
	s_or_b64 exec, exec, s[4:5]
	v_add_u32_e32 v197, v134, v193
	v_cmp_le_i32_e64 s[4:5], s8, v197
	s_xor_b64 s[6:7], vcc, -1
	s_or_b64 s[4:5], s[4:5], s[6:7]
	s_and_saveexec_b64 s[60:61], s[4:5]
	s_xor_b64 s[4:5], exec, s[60:61]
; %bb.52:                               ;   in Loop: Header=BB14_12 Depth=1
	ds_write_b32 v173, v59 offset:128
; %bb.53:                               ;   in Loop: Header=BB14_12 Depth=1
	s_andn2_saveexec_b64 s[4:5], s[4:5]
	s_cbranch_execz .LBB14_55
; %bb.54:                               ;   in Loop: Header=BB14_12 Depth=1
	v_mad_u64_u32 v[2:3], s[60:61], v197, s27, v[76:77]
	v_ashrrev_i32_e32 v3, 31, v2
	v_lshl_add_u64 v[2:3], v[2:3], 3, v[108:109]
	global_load_dwordx2 v[2:3], v[2:3], off
	s_waitcnt vmcnt(0)
	v_cvt_pk_f16_f32 v2, v2, v3
	v_pk_mul_f16 v2, v2, v161
	v_add_u32_e32 v3, v148, v132
	ds_write_b32 v3, v2 offset:3456
.LBB14_55:                              ;   in Loop: Header=BB14_12 Depth=1
	s_or_b64 exec, exec, s[4:5]
	v_add_u32_e32 v196, v135, v193
	v_cmp_le_i32_e32 vcc, s8, v196
	s_or_b64 s[4:5], vcc, s[6:7]
	s_and_saveexec_b64 s[60:61], s[4:5]
	s_xor_b64 s[4:5], exec, s[60:61]
; %bb.56:                               ;   in Loop: Header=BB14_12 Depth=1
	ds_write_b32 v174, v59 offset:128
; %bb.57:                               ;   in Loop: Header=BB14_12 Depth=1
	s_andn2_saveexec_b64 s[4:5], s[4:5]
	s_cbranch_execz .LBB14_59
; %bb.58:                               ;   in Loop: Header=BB14_12 Depth=1
	v_mad_u64_u32 v[2:3], s[60:61], v196, s27, v[76:77]
	v_ashrrev_i32_e32 v3, 31, v2
	v_lshl_add_u64 v[2:3], v[2:3], 3, v[108:109]
	global_load_dwordx2 v[2:3], v[2:3], off
	s_waitcnt vmcnt(0)
	v_cvt_pk_f16_f32 v2, v2, v3
	v_pk_mul_f16 v2, v2, v161
	v_add_u32_e32 v3, v148, v132
	ds_write_b32 v3, v2 offset:6784
.LBB14_59:                              ;   in Loop: Header=BB14_12 Depth=1
	s_or_b64 exec, exec, s[4:5]
	v_add_u32_e32 v81, v140, v193
	v_cmp_le_i32_e32 vcc, s8, v81
	s_or_b64 s[4:5], vcc, s[6:7]
	s_and_saveexec_b64 s[6:7], s[4:5]
	s_xor_b64 s[4:5], exec, s[6:7]
; %bb.60:                               ;   in Loop: Header=BB14_12 Depth=1
	ds_write_b32 v175, v59 offset:128
; %bb.61:                               ;   in Loop: Header=BB14_12 Depth=1
	s_andn2_saveexec_b64 s[4:5], s[4:5]
	s_cbranch_execz .LBB14_63
; %bb.62:                               ;   in Loop: Header=BB14_12 Depth=1
	v_mad_u64_u32 v[2:3], s[6:7], v81, s27, v[76:77]
	v_ashrrev_i32_e32 v3, 31, v2
	v_lshl_add_u64 v[2:3], v[2:3], 3, v[108:109]
	global_load_dwordx2 v[2:3], v[2:3], off
	s_waitcnt vmcnt(0)
	v_cvt_pk_f16_f32 v2, v2, v3
	v_pk_mul_f16 v2, v2, v161
	v_add_u32_e32 v3, v148, v132
	ds_write_b32 v3, v2 offset:10112
.LBB14_63:                              ;   in Loop: Header=BB14_12 Depth=1
	s_or_b64 exec, exec, s[4:5]
	s_waitcnt lgkmcnt(0)
	s_barrier
	ds_read2_b64 v[10:13], v45 offset1:4
	ds_read2_b64 v[6:9], v45 offset0:8 offset1:12
	ds_read2_b64 v[2:5], v45 offset0:16 offset1:20
	s_add_i32 s6, s35, -1
	v_add_u32_e32 v16, v193, v41
	v_add_u32_e32 v14, v193, v163
	s_mov_b64 s[4:5], -1
	s_cmp_lt_i32 s70, s6
	v_mul_hi_u32 v17, s16, v16
	v_mul_hi_u32 v15, s16, v14
	s_waitcnt lgkmcnt(0)
	s_barrier
                                        ; implicit-def: $vgpr110_vgpr111
                                        ; implicit-def: $vgpr112_vgpr113
                                        ; implicit-def: $vgpr208
                                        ; implicit-def: $vgpr209
                                        ; implicit-def: $vgpr210
	s_cbranch_scc1 .LBB14_65
; %bb.64:                               ;   in Loop: Header=BB14_12 Depth=1
	v_add_u32_e32 v18, v16, v17
	v_lshrrev_b32_e32 v18, s17, v18
	v_mul_lo_u32 v18, v18, s8
	v_sub_u32_e32 v18, v16, v18
	v_mad_i64_i32 v[110:111], s[4:5], v18, s10, 0
	v_add_u32_e32 v18, v14, v15
	v_lshrrev_b32_e32 v18, s17, v18
	v_mul_lo_u32 v18, v18, s8
	v_sub_u32_e32 v18, v14, v18
	v_mad_i64_i32 v[112:113], s[4:5], v18, s10, 0
	v_and_b32_e32 v18, 64, v190
	v_add_u32_e32 v208, 64, v18
	v_xor_b32_e32 v209, 32, v190
	v_xor_b32_e32 v210, 16, v190
	s_mov_b64 s[4:5], 0
.LBB14_65:                              ;   in Loop: Header=BB14_12 Depth=1
	s_andn2_b64 vcc, exec, s[4:5]
	s_cbranch_vccnz .LBB14_69
; %bb.66:                               ;   in Loop: Header=BB14_12 Depth=1
	v_add_u32_e32 v15, v14, v15
	v_lshrrev_b32_e32 v15, s17, v15
	v_mul_lo_u32 v15, v15, s8
	v_sub_u32_e32 v14, v14, v15
	v_mbcnt_hi_u32_b32 v212, -1, v189
	v_add_u32_e32 v17, v16, v17
	v_mad_i64_i32 v[112:113], s[4:5], v14, s10, 0
	v_and_b32_e32 v14, 64, v212
	v_lshrrev_b32_e32 v17, s17, v17
	v_add_u32_e32 v208, 64, v14
	v_xor_b32_e32 v209, 32, v212
	v_mul_lo_u32 v17, v17, s8
	v_cmp_lt_i32_e32 vcc, v209, v208
	v_xor_b32_e32 v210, 16, v212
	v_sub_u32_e32 v16, v16, v17
	v_cndmask_b32_e32 v14, v212, v209, vcc
	v_cmp_lt_i32_e32 vcc, v210, v208
	v_lshlrev_b32_e32 v58, 1, v72
	v_mad_i64_i32 v[110:111], s[4:5], v16, s10, 0
	v_lshlrev_b32_e32 v213, 2, v14
	v_cndmask_b32_e32 v14, v212, v210, vcc
	v_lshl_add_u64 v[114:115], v[98:99], 0, v[58:59]
	v_lshlrev_b32_e32 v214, 2, v14
	s_lshl_b32 s4, s70, 6
	v_mov_b32_e32 v118, 0
	v_mov_b32_e32 v211, 0xfeffffff
	;; [unrolled: 1-line block ×14, first 2 shown]
.LBB14_67:                              ;   Parent Loop BB14_12 Depth=1
                                        ; =>  This Inner Loop Header: Depth=2
	s_ashr_i32 s5, s4, 31
	v_lshl_add_u64 v[14:15], s[4:5], 1, v[114:115]
	v_lshl_add_u64 v[16:17], v[110:111], 1, v[14:15]
	v_lshl_add_u64 v[14:15], v[112:113], 1, v[14:15]
	global_load_dword v16, v[16:17], off
	s_mul_hi_i32 s61, s4, s54
	global_load_dword v14, v[14:15], off
	s_mul_i32 s60, s4, s54
	v_add_u32_e32 v17, v164, v162
	s_lshl_b64 s[60:61], s[60:61], 2
	v_lshlrev_b32_e32 v58, 2, v44
	v_lshlrev_b32_e32 v26, 2, v46
	v_mov_b32_e32 v27, v59
	v_add_u32_e32 v34, 0x800, v166
	v_mov_b32_e32 v30, v207
	v_add_u32_e32 v207, 0x1800, v166
	v_mov_b32_e32 v31, v211
	s_add_i32 s70, s70, 1
	s_waitcnt vmcnt(1)
	ds_write_b32 v17, v16 offset:13312
	s_waitcnt vmcnt(0)
	ds_write_b32 v17, v14 offset:14464
	v_lshl_add_u64 v[14:15], v[96:97], 0, s[60:61]
	v_lshl_add_u64 v[16:17], v[42:43], 2, v[14:15]
	;; [unrolled: 1-line block ×6, first 2 shown]
	global_load_dwordx4 v[14:17], v[16:17], off offset:128
	v_lshl_add_u64 v[18:19], v[18:19], 0, v[26:27]
	s_mul_hi_i32 s61, s4, s56
	s_mul_i32 s60, s4, s56
	s_lshl_b64 s[60:61], s[60:61], 2
	s_add_i32 s4, s4, 64
	s_cmp_lt_i32 s70, s6
	s_waitcnt vmcnt(0)
	ds_write_b128 v73, v[14:17]
	global_load_dwordx4 v[14:17], v[18:19], off
	s_waitcnt vmcnt(0)
	ds_write_b128 v75, v[14:17]
	global_load_dwordx4 v[14:17], v[20:21], off
	s_waitcnt vmcnt(0)
	ds_write_b128 v165, v[14:17]
	s_waitcnt lgkmcnt(0)
	s_barrier
	ds_read2_b64 v[14:17], v166 offset1:4
	s_waitcnt lgkmcnt(0)
	v_mfma_f32_16x16x16_f16 v[18:21], v[14:15], v[10:11], 0
	v_mfma_f32_16x16x16_f16 v[14:17], v[16:17], v[12:13], v[18:21]
	s_nop 6
	ds_read2_b64 v[18:21], v166 offset0:8 offset1:12
	s_waitcnt lgkmcnt(0)
	v_mfma_f32_16x16x16_f16 v[14:17], v[18:19], v[6:7], v[14:17]
	v_mfma_f32_16x16x16_f16 v[14:17], v[20:21], v[8:9], v[14:17]
	ds_read2_b64 v[18:21], v166 offset0:16 offset1:20
	s_waitcnt lgkmcnt(0)
	v_mfma_f32_16x16x16_f16 v[14:17], v[18:19], v[2:3], v[14:17]
	v_mfma_f32_16x16x16_f16 v[14:17], v[20:21], v[4:5], v[14:17]
	;; [unrolled: 4-line block ×3, first 2 shown]
	s_nop 6
	ds_read2_b64 v[22:25], v34 offset0:168 offset1:172
	s_waitcnt lgkmcnt(0)
	v_mfma_f32_16x16x16_f16 v[18:21], v[22:23], v[6:7], v[18:21]
	v_mfma_f32_16x16x16_f16 v[18:21], v[24:25], v[8:9], v[18:21]
	ds_read2_b64 v[22:25], v34 offset0:176 offset1:180
	s_waitcnt lgkmcnt(0)
	v_mfma_f32_16x16x16_f16 v[18:21], v[22:23], v[2:3], v[18:21]
	v_mfma_f32_16x16x16_f16 v[18:21], v[24:25], v[4:5], v[18:21]
	ds_read2_b64 v[22:25], v207 offset0:64 offset1:68
	s_waitcnt lgkmcnt(0)
	v_mfma_f32_16x16x16_f16 v[34:37], v[22:23], v[10:11], 0
	v_mfma_f32_16x16x16_f16 v[22:25], v[24:25], v[12:13], v[34:37]
	s_nop 6
	ds_read2_b64 v[34:37], v207 offset0:72 offset1:76
	s_waitcnt lgkmcnt(0)
	v_mfma_f32_16x16x16_f16 v[22:25], v[34:35], v[6:7], v[22:25]
	v_mfma_f32_16x16x16_f16 v[22:25], v[36:37], v[8:9], v[22:25]
	ds_read2_b64 v[34:37], v207 offset0:80 offset1:84
	v_add_u32_e32 v207, 0x2000, v166
	s_waitcnt lgkmcnt(0)
	v_mfma_f32_16x16x16_f16 v[22:25], v[34:35], v[2:3], v[22:25]
	v_mfma_f32_16x16x16_f16 v[22:25], v[36:37], v[4:5], v[22:25]
	ds_read2_b64 v[34:37], v207 offset0:224 offset1:228
	s_waitcnt lgkmcnt(0)
	v_mfma_f32_16x16x16_f16 v[220:223], v[34:35], v[10:11], 0
	v_mfma_f32_16x16x16_f16 v[34:37], v[36:37], v[12:13], v[220:223]
	s_nop 6
	ds_read2_b64 v[220:223], v207 offset0:232 offset1:236
	s_waitcnt lgkmcnt(0)
	v_mfma_f32_16x16x16_f16 v[34:37], v[220:221], v[6:7], v[34:37]
	v_mfma_f32_16x16x16_f16 v[34:37], v[222:223], v[8:9], v[34:37]
	ds_read2_b64 v[220:223], v207 offset0:240 offset1:244
	s_waitcnt lgkmcnt(0)
	s_barrier
	ds_read_b32 v207, v79 offset:13312
	v_mfma_f32_16x16x16_f16 v[34:37], v[220:221], v[2:3], v[34:37]
	s_waitcnt lgkmcnt(0)
	v_cvt_f32_f16_e32 v211, v207
	v_cvt_f32_f16_sdwa v207, v207 dst_sel:DWORD dst_unused:UNUSED_PAD src0_sel:WORD_1
	v_add_f32_e32 v219, v14, v211
	ds_read_b32 v14, v120 offset:13312
	v_add_f32_e32 v207, v15, v207
	v_mfma_f32_16x16x16_f16 v[34:37], v[222:223], v[4:5], v[34:37]
	s_waitcnt lgkmcnt(0)
	v_cvt_f32_f16_e32 v15, v14
	v_cvt_f32_f16_sdwa v14, v14 dst_sel:DWORD dst_unused:UNUSED_PAD src0_sel:WORD_1
	v_add_f32_e32 v16, v16, v15
	v_add_f32_e32 v17, v17, v14
	v_add_u32_e32 v14, 0x3400, v167
	ds_read2_b32 v[14:15], v14 offset1:1
	s_waitcnt lgkmcnt(0)
	v_cvt_f32_f16_e32 v211, v14
	v_cvt_f32_f16_sdwa v14, v14 dst_sel:DWORD dst_unused:UNUSED_PAD src0_sel:WORD_1
	v_add_f32_e32 v220, v18, v211
	v_add_f32_e32 v19, v19, v14
	v_cvt_f32_f16_e32 v14, v15
	v_cvt_f32_f16_sdwa v15, v15 dst_sel:DWORD dst_unused:UNUSED_PAD src0_sel:WORD_1
	v_add_f32_e32 v20, v20, v14
	v_add_u32_e32 v14, 0x3400, v168
	v_add_f32_e32 v21, v21, v15
	ds_read2_b32 v[14:15], v14 offset1:1
	s_waitcnt lgkmcnt(0)
	v_cvt_f32_f16_e32 v18, v14
	v_cvt_f32_f16_sdwa v14, v14 dst_sel:DWORD dst_unused:UNUSED_PAD src0_sel:WORD_1
	v_add_f32_e32 v221, v22, v18
	v_add_f32_e32 v23, v23, v14
	v_cvt_f32_f16_e32 v14, v15
	v_cvt_f32_f16_sdwa v15, v15 dst_sel:DWORD dst_unused:UNUSED_PAD src0_sel:WORD_1
	v_add_f32_e32 v24, v24, v14
	v_add_u32_e32 v14, 0x3400, v169
	v_add_f32_e32 v25, v25, v15
	ds_read2_b32 v[14:15], v14 offset1:1
	s_waitcnt lgkmcnt(0)
	v_cvt_f32_f16_e32 v18, v14
	v_cvt_f32_f16_sdwa v14, v14 dst_sel:DWORD dst_unused:UNUSED_PAD src0_sel:WORD_1
	v_add_f32_e32 v34, v34, v18
	v_add_f32_e32 v35, v35, v14
	v_cvt_f32_f16_e32 v14, v15
	v_cvt_f32_f16_sdwa v15, v15 dst_sel:DWORD dst_unused:UNUSED_PAD src0_sel:WORD_1
	v_add_f32_e32 v18, 0x40051340, v17
	v_add_f32_e32 v36, v36, v14
	;; [unrolled: 1-line block ×5, first 2 shown]
	v_max3_f32 v14, v31, v14, v15
	v_add_f32_e32 v15, 0x40051340, v16
	v_max3_f32 v14, v14, v15, v18
	v_add_f32_e32 v15, 0x40051340, v220
	v_add_f32_e32 v18, 0x40051340, v19
	v_max3_f32 v14, v14, v15, v18
	v_add_f32_e32 v15, 0x40051340, v20
	;; [unrolled: 3-line block ×6, first 2 shown]
	v_add_f32_e32 v18, 0x40051340, v37
	v_max3_f32 v14, v14, v15, v18
	ds_bpermute_b32 v15, v213, v14
	s_waitcnt lgkmcnt(0)
	v_max_f32_e32 v15, v15, v15
	v_max_f32_e32 v14, v14, v15
	ds_bpermute_b32 v15, v214, v14
	s_waitcnt lgkmcnt(0)
	v_max_f32_e32 v15, v15, v15
	v_max_f32_e32 v211, v14, v15
	v_sub_f32_e32 v14, v219, v211
	v_mul_f32_e32 v15, 0x3fb8aa3b, v14
	v_fma_f32 v18, v14, s11, -v15
	v_rndne_f32_e32 v22, v15
	v_fmac_f32_e32 v18, 0x32a5705f, v14
	v_sub_f32_e32 v15, v15, v22
	v_add_f32_e32 v15, v15, v18
	v_exp_f32_e32 v15, v15
	v_cvt_i32_f32_e32 v18, v22
	v_cmp_ngt_f32_e32 vcc, s63, v14
	v_sub_f32_e32 v16, v16, v211
	v_sub_f32_e32 v17, v17, v211
	v_ldexp_f32 v15, v15, v18
	v_cndmask_b32_e32 v15, 0, v15, vcc
	v_cmp_nlt_f32_e32 vcc, s62, v14
	v_sub_f32_e32 v19, v19, v211
	v_sub_f32_e32 v20, v20, v211
	v_cndmask_b32_e32 v14, v191, v15, vcc
	v_sub_f32_e32 v15, v207, v211
	v_mul_f32_e32 v18, 0x3fb8aa3b, v15
	v_fma_f32 v22, v15, s11, -v18
	v_rndne_f32_e32 v207, v18
	v_fmac_f32_e32 v22, 0x32a5705f, v15
	v_sub_f32_e32 v18, v18, v207
	v_add_f32_e32 v18, v18, v22
	v_exp_f32_e32 v18, v18
	v_cvt_i32_f32_e32 v22, v207
	v_cmp_ngt_f32_e32 vcc, s63, v15
	v_sub_f32_e32 v21, v21, v211
	v_sub_f32_e32 v23, v23, v211
	v_ldexp_f32 v18, v18, v22
	v_mul_f32_e32 v22, 0x3fb8aa3b, v16
	v_fma_f32 v207, v16, s11, -v22
	v_rndne_f32_e32 v219, v22
	v_fmac_f32_e32 v207, 0x32a5705f, v16
	v_sub_f32_e32 v22, v22, v219
	v_add_f32_e32 v22, v22, v207
	v_exp_f32_e32 v22, v22
	v_cvt_i32_f32_e32 v207, v219
	v_cndmask_b32_e32 v18, 0, v18, vcc
	v_cmp_nlt_f32_e32 vcc, s62, v15
	v_sub_f32_e32 v24, v24, v211
	v_ldexp_f32 v22, v22, v207
	v_cndmask_b32_e32 v15, v191, v18, vcc
	v_cmp_ngt_f32_e32 vcc, s63, v16
	v_add_f32_e32 v18, v14, v15
	v_sub_f32_e32 v25, v25, v211
	v_cndmask_b32_e32 v22, 0, v22, vcc
	v_cmp_nlt_f32_e32 vcc, s62, v16
	v_sub_f32_e32 v35, v35, v211
	v_sub_f32_e32 v31, v31, v211
	v_cndmask_b32_e32 v16, v191, v22, vcc
	v_add_f32_e32 v22, v16, v18
	v_mul_f32_e32 v18, 0x3fb8aa3b, v17
	v_fma_f32 v207, v17, s11, -v18
	v_rndne_f32_e32 v219, v18
	v_fmac_f32_e32 v207, 0x32a5705f, v17
	v_sub_f32_e32 v18, v18, v219
	v_add_f32_e32 v18, v18, v207
	v_exp_f32_e32 v18, v18
	v_cvt_i32_f32_e32 v207, v219
	v_cmp_ngt_f32_e32 vcc, s63, v17
	v_ldexp_f32 v18, v18, v207
	s_nop 0
	v_cndmask_b32_e32 v18, 0, v18, vcc
	v_cmp_nlt_f32_e32 vcc, s62, v17
	v_sub_f32_e32 v17, v220, v211
	v_mul_f32_e32 v207, 0x3fb8aa3b, v17
	v_fma_f32 v219, v17, s11, -v207
	v_rndne_f32_e32 v220, v207
	v_fmac_f32_e32 v219, 0x32a5705f, v17
	v_sub_f32_e32 v207, v207, v220
	v_add_f32_e32 v207, v207, v219
	v_exp_f32_e32 v207, v207
	v_cvt_i32_f32_e32 v219, v220
	v_cndmask_b32_e32 v18, v191, v18, vcc
	v_cmp_ngt_f32_e32 vcc, s63, v17
	v_add_f32_e32 v22, v18, v22
	v_ldexp_f32 v207, v207, v219
	v_cndmask_b32_e32 v207, 0, v207, vcc
	v_cmp_nlt_f32_e32 vcc, s62, v17
	s_nop 1
	v_cndmask_b32_e32 v17, v191, v207, vcc
	v_mul_f32_e32 v207, 0x3fb8aa3b, v19
	v_fma_f32 v219, v19, s11, -v207
	v_rndne_f32_e32 v220, v207
	v_fmac_f32_e32 v219, 0x32a5705f, v19
	v_sub_f32_e32 v207, v207, v220
	v_add_f32_e32 v207, v207, v219
	v_exp_f32_e32 v207, v207
	v_cvt_i32_f32_e32 v219, v220
	v_cmp_ngt_f32_e32 vcc, s63, v19
	v_add_f32_e32 v22, v17, v22
	v_ldexp_f32 v207, v207, v219
	v_cndmask_b32_e32 v207, 0, v207, vcc
	v_cmp_nlt_f32_e32 vcc, s62, v19
	s_nop 1
	v_cndmask_b32_e32 v19, v191, v207, vcc
	v_mul_f32_e32 v207, 0x3fb8aa3b, v20
	v_fma_f32 v219, v20, s11, -v207
	v_rndne_f32_e32 v220, v207
	v_fmac_f32_e32 v219, 0x32a5705f, v20
	v_sub_f32_e32 v207, v207, v220
	v_add_f32_e32 v207, v207, v219
	v_exp_f32_e32 v207, v207
	v_cvt_i32_f32_e32 v219, v220
	v_cmp_ngt_f32_e32 vcc, s63, v20
	v_add_f32_e32 v22, v19, v22
	v_ldexp_f32 v207, v207, v219
	v_cndmask_b32_e32 v207, 0, v207, vcc
	v_cmp_nlt_f32_e32 vcc, s62, v20
	s_nop 1
	v_cndmask_b32_e32 v20, v191, v207, vcc
	v_add_f32_e32 v207, v20, v22
	v_mul_f32_e32 v22, 0x3fb8aa3b, v21
	v_fma_f32 v219, v21, s11, -v22
	v_rndne_f32_e32 v220, v22
	v_fmac_f32_e32 v219, 0x32a5705f, v21
	v_sub_f32_e32 v22, v22, v220
	v_add_f32_e32 v22, v22, v219
	v_exp_f32_e32 v22, v22
	v_cvt_i32_f32_e32 v219, v220
	v_cmp_ngt_f32_e32 vcc, s63, v21
	v_ldexp_f32 v22, v22, v219
	s_nop 0
	v_cndmask_b32_e32 v22, 0, v22, vcc
	v_cmp_nlt_f32_e32 vcc, s62, v21
	v_sub_f32_e32 v21, v221, v211
	v_mul_f32_e32 v219, 0x3fb8aa3b, v21
	v_fma_f32 v220, v21, s11, -v219
	v_rndne_f32_e32 v221, v219
	v_fmac_f32_e32 v220, 0x32a5705f, v21
	v_sub_f32_e32 v219, v219, v221
	v_add_f32_e32 v219, v219, v220
	v_exp_f32_e32 v219, v219
	v_cvt_i32_f32_e32 v220, v221
	v_cndmask_b32_e32 v22, v191, v22, vcc
	v_cmp_ngt_f32_e32 vcc, s63, v21
	v_add_f32_e32 v207, v22, v207
	v_ldexp_f32 v219, v219, v220
	v_cndmask_b32_e32 v219, 0, v219, vcc
	v_cmp_nlt_f32_e32 vcc, s62, v21
	s_nop 1
	v_cndmask_b32_e32 v21, v191, v219, vcc
	v_mul_f32_e32 v219, 0x3fb8aa3b, v23
	v_fma_f32 v220, v23, s11, -v219
	v_rndne_f32_e32 v221, v219
	v_fmac_f32_e32 v220, 0x32a5705f, v23
	v_sub_f32_e32 v219, v219, v221
	v_add_f32_e32 v219, v219, v220
	v_exp_f32_e32 v219, v219
	v_cvt_i32_f32_e32 v220, v221
	v_cmp_ngt_f32_e32 vcc, s63, v23
	v_add_f32_e32 v207, v21, v207
	v_ldexp_f32 v219, v219, v220
	v_cndmask_b32_e32 v219, 0, v219, vcc
	v_cmp_nlt_f32_e32 vcc, s62, v23
	s_nop 1
	v_cndmask_b32_e32 v23, v191, v219, vcc
	v_mul_f32_e32 v219, 0x3fb8aa3b, v24
	v_fma_f32 v220, v24, s11, -v219
	v_rndne_f32_e32 v221, v219
	v_fmac_f32_e32 v220, 0x32a5705f, v24
	v_sub_f32_e32 v219, v219, v221
	v_add_f32_e32 v219, v219, v220
	v_exp_f32_e32 v219, v219
	v_cvt_i32_f32_e32 v220, v221
	;; [unrolled: 15-line block ×3, first 2 shown]
	v_cmp_ngt_f32_e32 vcc, s63, v25
	v_add_f32_e32 v207, v24, v207
	v_ldexp_f32 v219, v219, v220
	v_cndmask_b32_e32 v219, 0, v219, vcc
	v_cmp_nlt_f32_e32 vcc, s62, v25
	v_sub_f32_e32 v25, v34, v211
	v_mul_f32_e32 v34, 0x3fb8aa3b, v25
	v_fma_f32 v220, v25, s11, -v34
	v_rndne_f32_e32 v221, v34
	v_fmac_f32_e32 v220, 0x32a5705f, v25
	v_sub_f32_e32 v34, v34, v221
	v_add_f32_e32 v34, v34, v220
	v_exp_f32_e32 v34, v34
	v_cvt_i32_f32_e32 v220, v221
	v_cndmask_b32_e32 v219, v191, v219, vcc
	v_cmp_ngt_f32_e32 vcc, s63, v25
	v_add_f32_e32 v207, v219, v207
	v_ldexp_f32 v34, v34, v220
	v_cndmask_b32_e32 v34, 0, v34, vcc
	v_cmp_nlt_f32_e32 vcc, s62, v25
	s_nop 1
	v_cndmask_b32_e32 v25, v191, v34, vcc
	v_add_f32_e32 v34, v25, v207
	v_mul_f32_e32 v207, 0x3fb8aa3b, v35
	v_fma_f32 v220, v35, s11, -v207
	v_rndne_f32_e32 v221, v207
	v_fmac_f32_e32 v220, 0x32a5705f, v35
	v_sub_f32_e32 v207, v207, v221
	v_add_f32_e32 v207, v207, v220
	v_exp_f32_e32 v207, v207
	v_cvt_i32_f32_e32 v220, v221
	v_cmp_ngt_f32_e32 vcc, s63, v35
	v_ldexp_f32 v207, v207, v220
	s_nop 0
	v_cndmask_b32_e32 v207, 0, v207, vcc
	v_cmp_nlt_f32_e32 vcc, s62, v35
	v_sub_f32_e32 v35, v36, v211
	v_mul_f32_e32 v36, 0x3fb8aa3b, v35
	v_cndmask_b32_e32 v220, v191, v207, vcc
	v_fma_f32 v207, v35, s11, -v36
	v_rndne_f32_e32 v221, v36
	v_fmac_f32_e32 v207, 0x32a5705f, v35
	v_sub_f32_e32 v36, v36, v221
	v_add_f32_e32 v36, v36, v207
	v_exp_f32_e32 v36, v36
	v_cvt_i32_f32_e32 v207, v221
	v_cmp_ngt_f32_e32 vcc, s63, v35
	v_add_f32_e32 v34, v220, v34
	v_ldexp_f32 v36, v36, v207
	v_cndmask_b32_e32 v36, 0, v36, vcc
	v_cmp_nlt_f32_e32 vcc, s62, v35
	v_sub_f32_e32 v35, v37, v211
	s_nop 0
	v_cndmask_b32_e32 v221, v191, v36, vcc
	v_mul_f32_e32 v36, 0x3fb8aa3b, v35
	v_fma_f32 v37, v35, s11, -v36
	v_rndne_f32_e32 v207, v36
	v_fmac_f32_e32 v37, 0x32a5705f, v35
	v_sub_f32_e32 v36, v36, v207
	v_add_f32_e32 v36, v36, v37
	v_exp_f32_e32 v36, v36
	v_cvt_i32_f32_e32 v37, v207
	v_cmp_ngt_f32_e32 vcc, s63, v35
	v_add_f32_e32 v34, v221, v34
	v_ldexp_f32 v36, v36, v37
	v_cndmask_b32_e32 v36, 0, v36, vcc
	v_cmp_nlt_f32_e32 vcc, s62, v35
	s_nop 1
	v_cndmask_b32_e32 v222, v191, v36, vcc
	v_add_f32_e32 v207, v222, v34
	v_mul_f32_e32 v34, 0x3fb8aa3b, v31
	v_fma_f32 v35, v31, s11, -v34
	v_rndne_f32_e32 v36, v34
	v_fmac_f32_e32 v35, 0x32a5705f, v31
	v_sub_f32_e32 v34, v34, v36
	v_add_f32_e32 v34, v34, v35
	v_exp_f32_e32 v34, v34
	v_cvt_i32_f32_e32 v35, v36
	v_cmp_ngt_f32_e32 vcc, s63, v31
	v_ldexp_f32 v34, v34, v35
	s_nop 0
	v_cndmask_b32_e32 v34, 0, v34, vcc
	v_cmp_nlt_f32_e32 vcc, s62, v31
	s_nop 1
	v_cndmask_b32_e32 v34, v191, v34, vcc
	v_cmp_le_f32_e32 vcc, s94, v31
	s_nop 1
	v_cndmask_b32_e32 v31, 0, v34, vcc
	v_fmac_f32_e32 v207, v30, v31
	v_cvt_f16_f32_e32 v30, v31
	v_mul_u32_u24_e32 v36, 0x10001, v30
	v_pk_mul_f16 v35, v218, v36
	v_pk_mul_f16 v34, v217, v36
	;; [unrolled: 1-line block ×6, first 2 shown]
	v_lshl_add_u64 v[32:33], v[94:95], 0, s[60:61]
	v_pk_mul_f16 v224, v29, v36
	v_pk_mul_f16 v223, v28, v36
	;; [unrolled: 1-line block ×6, first 2 shown]
	v_lshl_add_u64 v[36:37], v[52:53], 2, v[32:33]
	v_lshl_add_u64 v[36:37], v[36:37], 0, v[58:59]
	global_load_dwordx4 v[116:119], v[36:37], off offset:128
	v_lshl_add_u64 v[36:37], v[54:55], 2, v[32:33]
	v_lshl_add_u64 v[36:37], v[36:37], 0, v[26:27]
	;; [unrolled: 1-line block ×4, first 2 shown]
	s_waitcnt vmcnt(0)
	ds_write_b128 v73, v[116:119]
	global_load_dwordx4 v[116:119], v[36:37], off
	v_cvt_pk_f16_f32 v37, v20, v22
	s_waitcnt vmcnt(0)
	ds_write_b128 v75, v[116:119]
	global_load_dwordx4 v[116:119], v[26:27], off
	s_waitcnt vmcnt(0)
	ds_write_b128 v165, v[116:119]
	s_waitcnt lgkmcnt(0)
	s_barrier
	ds_read_u16 v26, v122 offset:208
	ds_read_u16 v27, v123
	ds_read_u16 v32, v123 offset:32
	ds_read_u16 v33, v124
	ds_read_u16 v58, v124 offset:32
	v_cvt_f32_f16_e32 v116, v35
	v_cvt_f32_f16_sdwa v117, v35 dst_sel:DWORD dst_unused:UNUSED_PAD src0_sel:WORD_1
	v_cvt_f32_f16_e32 v118, v34
	s_waitcnt lgkmcnt(1)
	v_perm_b32 v27, v33, v27, s34
	ds_read_u16 v33, v122
	ds_read_u16 v225, v122 offset:32
	v_cvt_f32_f16_sdwa v119, v34 dst_sel:DWORD dst_unused:UNUSED_PAD src0_sel:WORD_1
	v_cvt_pk_f16_f32 v35, v16, v18
	v_cvt_pk_f16_f32 v34, v14, v15
	s_waitcnt lgkmcnt(1)
	v_perm_b32 v26, v26, v33, s34
	s_nop 1
	v_mfma_f32_16x16x16_f16 v[116:119], v[26:27], v[34:35], v[116:119]
	ds_read_u16 v26, v122 offset:3328
	ds_read_u16 v27, v122 offset:3536
	;; [unrolled: 1-line block ×4, first 2 shown]
	s_nop 3
	v_cvt_f16_f32_e32 v14, v116
	v_cvt_f16_f32_e32 v15, v117
	;; [unrolled: 1-line block ×4, first 2 shown]
	v_cvt_f32_f16_e32 v116, v14
	v_cvt_f32_f16_e32 v117, v15
	s_waitcnt lgkmcnt(0)
	v_perm_b32 v15, v36, v33, s34
	v_perm_b32 v14, v27, v26, s34
	v_cvt_f32_f16_e32 v118, v16
	v_cvt_f32_f16_e32 v119, v18
	v_cvt_pk_f16_f32 v36, v17, v19
	ds_read_u16 v18, v122 offset:6656
	ds_read_u16 v20, v122 offset:6864
	;; [unrolled: 1-line block ×4, first 2 shown]
	v_mfma_f32_16x16x16_f16 v[14:17], v[14:15], v[36:37], v[116:119]
	s_waitcnt lgkmcnt(2)
	v_perm_b32 v18, v20, v18, s34
	s_waitcnt lgkmcnt(0)
	v_perm_b32 v19, v22, v19, s34
	v_cvt_pk_f16_f32 v117, v24, v219
	s_nop 2
	v_cvt_f16_f32_e32 v14, v14
	v_cvt_f16_f32_e32 v15, v15
	;; [unrolled: 1-line block ×4, first 2 shown]
	v_cvt_f32_f16_e32 v14, v14
	v_cvt_f32_f16_e32 v15, v15
	;; [unrolled: 1-line block ×4, first 2 shown]
	v_cvt_pk_f16_f32 v116, v21, v23
	v_cvt_pk_f16_f32 v119, v221, v222
	;; [unrolled: 1-line block ×3, first 2 shown]
	v_mfma_f32_16x16x16_f16 v[14:17], v[18:19], v[116:117], v[14:17]
	ds_read_u16 v18, v122 offset:9984
	ds_read_u16 v20, v122 offset:10192
	;; [unrolled: 1-line block ×5, first 2 shown]
	v_perm_b32 v23, v58, v32, s34
	s_nop 1
	v_cvt_f16_f32_e32 v14, v14
	v_cvt_f16_f32_e32 v15, v15
	;; [unrolled: 1-line block ×4, first 2 shown]
	s_waitcnt lgkmcnt(1)
	v_perm_b32 v19, v21, v19, s34
	v_perm_b32 v18, v20, v18, s34
	v_cvt_f32_f16_e32 v14, v14
	v_cvt_f32_f16_e32 v15, v15
	v_cvt_f32_f16_e32 v16, v16
	v_cvt_f32_f16_e32 v17, v17
	s_waitcnt lgkmcnt(0)
	v_perm_b32 v22, v22, v225, s34
	v_cvt_f32_f16_e32 v20, v223
	v_mfma_f32_16x16x16_f16 v[14:17], v[18:19], v[118:119], v[14:17]
	v_cvt_f32_f16_e32 v18, v224
	v_cvt_f32_f16_sdwa v19, v224 dst_sel:DWORD dst_unused:UNUSED_PAD src0_sel:WORD_1
	v_cvt_f32_f16_sdwa v21, v223 dst_sel:DWORD dst_unused:UNUSED_PAD src0_sel:WORD_1
	;; [unrolled: 1-line block ×3, first 2 shown]
	v_cvt_f32_f16_e32 v220, v28
	v_mfma_f32_16x16x16_f16 v[18:21], v[22:23], v[34:35], v[18:21]
	ds_read_u16 v22, v122 offset:3360
	ds_read_u16 v24, v122 offset:3568
	ds_read_u16 v23, v123 offset:3360
	ds_read_u16 v25, v124 offset:3360
	v_cvt_f32_f16_sdwa v221, v28 dst_sel:DWORD dst_unused:UNUSED_PAD src0_sel:WORD_1
	s_nop 2
	v_cvt_f16_f32_e32 v18, v18
	v_cvt_f16_f32_e32 v19, v19
	;; [unrolled: 1-line block ×4, first 2 shown]
	s_waitcnt lgkmcnt(0)
	v_perm_b32 v23, v25, v23, s34
	v_perm_b32 v22, v24, v22, s34
	v_cvt_f32_f16_e32 v18, v18
	v_cvt_f32_f16_e32 v19, v19
	v_cvt_f32_f16_e32 v20, v20
	v_cvt_f32_f16_e32 v21, v21
	s_nop 1
	v_mfma_f32_16x16x16_f16 v[18:21], v[22:23], v[36:37], v[18:21]
	ds_read_u16 v22, v122 offset:6688
	ds_read_u16 v24, v122 offset:6896
	ds_read_u16 v23, v123 offset:6688
	ds_read_u16 v25, v124 offset:6688
	s_nop 3
	v_cvt_f16_f32_e32 v18, v18
	v_cvt_f16_f32_e32 v19, v19
	;; [unrolled: 1-line block ×4, first 2 shown]
	s_waitcnt lgkmcnt(0)
	v_perm_b32 v23, v25, v23, s34
	v_perm_b32 v22, v24, v22, s34
	v_cvt_f32_f16_e32 v18, v18
	v_cvt_f32_f16_e32 v19, v19
	;; [unrolled: 1-line block ×4, first 2 shown]
	s_nop 1
	v_mfma_f32_16x16x16_f16 v[18:21], v[22:23], v[116:117], v[18:21]
	ds_read_u16 v22, v122 offset:10016
	ds_read_u16 v24, v122 offset:10224
	;; [unrolled: 1-line block ×8, first 2 shown]
	v_cvt_f16_f32_e32 v18, v18
	v_cvt_f16_f32_e32 v19, v19
	;; [unrolled: 1-line block ×4, first 2 shown]
	s_waitcnt lgkmcnt(4)
	v_perm_b32 v23, v25, v23, s34
	v_perm_b32 v22, v24, v22, s34
	v_cvt_f32_f16_e32 v18, v18
	v_cvt_f32_f16_e32 v19, v19
	;; [unrolled: 1-line block ×4, first 2 shown]
	s_waitcnt lgkmcnt(0)
	v_perm_b32 v27, v33, v27, s34
	v_perm_b32 v26, v32, v26, s34
	v_mfma_f32_16x16x16_f16 v[18:21], v[22:23], v[118:119], v[18:21]
	v_cvt_f32_f16_e32 v22, v218
	v_cvt_f32_f16_sdwa v23, v218 dst_sel:DWORD dst_unused:UNUSED_PAD src0_sel:WORD_1
	v_cvt_f32_f16_e32 v24, v217
	v_cvt_f32_f16_sdwa v25, v217 dst_sel:DWORD dst_unused:UNUSED_PAD src0_sel:WORD_1
	v_cvt_f32_f16_e32 v218, v29
	s_nop 0
	v_mfma_f32_16x16x16_f16 v[22:25], v[26:27], v[34:35], v[22:25]
	ds_read_u16 v26, v122 offset:3392
	ds_read_u16 v32, v122 offset:3600
	ds_read_u16 v27, v123 offset:3392
	ds_read_u16 v33, v124 offset:3392
	s_nop 3
	v_cvt_f16_f32_e32 v22, v22
	v_cvt_f16_f32_e32 v23, v23
	v_cvt_f16_f32_e32 v24, v24
	v_cvt_f16_f32_e32 v25, v25
	s_waitcnt lgkmcnt(0)
	v_perm_b32 v27, v33, v27, s34
	v_perm_b32 v26, v32, v26, s34
	v_cvt_f32_f16_e32 v22, v22
	v_cvt_f32_f16_e32 v23, v23
	v_cvt_f32_f16_e32 v24, v24
	v_cvt_f32_f16_e32 v25, v25
	s_nop 1
	v_mfma_f32_16x16x16_f16 v[22:25], v[26:27], v[36:37], v[22:25]
	ds_read_u16 v26, v122 offset:6720
	ds_read_u16 v32, v122 offset:6928
	ds_read_u16 v27, v123 offset:6720
	ds_read_u16 v33, v124 offset:6720
	s_nop 3
	v_cvt_f16_f32_e32 v22, v22
	v_cvt_f16_f32_e32 v23, v23
	v_cvt_f16_f32_e32 v24, v24
	v_cvt_f16_f32_e32 v25, v25
	s_waitcnt lgkmcnt(0)
	v_perm_b32 v27, v33, v27, s34
	v_perm_b32 v26, v32, v26, s34
	v_cvt_f32_f16_e32 v22, v22
	v_cvt_f32_f16_e32 v23, v23
	v_cvt_f32_f16_e32 v24, v24
	v_cvt_f32_f16_e32 v25, v25
	s_nop 1
	v_mfma_f32_16x16x16_f16 v[22:25], v[26:27], v[116:117], v[22:25]
	ds_read_u16 v26, v122 offset:10048
	ds_read_u16 v32, v122 offset:10256
	ds_read_u16 v27, v123 offset:10048
	ds_read_u16 v33, v124 offset:10048
	s_nop 3
	v_cvt_f16_f32_e32 v22, v22
	v_cvt_f16_f32_e32 v23, v23
	v_cvt_f16_f32_e32 v24, v24
	v_cvt_f16_f32_e32 v25, v25
	s_waitcnt lgkmcnt(0)
	v_perm_b32 v27, v33, v27, s34
	v_perm_b32 v26, v32, v26, s34
	v_cvt_f32_f16_e32 v22, v22
	v_cvt_f32_f16_e32 v23, v23
	v_cvt_f32_f16_e32 v24, v24
	v_cvt_f32_f16_e32 v25, v25
	s_nop 1
	v_mfma_f32_16x16x16_f16 v[22:25], v[26:27], v[118:119], v[22:25]
	ds_read_u16 v26, v122 offset:96
	ds_read_u16 v32, v122 offset:304
	;; [unrolled: 1-line block ×4, first 2 shown]
	s_waitcnt lgkmcnt(2)
	v_perm_b32 v26, v32, v26, s34
	s_waitcnt lgkmcnt(0)
	v_perm_b32 v27, v33, v27, s34
	ds_read_u16 v32, v122 offset:3424
	ds_read_u16 v58, v122 offset:3632
	;; [unrolled: 1-line block ×4, first 2 shown]
	v_mfma_f32_16x16x16_f16 v[26:29], v[26:27], v[34:35], v[218:221]
	s_waitcnt lgkmcnt(0)
	v_perm_b32 v33, v217, v33, s34
	v_perm_b32 v32, v58, v32, s34
	v_cvt_f32_f16_e32 v218, v31
	s_nop 3
	v_cvt_f16_f32_e32 v26, v26
	v_cvt_f16_f32_e32 v27, v27
	;; [unrolled: 1-line block ×4, first 2 shown]
	v_cvt_f32_f16_e32 v26, v26
	v_cvt_f32_f16_e32 v27, v27
	v_cvt_f32_f16_e32 v28, v28
	v_cvt_f32_f16_e32 v29, v29
	v_cvt_f32_f16_sdwa v219, v31 dst_sel:DWORD dst_unused:UNUSED_PAD src0_sel:WORD_1
	v_cvt_f32_f16_e32 v220, v30
	v_mfma_f32_16x16x16_f16 v[26:29], v[32:33], v[36:37], v[26:29]
	ds_read_u16 v32, v122 offset:6752
	ds_read_u16 v58, v122 offset:6960
	;; [unrolled: 1-line block ×4, first 2 shown]
	v_cvt_f32_f16_sdwa v221, v30 dst_sel:DWORD dst_unused:UNUSED_PAD src0_sel:WORD_1
	s_nop 2
	v_cvt_f16_f32_e32 v26, v26
	v_cvt_f16_f32_e32 v27, v27
	;; [unrolled: 1-line block ×4, first 2 shown]
	s_waitcnt lgkmcnt(0)
	v_perm_b32 v33, v217, v33, s34
	v_perm_b32 v32, v58, v32, s34
	v_cvt_f32_f16_e32 v26, v26
	v_cvt_f32_f16_e32 v27, v27
	;; [unrolled: 1-line block ×4, first 2 shown]
	s_nop 1
	v_mfma_f32_16x16x16_f16 v[26:29], v[32:33], v[116:117], v[26:29]
	ds_read_u16 v32, v122 offset:10080
	ds_read_u16 v58, v122 offset:10288
	;; [unrolled: 1-line block ×4, first 2 shown]
	s_nop 3
	v_cvt_f16_f32_e32 v26, v26
	v_cvt_f16_f32_e32 v27, v27
	;; [unrolled: 1-line block ×4, first 2 shown]
	s_waitcnt lgkmcnt(0)
	v_perm_b32 v33, v217, v33, s34
	v_perm_b32 v32, v58, v32, s34
	v_cvt_f32_f16_e32 v26, v26
	v_cvt_f32_f16_e32 v27, v27
	;; [unrolled: 1-line block ×4, first 2 shown]
	s_nop 1
	v_mfma_f32_16x16x16_f16 v[26:29], v[32:33], v[118:119], v[26:29]
	ds_read_u16 v32, v122 offset:128
	ds_read_u16 v33, v122 offset:336
	;; [unrolled: 1-line block ×4, first 2 shown]
	s_waitcnt lgkmcnt(2)
	v_perm_b32 v30, v33, v32, s34
	s_waitcnt lgkmcnt(0)
	v_perm_b32 v31, v217, v58, s34
	s_nop 1
	v_mfma_f32_16x16x16_f16 v[30:33], v[30:31], v[34:35], v[218:221]
	ds_read_u16 v58, v122 offset:3456
	ds_read_u16 v217, v122 offset:3664
	s_nop 0
	ds_read_u16 v218, v123 offset:3456
	ds_read_u16 v219, v124 offset:3456
	v_cvt_f32_f16_e32 v220, v215
	v_cvt_f32_f16_sdwa v221, v215 dst_sel:DWORD dst_unused:UNUSED_PAD src0_sel:WORD_1
	s_nop 0
	v_cvt_f16_f32_e32 v30, v30
	v_cvt_f16_f32_e32 v31, v31
	;; [unrolled: 1-line block ×4, first 2 shown]
	s_waitcnt lgkmcnt(0)
	v_perm_b32 v219, v219, v218, s34
	v_perm_b32 v218, v217, v58, s34
	v_cvt_f32_f16_e32 v30, v30
	v_cvt_f32_f16_e32 v31, v31
	;; [unrolled: 1-line block ×4, first 2 shown]
	s_nop 1
	v_mfma_f32_16x16x16_f16 v[30:33], v[218:219], v[36:37], v[30:33]
	ds_read_u16 v58, v122 offset:6784
	ds_read_u16 v217, v122 offset:6992
	ds_read_u16 v218, v123 offset:6784
	ds_read_u16 v219, v124 offset:6784
	s_nop 3
	v_cvt_f16_f32_e32 v30, v30
	v_cvt_f16_f32_e32 v31, v31
	;; [unrolled: 1-line block ×4, first 2 shown]
	s_waitcnt lgkmcnt(0)
	v_perm_b32 v219, v219, v218, s34
	v_perm_b32 v218, v217, v58, s34
	v_cvt_f32_f16_e32 v30, v30
	v_cvt_f32_f16_e32 v31, v31
	;; [unrolled: 1-line block ×4, first 2 shown]
	s_nop 1
	v_mfma_f32_16x16x16_f16 v[30:33], v[218:219], v[116:117], v[30:33]
	ds_read_u16 v58, v122 offset:10112
	ds_read_u16 v217, v122 offset:10320
	;; [unrolled: 1-line block ×4, first 2 shown]
	s_nop 3
	v_cvt_f16_f32_e32 v30, v30
	v_cvt_f16_f32_e32 v31, v31
	;; [unrolled: 1-line block ×4, first 2 shown]
	s_waitcnt lgkmcnt(0)
	v_perm_b32 v219, v219, v218, s34
	v_perm_b32 v218, v217, v58, s34
	ds_read_u16 v58, v122 offset:160
	ds_read_u16 v222, v122 offset:368
	;; [unrolled: 1-line block ×4, first 2 shown]
	v_cvt_f32_f16_e32 v30, v30
	v_cvt_f32_f16_e32 v31, v31
	;; [unrolled: 1-line block ×4, first 2 shown]
	s_waitcnt lgkmcnt(0)
	v_perm_b32 v217, v223, v217, s34
	v_mfma_f32_16x16x16_f16 v[30:33], v[218:219], v[118:119], v[30:33]
	v_cvt_f32_f16_e32 v218, v216
	v_cvt_f32_f16_sdwa v219, v216 dst_sel:DWORD dst_unused:UNUSED_PAD src0_sel:WORD_1
	v_perm_b32 v216, v222, v58, s34
	s_nop 1
	v_mfma_f32_16x16x16_f16 v[216:219], v[216:217], v[34:35], v[218:221]
	s_nop 2
	ds_read_u16 v220, v122 offset:3488
	ds_read_u16 v221, v122 offset:3696
	;; [unrolled: 1-line block ×4, first 2 shown]
	s_nop 0
	v_cvt_f16_f32_e32 v34, v216
	v_cvt_f16_f32_e32 v35, v217
	;; [unrolled: 1-line block ×4, first 2 shown]
	v_cvt_f32_f16_e32 v216, v34
	v_cvt_f32_f16_e32 v217, v35
	s_waitcnt lgkmcnt(0)
	v_perm_b32 v35, v223, v222, s34
	v_perm_b32 v34, v221, v220, s34
	v_cvt_f32_f16_e32 v218, v58
	v_cvt_f32_f16_e32 v219, v215
	s_nop 1
	v_mfma_f32_16x16x16_f16 v[34:37], v[34:35], v[36:37], v[216:219]
	ds_read_u16 v58, v122 offset:6816
	ds_read_u16 v215, v122 offset:7024
	s_nop 0
	ds_read_u16 v216, v123 offset:6816
	ds_read_u16 v217, v124 offset:6816
	v_cvt_pk_f16_f32 v218, v14, v15
	s_nop 1
	v_cvt_f16_f32_e32 v34, v34
	v_cvt_f16_f32_e32 v35, v35
	;; [unrolled: 1-line block ×4, first 2 shown]
	s_waitcnt lgkmcnt(0)
	v_perm_b32 v217, v217, v216, s34
	v_perm_b32 v216, v215, v58, s34
	v_cvt_f32_f16_e32 v34, v34
	v_cvt_f32_f16_e32 v35, v35
	;; [unrolled: 1-line block ×4, first 2 shown]
	s_nop 1
	v_mfma_f32_16x16x16_f16 v[34:37], v[216:217], v[116:117], v[34:37]
	ds_read_u16 v58, v122 offset:10144
	ds_read_u16 v116, v122 offset:10352
	;; [unrolled: 1-line block ×4, first 2 shown]
	v_cvt_pk_f16_f32 v216, v22, v23
	v_cvt_pk_f16_f32 v217, v16, v17
	s_nop 1
	v_cvt_f16_f32_e32 v34, v34
	v_cvt_f16_f32_e32 v35, v35
	;; [unrolled: 1-line block ×4, first 2 shown]
	s_waitcnt lgkmcnt(0)
	v_perm_b32 v117, v215, v117, s34
	v_perm_b32 v116, v116, v58, s34
	v_cvt_f32_f16_e32 v34, v34
	v_cvt_f32_f16_e32 v35, v35
	;; [unrolled: 1-line block ×4, first 2 shown]
	v_cvt_pk_f16_f32 v215, v24, v25
	s_nop 0
	v_mfma_f32_16x16x16_f16 v[34:37], v[116:117], v[118:119], v[34:37]
	v_cvt_pk_f16_f32 v118, v26, v27
	v_cvt_pk_f16_f32 v119, v28, v29
	;; [unrolled: 1-line block ×6, first 2 shown]
	s_nop 1
	v_cvt_pk_f16_f32 v33, v34, v35
	v_cvt_pk_f16_f32 v32, v36, v37
	s_barrier
	s_cbranch_scc1 .LBB14_67
	s_branch .LBB14_70
.LBB14_68:                              ;   in Loop: Header=BB14_12 Depth=1
	s_mov_b64 s[6:7], 0
                                        ; implicit-def: $vgpr2_vgpr3
                                        ; implicit-def: $vgpr81
	s_cbranch_execnz .LBB14_133
	s_branch .LBB14_249
.LBB14_69:                              ;   in Loop: Header=BB14_12 Depth=1
	v_mov_b32_e32 v211, 0xfeffffff
	v_mov_b32_e32 v207, 0
	;; [unrolled: 1-line block ×15, first 2 shown]
.LBB14_70:                              ;   in Loop: Header=BB14_12 Depth=1
	s_lshl_b32 s4, s70, 6
	s_ashr_i32 s5, s4, 31
	s_lshl_b64 s[6:7], s[4:5], 1
	v_lshl_add_u64 v[14:15], v[98:99], 0, s[6:7]
	v_lshlrev_b32_e32 v58, 1, v72
	v_lshl_add_u64 v[14:15], v[14:15], 0, v[58:59]
	s_mul_hi_i32 s7, s54, s4
	s_mul_i32 s6, s54, s4
	v_lshl_add_u64 v[16:17], v[110:111], 1, v[14:15]
	v_lshl_add_u64 v[14:15], v[112:113], 1, v[14:15]
	s_lshl_b64 s[6:7], s[6:7], 2
	global_load_dword v30, v[16:17], off
	global_load_dword v31, v[14:15], off
	v_lshl_add_u64 v[16:17], v[96:97], 0, s[6:7]
	v_lshl_add_u64 v[14:15], v[42:43], 2, v[16:17]
	v_lshlrev_b32_e32 v58, 2, v44
	v_lshl_add_u64 v[18:19], v[14:15], 0, v[58:59]
	v_lshl_add_u64 v[20:21], v[48:49], 2, v[16:17]
	v_lshlrev_b32_e32 v14, 2, v46
	v_mov_b32_e32 v15, v59
	v_lshl_add_u64 v[16:17], v[50:51], 2, v[16:17]
	v_lshl_add_u64 v[20:21], v[20:21], 0, v[14:15]
	;; [unrolled: 1-line block ×3, first 2 shown]
	global_load_dwordx4 v[16:19], v[18:19], off offset:128
	s_nop 0
	global_load_dwordx4 v[20:23], v[20:21], off
	s_nop 0
	global_load_dwordx4 v[24:27], v[24:25], off
	v_add_u32_e32 v34, v164, v162
	v_add_u32_e32 v114, 0x2000, v166
	;; [unrolled: 1-line block ×5, first 2 shown]
	v_cmp_lt_i32_e32 vcc, v209, v208
	s_mul_hi_i32 s5, s56, s4
	s_mul_i32 s4, s56, s4
	s_lshl_b64 s[4:5], s[4:5], 2
	s_waitcnt vmcnt(4)
	ds_write_b32 v34, v30 offset:13312
	s_waitcnt vmcnt(3)
	ds_write_b32 v34, v31 offset:14464
	s_waitcnt vmcnt(2)
	ds_write_b128 v73, v[16:19]
	s_waitcnt vmcnt(1)
	ds_write_b128 v75, v[20:23]
	;; [unrolled: 2-line block ×3, first 2 shown]
	v_add_u32_e32 v30, 0x800, v166
	s_waitcnt lgkmcnt(0)
	s_barrier
	ds_read2_b64 v[16:19], v166 offset1:4
	ds_read2_b64 v[24:27], v30 offset0:160 offset1:164
	v_add_u32_e32 v31, 0x1800, v166
	ds_read2_b64 v[110:113], v31 offset0:64 offset1:68
	ds_read2_b64 v[224:227], v114 offset0:224 offset1:228
	s_waitcnt lgkmcnt(3)
	v_mfma_f32_16x16x16_f16 v[20:23], v[16:17], v[10:11], 0
	s_waitcnt lgkmcnt(2)
	v_mfma_f32_16x16x16_f16 v[34:37], v[24:25], v[10:11], 0
	v_mfma_f32_16x16x16_f16 v[16:19], v[18:19], v[12:13], v[20:23]
	;; [unrolled: 1-line block ×3, first 2 shown]
	s_nop 5
	ds_read2_b64 v[34:37], v166 offset0:8 offset1:12
	s_waitcnt lgkmcnt(2)
	v_mfma_f32_16x16x16_f16 v[220:223], v[110:111], v[10:11], 0
	s_waitcnt lgkmcnt(1)
	v_mfma_f32_16x16x16_f16 v[228:231], v[224:225], v[10:11], 0
	v_mfma_f32_16x16x16_f16 v[24:27], v[112:113], v[12:13], v[220:223]
	ds_read2_b64 v[110:113], v30 offset0:168 offset1:172
	s_nop 3
	ds_read2_b64 v[220:223], v31 offset0:72 offset1:76
	v_mfma_f32_16x16x16_f16 v[10:13], v[226:227], v[12:13], v[228:231]
	ds_read2_b64 v[224:227], v114 offset0:232 offset1:236
	s_waitcnt lgkmcnt(3)
	v_mfma_f32_16x16x16_f16 v[16:19], v[34:35], v[6:7], v[16:19]
	v_mfma_f32_16x16x16_f16 v[16:19], v[36:37], v[8:9], v[16:19]
	ds_read2_b64 v[34:37], v166 offset0:16 offset1:20
	s_waitcnt lgkmcnt(3)
	v_mfma_f32_16x16x16_f16 v[20:23], v[110:111], v[6:7], v[20:23]
	s_waitcnt lgkmcnt(2)
	v_mfma_f32_16x16x16_f16 v[24:27], v[220:221], v[6:7], v[24:27]
	;; [unrolled: 2-line block ×3, first 2 shown]
	v_mfma_f32_16x16x16_f16 v[20:23], v[112:113], v[8:9], v[20:23]
	v_mfma_f32_16x16x16_f16 v[24:27], v[222:223], v[8:9], v[24:27]
	ds_read2_b64 v[110:113], v30 offset0:176 offset1:180
	ds_read2_b64 v[220:223], v31 offset0:80 offset1:84
	;; [unrolled: 1-line block ×3, first 2 shown]
	s_waitcnt lgkmcnt(0)
	s_barrier
	v_mfma_f32_16x16x16_f16 v[6:9], v[226:227], v[8:9], v[10:13]
	ds_read_b32 v114, v79 offset:13312
	ds_read_b32 v219, v120 offset:13312
	ds_read2_b32 v[30:31], v115 offset1:1
	s_waitcnt lgkmcnt(2)
	v_cvt_f32_f16_e32 v115, v114
	v_mfma_f32_16x16x16_f16 v[10:13], v[34:35], v[2:3], v[16:19]
	v_mfma_f32_16x16x16_f16 v[16:19], v[110:111], v[2:3], v[20:23]
	ds_read2_b32 v[34:35], v213 offset1:1
	ds_read2_b32 v[110:111], v214 offset1:1
	v_mfma_f32_16x16x16_f16 v[20:23], v[220:221], v[2:3], v[24:27]
	v_mfma_f32_16x16x16_f16 v[6:9], v[228:229], v[2:3], v[6:9]
	s_nop 1
	v_cvt_f32_f16_sdwa v24, v114 dst_sel:DWORD dst_unused:UNUSED_PAD src0_sel:WORD_1
	s_waitcnt lgkmcnt(3)
	v_cvt_f32_f16_e32 v25, v219
	v_cvt_f32_f16_sdwa v26, v219 dst_sel:DWORD dst_unused:UNUSED_PAD src0_sel:WORD_1
	v_mfma_f32_16x16x16_f16 v[10:13], v[36:37], v[4:5], v[10:13]
	s_waitcnt lgkmcnt(2)
	v_cvt_f32_f16_sdwa v3, v30 dst_sel:DWORD dst_unused:UNUSED_PAD src0_sel:WORD_1
	v_cvt_f32_f16_e32 v27, v31
	s_waitcnt lgkmcnt(0)
	v_cvt_f32_f16_e32 v37, v110
	v_mfma_f32_16x16x16_f16 v[16:19], v[112:113], v[4:5], v[16:19]
	v_cvt_f32_f16_sdwa v110, v110 dst_sel:DWORD dst_unused:UNUSED_PAD src0_sel:WORD_1
	v_cvt_f32_f16_e32 v112, v111
	v_cvt_f32_f16_e32 v2, v30
	v_mfma_f32_16x16x16_f16 v[20:23], v[222:223], v[4:5], v[20:23]
	v_cvt_f32_f16_sdwa v111, v111 dst_sel:DWORD dst_unused:UNUSED_PAD src0_sel:WORD_1
	v_cvt_f32_f16_sdwa v30, v31 dst_sel:DWORD dst_unused:UNUSED_PAD src0_sel:WORD_1
	v_cvt_f32_f16_e32 v31, v34
	v_mfma_f32_16x16x16_f16 v[4:7], v[230:231], v[4:5], v[6:9]
	v_cvt_f32_f16_sdwa v34, v34 dst_sel:DWORD dst_unused:UNUSED_PAD src0_sel:WORD_1
	v_cvt_f32_f16_e32 v36, v35
	v_cvt_f32_f16_sdwa v35, v35 dst_sel:DWORD dst_unused:UNUSED_PAD src0_sel:WORD_1
	v_add_f32_e32 v8, v10, v115
	v_add_f32_e32 v9, v11, v24
	;; [unrolled: 1-line block ×15, first 2 shown]
	v_max3_f32 v5, v211, v5, v6
	v_add_f32_e32 v19, v19, v30
	v_max3_f32 v5, v5, v7, v16
	v_add_f32_e32 v6, 0x40051340, v12
	v_add_f32_e32 v7, 0x40051340, v13
	;; [unrolled: 1-line block ×4, first 2 shown]
	v_max3_f32 v5, v5, v6, v7
	v_add_f32_e32 v6, 0x40051340, v18
	v_add_f32_e32 v7, 0x40051340, v19
	v_add_f32_e32 v22, v22, v36
	v_add_f32_e32 v23, v23, v35
	v_max3_f32 v5, v5, v6, v7
	v_add_f32_e32 v6, 0x40051340, v20
	v_add_f32_e32 v7, 0x40051340, v26
	v_max3_f32 v5, v5, v6, v7
	v_add_f32_e32 v6, 0x40051340, v22
	v_add_f32_e32 v7, 0x40051340, v23
	;; [unrolled: 3-line block ×4, first 2 shown]
	v_max3_f32 v5, v5, v6, v7
	v_cndmask_b32_e32 v6, v212, v209, vcc
	v_lshlrev_b32_e32 v34, 2, v6
	ds_bpermute_b32 v6, v34, v5
	v_cmp_lt_i32_e32 vcc, v210, v208
	v_add_u32_e32 v36, v121, v47
	v_add_u32_e32 v35, v121, v63
	s_waitcnt lgkmcnt(0)
	v_max_f32_e32 v6, v6, v6
	v_max_f32_e32 v5, v5, v6
	v_cndmask_b32_e32 v6, v212, v210, vcc
	v_lshlrev_b32_e32 v25, 2, v6
	ds_bpermute_b32 v6, v25, v5
	s_waitcnt lgkmcnt(0)
	v_max_f32_e32 v6, v6, v6
	v_max_f32_e32 v24, v5, v6
	v_sub_f32_e32 v5, v8, v24
	v_mul_f32_e32 v6, 0x3fb8aa3b, v5
	v_fma_f32 v7, v5, s11, -v6
	v_rndne_f32_e32 v8, v6
	v_fmac_f32_e32 v7, 0x32a5705f, v5
	v_sub_f32_e32 v6, v6, v8
	v_add_f32_e32 v6, v6, v7
	v_exp_f32_e32 v6, v6
	v_cvt_i32_f32_e32 v7, v8
	v_cmp_ngt_f32_e32 vcc, s63, v5
	v_sub_f32_e32 v27, v27, v24
	v_mul_f32_e32 v30, 0x3fb8aa3b, v27
	v_ldexp_f32 v6, v6, v7
	v_sub_f32_e32 v7, v9, v24
	v_mul_f32_e32 v8, 0x3fb8aa3b, v7
	v_fma_f32 v9, v7, s11, -v8
	v_rndne_f32_e32 v16, v8
	v_fmac_f32_e32 v9, 0x32a5705f, v7
	v_sub_f32_e32 v8, v8, v16
	v_add_f32_e32 v8, v8, v9
	v_exp_f32_e32 v8, v8
	v_cvt_i32_f32_e32 v9, v16
	v_cndmask_b32_e32 v6, 0, v6, vcc
	v_cmp_nlt_f32_e32 vcc, s62, v5
	v_fma_f32 v31, v27, s11, -v30
	v_ldexp_f32 v5, v8, v9
	v_cndmask_b32_e32 v16, v191, v6, vcc
	v_sub_f32_e32 v6, v10, v24
	v_mul_f32_e32 v8, 0x3fb8aa3b, v6
	v_fma_f32 v9, v6, s11, -v8
	v_rndne_f32_e32 v10, v8
	v_fmac_f32_e32 v9, 0x32a5705f, v6
	v_sub_f32_e32 v8, v8, v10
	v_add_f32_e32 v8, v8, v9
	v_exp_f32_e32 v8, v8
	v_cvt_i32_f32_e32 v9, v10
	v_cmp_ngt_f32_e32 vcc, s63, v7
	v_fmac_f32_e32 v31, 0x32a5705f, v27
	v_sub_f32_e32 v4, v4, v24
	v_cndmask_b32_e32 v5, 0, v5, vcc
	v_cmp_nlt_f32_e32 vcc, s62, v7
	v_sub_f32_e32 v7, v11, v24
	v_sub_f32_e32 v3, v3, v24
	v_cndmask_b32_e32 v17, v191, v5, vcc
	v_ldexp_f32 v5, v8, v9
	v_mul_f32_e32 v8, 0x3fb8aa3b, v7
	v_fma_f32 v9, v7, s11, -v8
	v_rndne_f32_e32 v10, v8
	v_fmac_f32_e32 v9, 0x32a5705f, v7
	v_sub_f32_e32 v8, v8, v10
	v_add_f32_e32 v8, v8, v9
	v_exp_f32_e32 v8, v8
	v_cvt_i32_f32_e32 v9, v10
	v_cmp_ngt_f32_e32 vcc, s63, v6
	v_sub_f32_e32 v2, v2, v24
	s_nop 0
	v_cndmask_b32_e32 v5, 0, v5, vcc
	v_cmp_nlt_f32_e32 vcc, s62, v6
	v_sub_f32_e32 v6, v12, v24
	s_nop 0
	v_cndmask_b32_e32 v21, v191, v5, vcc
	v_ldexp_f32 v5, v8, v9
	v_mul_f32_e32 v8, 0x3fb8aa3b, v6
	v_fma_f32 v9, v6, s11, -v8
	v_rndne_f32_e32 v10, v8
	v_fmac_f32_e32 v9, 0x32a5705f, v6
	v_sub_f32_e32 v8, v8, v10
	v_add_f32_e32 v8, v8, v9
	v_exp_f32_e32 v8, v8
	v_cvt_i32_f32_e32 v9, v10
	v_cmp_ngt_f32_e32 vcc, s63, v7
	s_nop 1
	v_cndmask_b32_e32 v5, 0, v5, vcc
	v_cmp_nlt_f32_e32 vcc, s62, v7
	v_sub_f32_e32 v7, v13, v24
	s_nop 0
	v_cndmask_b32_e32 v110, v191, v5, vcc
	v_ldexp_f32 v5, v8, v9
	v_mul_f32_e32 v8, 0x3fb8aa3b, v7
	v_fma_f32 v9, v7, s11, -v8
	v_rndne_f32_e32 v10, v8
	v_fmac_f32_e32 v9, 0x32a5705f, v7
	v_sub_f32_e32 v8, v8, v10
	v_add_f32_e32 v8, v8, v9
	v_exp_f32_e32 v8, v8
	v_cvt_i32_f32_e32 v9, v10
	v_cmp_ngt_f32_e32 vcc, s63, v6
	;; [unrolled: 16-line block ×5, first 2 shown]
	s_nop 1
	v_cndmask_b32_e32 v5, 0, v5, vcc
	v_cmp_nlt_f32_e32 vcc, s62, v7
	v_sub_f32_e32 v7, v26, v24
	v_sub_f32_e32 v26, v23, v24
	v_cndmask_b32_e32 v114, v191, v5, vcc
	v_ldexp_f32 v5, v8, v9
	v_mul_f32_e32 v8, 0x3fb8aa3b, v7
	v_fma_f32 v9, v7, s11, -v8
	v_rndne_f32_e32 v10, v8
	v_fmac_f32_e32 v9, 0x32a5705f, v7
	v_sub_f32_e32 v8, v8, v10
	v_add_f32_e32 v8, v8, v9
	v_exp_f32_e32 v8, v8
	v_cvt_i32_f32_e32 v9, v10
	v_cmp_ngt_f32_e32 vcc, s63, v6
	s_nop 1
	v_cndmask_b32_e32 v5, 0, v5, vcc
	v_cmp_nlt_f32_e32 vcc, s62, v6
	v_sub_f32_e32 v6, v22, v24
	v_lshl_add_u64 v[22:23], v[94:95], 0, s[4:5]
	v_cndmask_b32_e32 v18, v191, v5, vcc
	v_ldexp_f32 v5, v8, v9
	v_mul_f32_e32 v8, 0x3fb8aa3b, v6
	v_fma_f32 v9, v6, s11, -v8
	v_rndne_f32_e32 v10, v8
	v_fmac_f32_e32 v9, 0x32a5705f, v6
	v_sub_f32_e32 v8, v8, v10
	v_add_f32_e32 v8, v8, v9
	v_exp_f32_e32 v8, v8
	v_cvt_i32_f32_e32 v9, v10
	v_cmp_ngt_f32_e32 vcc, s63, v7
	v_lshl_add_u64 v[10:11], v[54:55], 2, v[22:23]
	v_lshl_add_u64 v[10:11], v[10:11], 0, v[14:15]
	v_cndmask_b32_e32 v5, 0, v5, vcc
	v_cmp_nlt_f32_e32 vcc, s62, v7
	v_mul_f32_e32 v7, 0x3fb8aa3b, v26
	global_load_dwordx4 v[10:13], v[10:11], off
	v_cndmask_b32_e32 v19, v191, v5, vcc
	v_ldexp_f32 v5, v8, v9
	v_fma_f32 v8, v26, s11, -v7
	v_rndne_f32_e32 v9, v7
	v_fmac_f32_e32 v8, 0x32a5705f, v26
	v_sub_f32_e32 v7, v7, v9
	v_add_f32_e32 v7, v7, v8
	v_exp_f32_e32 v7, v7
	v_cvt_i32_f32_e32 v8, v9
	v_cmp_ngt_f32_e32 vcc, s63, v6
	s_nop 1
	v_cndmask_b32_e32 v5, 0, v5, vcc
	v_cmp_nlt_f32_e32 vcc, s62, v6
	s_nop 1
	v_cndmask_b32_e32 v20, v191, v5, vcc
	v_ldexp_f32 v5, v7, v8
	v_lshl_add_u64 v[6:7], v[52:53], 2, v[22:23]
	v_lshl_add_u64 v[6:7], v[6:7], 0, v[58:59]
	global_load_dwordx4 v[6:9], v[6:7], off offset:128
	v_lshl_add_u64 v[22:23], v[56:57], 2, v[22:23]
	v_lshl_add_u64 v[14:15], v[22:23], 0, v[14:15]
	global_load_dwordx4 v[220:223], v[14:15], off
	v_rndne_f32_e32 v14, v30
	v_sub_f32_e32 v15, v30, v14
	v_add_f32_e32 v15, v15, v31
	v_exp_f32_e32 v15, v15
	v_cvt_i32_f32_e32 v14, v14
	v_cmp_ngt_f32_e32 vcc, s63, v26
	s_waitcnt vmcnt(1)
	ds_write_b128 v73, v[6:9]
	ds_write_b128 v75, v[10:13]
	s_waitcnt vmcnt(0)
	ds_write_b128 v165, v[220:223]
	v_cndmask_b32_e32 v5, 0, v5, vcc
	v_cmp_nlt_f32_e32 vcc, s62, v26
	s_waitcnt lgkmcnt(0)
	s_barrier
	v_cndmask_b32_e32 v58, v191, v5, vcc
	v_ldexp_f32 v5, v15, v14
	v_mul_f32_e32 v14, 0x3fb8aa3b, v4
	v_fma_f32 v15, v4, s11, -v14
	v_rndne_f32_e32 v22, v14
	v_fmac_f32_e32 v15, 0x32a5705f, v4
	v_sub_f32_e32 v14, v14, v22
	v_add_f32_e32 v14, v14, v15
	v_exp_f32_e32 v14, v14
	v_cvt_i32_f32_e32 v15, v22
	v_cmp_ngt_f32_e32 vcc, s63, v27
	ds_read_u16 v6, v122 offset:208
	s_nop 0
	v_cndmask_b32_e32 v5, 0, v5, vcc
	v_cmp_nlt_f32_e32 vcc, s62, v27
	ds_read_u16 v7, v36
	ds_read_u16 v8, v35
	;; [unrolled: 1-line block ×3, first 2 shown]
	v_cndmask_b32_e32 v115, v191, v5, vcc
	v_ldexp_f32 v5, v14, v15
	v_mul_f32_e32 v14, 0x3fb8aa3b, v3
	v_fma_f32 v15, v3, s11, -v14
	v_rndne_f32_e32 v22, v14
	v_fmac_f32_e32 v15, 0x32a5705f, v3
	v_sub_f32_e32 v14, v14, v22
	v_add_f32_e32 v14, v14, v15
	v_exp_f32_e32 v14, v14
	v_cvt_i32_f32_e32 v15, v22
	v_cmp_ngt_f32_e32 vcc, s63, v4
	s_waitcnt lgkmcnt(1)
	v_perm_b32 v7, v8, v7, s34
	s_waitcnt lgkmcnt(0)
	v_perm_b32 v6, v6, v9, s34
	v_cndmask_b32_e32 v5, 0, v5, vcc
	v_cmp_nlt_f32_e32 vcc, s62, v4
	v_ldexp_f32 v4, v14, v15
	v_cvt_pk_f16_f32 v31, v21, v110
	v_cndmask_b32_e32 v208, v191, v5, vcc
	v_cmp_ngt_f32_e32 vcc, s63, v3
	v_cvt_pk_f16_f32 v30, v16, v17
	v_cvt_pk_f16_f32 v27, v20, v58
	v_cndmask_b32_e32 v4, 0, v4, vcc
	v_cmp_nlt_f32_e32 vcc, s62, v3
	v_mul_f32_e32 v3, 0x3fb8aa3b, v2
	v_fma_f32 v5, v2, s11, -v3
	v_rndne_f32_e32 v14, v3
	v_fmac_f32_e32 v5, 0x32a5705f, v2
	v_sub_f32_e32 v3, v3, v14
	v_add_f32_e32 v3, v3, v5
	v_cvt_i32_f32_e32 v5, v14
	v_sub_f32_e32 v14, v211, v24
	v_mul_f32_e32 v15, 0x3fb8aa3b, v14
	v_fma_f32 v22, v14, s11, -v15
	v_rndne_f32_e32 v23, v15
	v_fmac_f32_e32 v22, 0x32a5705f, v14
	v_sub_f32_e32 v15, v15, v23
	v_add_f32_e32 v15, v15, v22
	v_exp_f32_e32 v15, v15
	v_cvt_i32_f32_e32 v22, v23
	v_cndmask_b32_e32 v209, v191, v4, vcc
	v_cmp_ngt_f32_e64 s[4:5], s63, v14
	v_exp_f32_e32 v3, v3
	v_ldexp_f32 v4, v15, v22
	v_cndmask_b32_e64 v4, 0, v4, s[4:5]
	v_cmp_nlt_f32_e64 s[4:5], s62, v14
	v_ldexp_f32 v3, v3, v5
	v_cmp_ngt_f32_e32 vcc, s63, v2
	v_cndmask_b32_e64 v4, v191, v4, s[4:5]
	v_cmp_le_f32_e64 s[4:5], s94, v14
	v_cndmask_b32_e32 v3, 0, v3, vcc
	v_cmp_nlt_f32_e32 vcc, s62, v2
	v_cndmask_b32_e64 v37, 0, v4, s[4:5]
	v_cvt_f16_f32_e32 v4, v37
	v_cndmask_b32_e32 v211, v191, v3, vcc
	v_cvt_pk_f16_f32 v26, v18, v19
	v_cvt_pk_f16_f32 v23, v209, v211
	v_mul_u32_u24_e32 v210, 0x10001, v4
	v_pk_mul_f16 v3, v218, v210
	v_pk_mul_f16 v5, v217, v210
	v_cvt_f32_f16_e32 v2, v3
	v_cvt_f32_f16_sdwa v3, v3 dst_sel:DWORD dst_unused:UNUSED_PAD src0_sel:WORD_1
	v_cvt_f32_f16_e32 v4, v5
	v_cvt_f32_f16_sdwa v5, v5 dst_sel:DWORD dst_unused:UNUSED_PAD src0_sel:WORD_1
	v_pk_mul_f16 v14, v29, v210
	v_pk_mul_f16 v9, v28, v210
	v_mfma_f32_16x16x16_f16 v[2:5], v[6:7], v[30:31], v[2:5]
	ds_read_u16 v6, v122 offset:3328
	ds_read_u16 v7, v36 offset:3328
	;; [unrolled: 1-line block ×4, first 2 shown]
	v_cvt_pk_f16_f32 v29, v113, v114
	v_cvt_pk_f16_f32 v28, v111, v112
	s_nop 1
	v_cvt_f16_f32_e32 v2, v2
	v_cvt_f16_f32_e32 v3, v3
	;; [unrolled: 1-line block ×4, first 2 shown]
	s_waitcnt lgkmcnt(1)
	v_perm_b32 v7, v8, v7, s34
	s_waitcnt lgkmcnt(0)
	v_perm_b32 v6, v10, v6, s34
	v_cvt_f32_f16_e32 v2, v2
	v_cvt_f32_f16_e32 v3, v3
	;; [unrolled: 1-line block ×4, first 2 shown]
	ds_read_u16 v10, v36 offset:32
	v_cvt_pk_f16_f32 v22, v115, v208
	v_mfma_f32_16x16x16_f16 v[2:5], v[6:7], v[28:29], v[2:5]
	ds_read_u16 v6, v122 offset:6656
	ds_read_u16 v7, v36 offset:6656
	;; [unrolled: 1-line block ×4, first 2 shown]
	v_pk_mul_f16 v118, v118, v210
	v_pk_mul_f16 v119, v119, v210
	s_nop 1
	v_cvt_f16_f32_e32 v2, v2
	v_cvt_f16_f32_e32 v3, v3
	;; [unrolled: 1-line block ×4, first 2 shown]
	s_waitcnt lgkmcnt(1)
	v_perm_b32 v7, v8, v7, s34
	s_waitcnt lgkmcnt(0)
	v_perm_b32 v6, v11, v6, s34
	v_cvt_f32_f16_e32 v2, v2
	v_cvt_f32_f16_e32 v3, v3
	;; [unrolled: 1-line block ×4, first 2 shown]
	ds_read_u16 v11, v35 offset:32
	v_cvt_f32_f16_e32 v214, v119
	v_mfma_f32_16x16x16_f16 v[2:5], v[6:7], v[26:27], v[2:5]
	ds_read_u16 v6, v122 offset:9984
	ds_read_u16 v7, v36 offset:9984
	;; [unrolled: 1-line block ×5, first 2 shown]
	s_waitcnt lgkmcnt(5)
	v_perm_b32 v11, v11, v10, s34
	s_nop 0
	v_cvt_f16_f32_e32 v2, v2
	v_cvt_f16_f32_e32 v3, v3
	v_cvt_f16_f32_e32 v4, v4
	v_cvt_f16_f32_e32 v5, v5
	s_waitcnt lgkmcnt(1)
	v_perm_b32 v6, v12, v6, s34
	ds_read_u16 v12, v122 offset:32
	v_perm_b32 v7, v8, v7, s34
	v_cvt_f32_f16_e32 v2, v2
	v_cvt_f32_f16_e32 v3, v3
	;; [unrolled: 1-line block ×4, first 2 shown]
	s_waitcnt lgkmcnt(0)
	v_perm_b32 v10, v13, v12, s34
	v_cvt_f32_f16_e32 v8, v9
	v_mfma_f32_16x16x16_f16 v[2:5], v[6:7], v[22:23], v[2:5]
	v_cvt_f32_f16_e32 v6, v14
	v_cvt_f32_f16_sdwa v7, v14 dst_sel:DWORD dst_unused:UNUSED_PAD src0_sel:WORD_1
	v_cvt_f32_f16_sdwa v9, v9 dst_sel:DWORD dst_unused:UNUSED_PAD src0_sel:WORD_1
	v_add_f32_e32 v16, v16, v17
	v_add_f32_e32 v16, v21, v16
	v_mfma_f32_16x16x16_f16 v[6:9], v[10:11], v[30:31], v[6:9]
	ds_read_u16 v10, v122 offset:3360
	ds_read_u16 v11, v36 offset:3360
	ds_read_u16 v12, v35 offset:3360
	ds_read_u16 v13, v122 offset:3568
	v_add_f32_e32 v21, v110, v16
	v_add_f32_e32 v21, v111, v21
	s_nop 1
	v_cvt_f16_f32_e32 v6, v6
	v_cvt_f16_f32_e32 v7, v7
	;; [unrolled: 1-line block ×4, first 2 shown]
	s_waitcnt lgkmcnt(1)
	v_perm_b32 v11, v12, v11, s34
	s_waitcnt lgkmcnt(0)
	v_perm_b32 v10, v13, v10, s34
	v_cvt_f32_f16_e32 v6, v6
	v_cvt_f32_f16_e32 v7, v7
	;; [unrolled: 1-line block ×4, first 2 shown]
	v_add_f32_e32 v21, v112, v21
	v_add_f32_e32 v21, v113, v21
	v_mfma_f32_16x16x16_f16 v[6:9], v[10:11], v[28:29], v[6:9]
	ds_read_u16 v10, v122 offset:6688
	ds_read_u16 v11, v36 offset:6688
	ds_read_u16 v12, v35 offset:6688
	ds_read_u16 v13, v122 offset:6896
	v_add_f32_e32 v21, v114, v21
	v_add_f32_e32 v18, v18, v21
	s_nop 1
	v_cvt_f16_f32_e32 v6, v6
	v_cvt_f16_f32_e32 v7, v7
	;; [unrolled: 1-line block ×4, first 2 shown]
	s_waitcnt lgkmcnt(1)
	v_perm_b32 v11, v12, v11, s34
	s_waitcnt lgkmcnt(0)
	v_perm_b32 v10, v13, v10, s34
	v_cvt_f32_f16_e32 v6, v6
	v_cvt_f32_f16_e32 v7, v7
	;; [unrolled: 1-line block ×4, first 2 shown]
	v_add_f32_e32 v18, v19, v18
	v_pk_mul_f16 v33, v33, v210
	v_mfma_f32_16x16x16_f16 v[6:9], v[10:11], v[26:27], v[6:9]
	ds_read_u16 v10, v122 offset:10016
	ds_read_u16 v11, v36 offset:10016
	;; [unrolled: 1-line block ×8, first 2 shown]
	v_cvt_f16_f32_e32 v4, v4
	v_cvt_f16_f32_e32 v6, v6
	;; [unrolled: 1-line block ×5, first 2 shown]
	s_waitcnt lgkmcnt(5)
	v_perm_b32 v11, v12, v11, s34
	s_waitcnt lgkmcnt(4)
	v_perm_b32 v10, v13, v10, s34
	v_cvt_f32_f16_e32 v6, v6
	v_cvt_f32_f16_e32 v7, v7
	v_cvt_f32_f16_e32 v8, v8
	v_cvt_f32_f16_e32 v9, v9
	v_pk_mul_f16 v12, v216, v210
	v_pk_mul_f16 v13, v215, v210
	s_waitcnt lgkmcnt(1)
	v_perm_b32 v15, v212, v15, s34
	s_waitcnt lgkmcnt(0)
	v_perm_b32 v14, v213, v14, s34
	v_mfma_f32_16x16x16_f16 v[6:9], v[10:11], v[22:23], v[6:9]
	v_cvt_f32_f16_e32 v10, v12
	v_cvt_f32_f16_sdwa v11, v12 dst_sel:DWORD dst_unused:UNUSED_PAD src0_sel:WORD_1
	v_cvt_f32_f16_e32 v12, v13
	v_cvt_f32_f16_sdwa v13, v13 dst_sel:DWORD dst_unused:UNUSED_PAD src0_sel:WORD_1
	v_cvt_f16_f32_e32 v5, v5
	v_cmp_eq_u64_e32 vcc, 0, v[92:93]
	v_mfma_f32_16x16x16_f16 v[10:13], v[14:15], v[30:31], v[10:13]
	ds_read_u16 v14, v122 offset:3392
	ds_read_u16 v15, v36 offset:3392
	;; [unrolled: 1-line block ×4, first 2 shown]
	v_perm_b32 v4, v5, v4, s34
	v_cvt_f16_f32_e32 v5, v8
	s_nop 1
	v_cvt_f16_f32_e32 v10, v10
	v_cvt_f16_f32_e32 v11, v11
	;; [unrolled: 1-line block ×4, first 2 shown]
	s_waitcnt lgkmcnt(1)
	v_perm_b32 v15, v212, v15, s34
	s_waitcnt lgkmcnt(0)
	v_perm_b32 v14, v213, v14, s34
	v_cvt_f32_f16_e32 v10, v10
	v_cvt_f32_f16_e32 v11, v11
	;; [unrolled: 1-line block ×4, first 2 shown]
	s_and_b64 vcc, exec, vcc
	s_nop 0
	v_mfma_f32_16x16x16_f16 v[10:13], v[14:15], v[28:29], v[10:13]
	ds_read_u16 v14, v122 offset:6720
	ds_read_u16 v15, v36 offset:6720
	;; [unrolled: 1-line block ×4, first 2 shown]
	s_nop 3
	v_cvt_f16_f32_e32 v10, v10
	v_cvt_f16_f32_e32 v11, v11
	;; [unrolled: 1-line block ×4, first 2 shown]
	s_waitcnt lgkmcnt(1)
	v_perm_b32 v15, v212, v15, s34
	s_waitcnt lgkmcnt(0)
	v_perm_b32 v14, v213, v14, s34
	v_cvt_f32_f16_e32 v10, v10
	v_cvt_f32_f16_e32 v11, v11
	;; [unrolled: 1-line block ×4, first 2 shown]
	s_nop 1
	v_mfma_f32_16x16x16_f16 v[10:13], v[14:15], v[26:27], v[10:13]
	ds_read_u16 v14, v122 offset:10048
	ds_read_u16 v15, v36 offset:10048
	;; [unrolled: 1-line block ×4, first 2 shown]
	s_nop 3
	v_cvt_f16_f32_e32 v10, v10
	v_cvt_f16_f32_e32 v11, v11
	v_cvt_f16_f32_e32 v12, v12
	v_cvt_f16_f32_e32 v13, v13
	s_waitcnt lgkmcnt(1)
	v_perm_b32 v15, v212, v15, s34
	s_waitcnt lgkmcnt(0)
	v_perm_b32 v14, v213, v14, s34
	v_cvt_f32_f16_e32 v10, v10
	v_cvt_f32_f16_e32 v11, v11
	;; [unrolled: 1-line block ×5, first 2 shown]
	v_cvt_f32_f16_sdwa v213, v118 dst_sel:DWORD dst_unused:UNUSED_PAD src0_sel:WORD_1
	v_mfma_f32_16x16x16_f16 v[10:13], v[14:15], v[22:23], v[10:13]
	ds_read_u16 v14, v122 offset:96
	ds_read_u16 v15, v36 offset:96
	;; [unrolled: 1-line block ×4, first 2 shown]
	s_waitcnt lgkmcnt(1)
	v_perm_b32 v15, v215, v15, s34
	s_waitcnt lgkmcnt(0)
	v_perm_b32 v14, v216, v14, s34
	v_cvt_f32_f16_sdwa v215, v119 dst_sel:DWORD dst_unused:UNUSED_PAD src0_sel:WORD_1
	s_nop 1
	v_mfma_f32_16x16x16_f16 v[212:215], v[14:15], v[30:31], v[212:215]
	s_nop 7
	v_cvt_f16_f32_e32 v119, v215
	ds_read_u16 v215, v122 offset:3424
	ds_read_u16 v216, v36 offset:3424
	;; [unrolled: 1-line block ×4, first 2 shown]
	v_cvt_f16_f32_e32 v14, v212
	v_cvt_f16_f32_e32 v15, v213
	v_cvt_f16_f32_e32 v118, v214
	v_cvt_f32_f16_e32 v212, v14
	v_cvt_f32_f16_e32 v213, v15
	s_waitcnt lgkmcnt(1)
	v_perm_b32 v15, v217, v216, s34
	s_waitcnt lgkmcnt(0)
	v_perm_b32 v14, v218, v215, s34
	v_cvt_f32_f16_e32 v214, v118
	v_cvt_f32_f16_e32 v215, v119
	s_nop 1
	v_mfma_f32_16x16x16_f16 v[14:17], v[14:15], v[28:29], v[212:215]
	ds_read_u16 v110, v122 offset:6752
	ds_read_u16 v118, v36 offset:6752
	;; [unrolled: 1-line block ×4, first 2 shown]
	s_nop 3
	v_cvt_f16_f32_e32 v14, v14
	v_cvt_f16_f32_e32 v15, v15
	;; [unrolled: 1-line block ×4, first 2 shown]
	s_waitcnt lgkmcnt(1)
	v_perm_b32 v119, v119, v118, s34
	s_waitcnt lgkmcnt(0)
	v_perm_b32 v118, v212, v110, s34
	v_cvt_f32_f16_e32 v14, v14
	v_cvt_f32_f16_e32 v15, v15
	;; [unrolled: 1-line block ×4, first 2 shown]
	ds_read_u16 v110, v122 offset:10080
	ds_read_u16 v111, v36 offset:10080
	;; [unrolled: 1-line block ×4, first 2 shown]
	v_mfma_f32_16x16x16_f16 v[14:17], v[118:119], v[26:27], v[14:17]
	s_waitcnt lgkmcnt(1)
	v_perm_b32 v111, v112, v111, s34
	s_waitcnt lgkmcnt(0)
	v_perm_b32 v110, v113, v110, s34
	v_pk_mul_f16 v112, v117, v210
	s_nop 2
	v_cvt_f16_f32_e32 v14, v14
	v_cvt_f16_f32_e32 v15, v15
	;; [unrolled: 1-line block ×4, first 2 shown]
	v_pk_mul_f16 v113, v116, v210
	ds_read_u16 v114, v122 offset:128
	ds_read_u16 v116, v36 offset:128
	;; [unrolled: 1-line block ×4, first 2 shown]
	v_cvt_f32_f16_e32 v14, v14
	v_cvt_f32_f16_e32 v15, v15
	;; [unrolled: 1-line block ×4, first 2 shown]
	s_waitcnt lgkmcnt(1)
	v_perm_b32 v117, v117, v116, s34
	s_waitcnt lgkmcnt(0)
	v_perm_b32 v116, v118, v114, s34
	v_mfma_f32_16x16x16_f16 v[14:17], v[110:111], v[22:23], v[14:17]
	v_cvt_f32_f16_e32 v110, v112
	v_cvt_f32_f16_sdwa v111, v112 dst_sel:DWORD dst_unused:UNUSED_PAD src0_sel:WORD_1
	v_cvt_f32_f16_e32 v112, v113
	v_cvt_f32_f16_sdwa v113, v113 dst_sel:DWORD dst_unused:UNUSED_PAD src0_sel:WORD_1
	v_add_f32_e32 v114, v20, v18
	v_add_f32_e32 v58, v58, v114
	v_mfma_f32_16x16x16_f16 v[18:21], v[116:117], v[30:31], v[110:113]
	s_nop 2
	ds_read_u16 v110, v122 offset:3456
	ds_read_u16 v111, v36 offset:3456
	;; [unrolled: 1-line block ×4, first 2 shown]
	v_add_f32_e32 v58, v115, v58
	v_add_f32_e32 v58, v208, v58
	v_cvt_f16_f32_e32 v18, v18
	v_cvt_f16_f32_e32 v19, v19
	;; [unrolled: 1-line block ×4, first 2 shown]
	s_waitcnt lgkmcnt(1)
	v_perm_b32 v111, v112, v111, s34
	s_waitcnt lgkmcnt(0)
	v_perm_b32 v110, v113, v110, s34
	v_cvt_f32_f16_e32 v18, v18
	v_cvt_f32_f16_e32 v19, v19
	;; [unrolled: 1-line block ×4, first 2 shown]
	v_add_f32_e32 v58, v209, v58
	v_add_f32_e32 v58, v211, v58
	v_mfma_f32_16x16x16_f16 v[18:21], v[110:111], v[28:29], v[18:21]
	ds_read_u16 v110, v122 offset:6784
	ds_read_u16 v111, v36 offset:6784
	;; [unrolled: 1-line block ×4, first 2 shown]
	v_fmac_f32_e32 v58, v207, v37
	s_nop 2
	v_cvt_f16_f32_e32 v18, v18
	v_cvt_f16_f32_e32 v19, v19
	;; [unrolled: 1-line block ×4, first 2 shown]
	s_waitcnt lgkmcnt(1)
	v_perm_b32 v111, v112, v111, s34
	s_waitcnt lgkmcnt(0)
	v_perm_b32 v110, v113, v110, s34
	v_cvt_f32_f16_e32 v18, v18
	v_cvt_f32_f16_e32 v19, v19
	;; [unrolled: 1-line block ×4, first 2 shown]
	s_nop 1
	v_mfma_f32_16x16x16_f16 v[18:21], v[110:111], v[26:27], v[18:21]
	ds_read_u16 v110, v122 offset:10112
	ds_read_u16 v111, v36 offset:10112
	;; [unrolled: 1-line block ×4, first 2 shown]
	s_nop 3
	v_cvt_f16_f32_e32 v18, v18
	v_cvt_f16_f32_e32 v19, v19
	v_cvt_f16_f32_e32 v20, v20
	v_cvt_f16_f32_e32 v21, v21
	s_waitcnt lgkmcnt(1)
	v_perm_b32 v111, v112, v111, s34
	s_waitcnt lgkmcnt(0)
	v_perm_b32 v110, v113, v110, s34
	v_pk_mul_f16 v113, v32, v210
	ds_read_u16 v32, v122 offset:160
	ds_read_u16 v114, v36 offset:160
	;; [unrolled: 1-line block ×4, first 2 shown]
	v_cvt_f32_f16_e32 v18, v18
	v_cvt_f32_f16_e32 v19, v19
	;; [unrolled: 1-line block ×4, first 2 shown]
	s_waitcnt lgkmcnt(0)
	v_perm_b32 v32, v116, v32, s34
	v_cvt_f32_f16_e32 v112, v113
	v_mfma_f32_16x16x16_f16 v[18:21], v[110:111], v[22:23], v[18:21]
	v_cvt_f32_f16_e32 v110, v33
	v_cvt_f32_f16_sdwa v111, v33 dst_sel:DWORD dst_unused:UNUSED_PAD src0_sel:WORD_1
	v_perm_b32 v33, v115, v114, s34
	v_cvt_f32_f16_sdwa v113, v113 dst_sel:DWORD dst_unused:UNUSED_PAD src0_sel:WORD_1
	s_nop 1
	v_mfma_f32_16x16x16_f16 v[30:33], v[32:33], v[30:31], v[110:113]
	ds_read_u16 v37, v122 offset:3488
	s_nop 1
	ds_read_u16 v110, v36 offset:3488
	ds_read_u16 v111, v35 offset:3488
	;; [unrolled: 1-line block ×3, first 2 shown]
	s_nop 1
	v_cvt_f16_f32_e32 v8, v30
	v_cvt_f16_f32_e32 v31, v31
	;; [unrolled: 1-line block ×4, first 2 shown]
	s_waitcnt lgkmcnt(1)
	v_perm_b32 v111, v111, v110, s34
	s_waitcnt lgkmcnt(0)
	v_perm_b32 v110, v112, v37, s34
	v_cvt_f32_f16_e32 v30, v8
	v_cvt_f32_f16_e32 v31, v31
	;; [unrolled: 1-line block ×4, first 2 shown]
	v_cvt_f16_f32_e32 v8, v9
	v_cvt_f16_f32_e32 v9, v12
	v_mfma_f32_16x16x16_f16 v[28:31], v[110:111], v[28:29], v[30:33]
	s_nop 2
	ds_read_u16 v32, v122 offset:6816
	ds_read_u16 v33, v36 offset:6816
	;; [unrolled: 1-line block ×4, first 2 shown]
	v_cvt_f16_f32_e32 v37, v13
	v_perm_b32 v8, v8, v5, s34
	v_cvt_f16_f32_e32 v12, v28
	v_cvt_f16_f32_e32 v13, v29
	;; [unrolled: 1-line block ×4, first 2 shown]
	v_cvt_f32_f16_e32 v28, v12
	v_cvt_f32_f16_e32 v29, v13
	s_waitcnt lgkmcnt(1)
	v_perm_b32 v13, v110, v33, s34
	s_waitcnt lgkmcnt(0)
	v_perm_b32 v12, v111, v32, s34
	v_cvt_f32_f16_e32 v30, v30
	v_cvt_f32_f16_e32 v31, v31
	v_perm_b32 v5, v37, v9, s34
	v_cvt_f16_f32_e32 v9, v16
	v_mfma_f32_16x16x16_f16 v[26:29], v[12:13], v[26:27], v[28:31]
	s_nop 7
	v_cvt_f16_f32_e32 v16, v26
	v_cvt_f16_f32_e32 v26, v27
	;; [unrolled: 1-line block ×4, first 2 shown]
	ds_read_u16 v13, v122 offset:10144
	ds_read_u16 v28, v36 offset:10144
	;; [unrolled: 1-line block ×4, first 2 shown]
	v_cvt_f32_f16_e32 v111, v26
	v_cvt_f32_f16_e32 v112, v27
	;; [unrolled: 1-line block ×3, first 2 shown]
	s_waitcnt lgkmcnt(1)
	v_perm_b32 v27, v29, v28, s34
	s_waitcnt lgkmcnt(0)
	v_perm_b32 v26, v30, v13, s34
	v_cvt_f32_f16_e32 v113, v12
	v_cvt_f16_f32_e32 v13, v20
	v_cvt_f16_f32_e32 v16, v21
	v_mfma_f32_16x16x16_f16 v[20:23], v[26:27], v[22:23], v[110:113]
	v_cvt_f16_f32_e32 v12, v17
	s_barrier
	s_nop 5
	v_cvt_f16_f32_e32 v17, v22
	v_cvt_f16_f32_e32 v22, v23
	ds_bpermute_b32 v23, v34, v58
	v_perm_b32 v9, v12, v9, s34
	v_perm_b32 v12, v16, v13, s34
	;; [unrolled: 1-line block ×3, first 2 shown]
	s_waitcnt lgkmcnt(0)
	v_add_f32_e32 v16, v58, v23
	ds_bpermute_b32 v17, v25, v16
	s_waitcnt lgkmcnt(0)
	v_add_f32_e32 v25, v16, v17
	s_cbranch_vccnz .LBB14_72
; %bb.71:                               ;   in Loop: Header=BB14_12 Depth=1
	v_lshlrev_b32_e32 v16, 2, v62
	v_readfirstlane_b32 s4, v92
	v_readfirstlane_b32 s5, v93
	v_cvt_pk_f16_f32 v2, v2, v3
	v_cvt_pk_f16_f32 v3, v6, v7
	v_max_f32_e32 v6, v24, v24
	v_cvt_pk_f16_f32 v10, v10, v11
	v_cvt_pk_f16_f32 v11, v14, v15
	global_load_dword v16, v16, s[4:5]
	s_waitcnt vmcnt(0)
	v_max_f32_e32 v7, v16, v16
	v_max_f32_e32 v14, v6, v7
	v_sub_f32_e32 v6, v24, v14
	v_sub_f32_e32 v7, v16, v14
	v_mul_f32_e32 v15, 0x3fb8aa3b, v6
	v_mul_f32_e32 v16, 0x3fb8aa3b, v7
	v_fma_f32 v17, v6, s11, -v15
	v_rndne_f32_e32 v22, v15
	v_fma_f32 v23, v7, s11, -v16
	v_rndne_f32_e32 v24, v16
	v_fmac_f32_e32 v17, 0x32a5705f, v6
	v_sub_f32_e32 v15, v15, v22
	v_fmac_f32_e32 v23, 0x32a5705f, v7
	v_sub_f32_e32 v16, v16, v24
	v_add_f32_e32 v15, v15, v17
	v_cvt_i32_f32_e32 v22, v22
	v_add_f32_e32 v16, v16, v23
	v_exp_f32_e32 v15, v15
	v_cvt_i32_f32_e32 v24, v24
	v_exp_f32_e32 v16, v16
	v_cmp_ngt_f32_e32 vcc, s63, v6
	v_ldexp_f32 v15, v15, v22
	v_cvt_pk_f16_f32 v17, v18, v19
	v_ldexp_f32 v16, v16, v24
	v_cndmask_b32_e32 v15, 0, v15, vcc
	v_cmp_ngt_f32_e32 vcc, s63, v7
	v_cvt_pk_f16_f32 v18, v20, v21
	s_nop 0
	v_cndmask_b32_e32 v16, 0, v16, vcc
	v_cmp_nlt_f32_e32 vcc, s62, v6
	s_nop 1
	v_cndmask_b32_e32 v15, v191, v15, vcc
	v_cmp_le_f32_e32 vcc, s94, v6
	s_nop 1
	v_cndmask_b32_e32 v6, 0, v15, vcc
	v_cvt_f16_f32_e32 v19, v6
	v_cmp_nlt_f32_e32 vcc, s62, v7
	s_nop 1
	v_cndmask_b32_e32 v15, v191, v16, vcc
	v_fmac_f32_e32 v15, v25, v6
	v_mul_u32_u24_e32 v16, 0x10001, v19
	v_pk_mul_f16 v7, v2, v16
	v_pk_mul_f16 v4, v4, v16
	;; [unrolled: 1-line block ×12, first 2 shown]
	v_mov_b64_e32 v[24:25], v[14:15]
	s_branch .LBB14_73
.LBB14_72:                              ;   in Loop: Header=BB14_12 Depth=1
	v_cvt_f16_f32_e32 v16, v2
	v_cvt_f16_f32_e32 v17, v3
	;; [unrolled: 1-line block ×12, first 2 shown]
	v_perm_b32 v2, v11, v2, s34
	v_perm_b32 v3, v10, v3, s34
	;; [unrolled: 1-line block ×6, first 2 shown]
.LBB14_73:                              ;   in Loop: Header=BB14_12 Depth=1
	s_barrier
	s_and_saveexec_b64 s[4:5], s[0:1]
	s_cbranch_execz .LBB14_75
; %bb.74:                               ;   in Loop: Header=BB14_12 Depth=1
	global_store_dwordx2 v[64:65], v[24:25], off
.LBB14_75:                              ;   in Loop: Header=BB14_12 Depth=1
	s_or_b64 exec, exec, s[4:5]
	v_add_u32_e32 v14, v77, v141
	v_cmp_gt_i32_e64 s[4:5], s8, v192
	v_cmp_gt_i32_e64 s[6:7], s33, v195
	ds_write2_b32 v14, v7, v4 offset1:1
	ds_write2_b32 v14, v6, v8 offset0:8 offset1:9
	ds_write2_b32 v14, v3, v5 offset0:16 offset1:17
	;; [unrolled: 1-line block ×5, first 2 shown]
	v_cmp_le_i32_e32 vcc, s33, v195
	s_and_b64 s[6:7], s[4:5], s[6:7]
	v_mov_b32_e32 v2, 50
	s_waitcnt lgkmcnt(0)
	s_barrier
	s_and_saveexec_b64 s[4:5], s[6:7]
	s_cbranch_execz .LBB14_77
; %bb.76:                               ;   in Loop: Header=BB14_12 Depth=1
	v_add_u32_e32 v2, v153, v171
	ds_read_b32 v5, v2
	v_mad_u64_u32 v[2:3], s[6:7], v192, s9, v[78:79]
	v_mad_u64_u32 v[2:3], s[6:7], v2, 48, v[40:41]
	s_waitcnt lgkmcnt(0)
	v_cvt_f32_f16_e32 v4, v5
	v_cvt_f32_f16_sdwa v5, v5 dst_sel:DWORD dst_unused:UNUSED_PAD src0_sel:WORD_1
	v_ashrrev_i32_e32 v3, 31, v2
	v_lshl_add_u64 v[2:3], v[2:3], 3, v[90:91]
	v_pk_add_f32 v[4:5], v[4:5], 0 op_sel_hi:[1,0]
	global_store_dwordx2 v[2:3], v[4:5], off
	v_mov_b32_e32 v2, 0
.LBB14_77:                              ;   in Loop: Header=BB14_12 Depth=1
	s_or_b64 exec, exec, s[4:5]
	v_cmp_gt_i32_e64 s[4:5], 50, v2
	s_mov_b64 s[70:71], -1
	s_and_saveexec_b64 s[6:7], s[4:5]
; %bb.78:                               ;   in Loop: Header=BB14_12 Depth=1
	v_cmp_eq_u32_e64 s[4:5], 0, v2
	s_orn2_b64 s[70:71], s[4:5], exec
; %bb.79:                               ;   in Loop: Header=BB14_12 Depth=1
	s_or_b64 exec, exec, s[6:7]
	s_and_saveexec_b64 s[6:7], s[70:71]
	s_cbranch_execz .LBB14_112
; %bb.80:                               ;   in Loop: Header=BB14_12 Depth=1
	v_cmp_gt_i32_e64 s[4:5], s8, v206
	s_xor_b64 s[70:71], vcc, -1
	s_and_b64 s[60:61], s[4:5], s[70:71]
	v_mov_b32_e32 v2, 50
	s_and_saveexec_b64 s[4:5], s[60:61]
	s_cbranch_execz .LBB14_82
; %bb.81:                               ;   in Loop: Header=BB14_12 Depth=1
	v_add_u32_e32 v2, v153, v171
	ds_read_b32 v5, v2 offset:1664
	v_mad_u64_u32 v[2:3], s[60:61], v206, s9, v[78:79]
	v_mad_u64_u32 v[2:3], s[60:61], v2, 48, v[40:41]
	s_waitcnt lgkmcnt(0)
	v_cvt_f32_f16_e32 v4, v5
	v_cvt_f32_f16_sdwa v5, v5 dst_sel:DWORD dst_unused:UNUSED_PAD src0_sel:WORD_1
	v_ashrrev_i32_e32 v3, 31, v2
	v_lshl_add_u64 v[2:3], v[2:3], 3, v[90:91]
	v_pk_add_f32 v[4:5], v[4:5], 0 op_sel_hi:[1,0]
	global_store_dwordx2 v[2:3], v[4:5], off
	v_mov_b32_e32 v2, 0
.LBB14_82:                              ;   in Loop: Header=BB14_12 Depth=1
	s_or_b64 exec, exec, s[4:5]
	v_cmp_gt_i32_e32 vcc, 50, v2
	s_mov_b64 s[4:5], -1
	s_and_saveexec_b64 s[72:73], vcc
; %bb.83:                               ;   in Loop: Header=BB14_12 Depth=1
	v_cmp_eq_u32_e32 vcc, 0, v2
	s_orn2_b64 s[4:5], vcc, exec
; %bb.84:                               ;   in Loop: Header=BB14_12 Depth=1
	s_or_b64 exec, exec, s[72:73]
	s_and_b64 exec, exec, s[4:5]
	s_cbranch_execz .LBB14_112
; %bb.85:                               ;   in Loop: Header=BB14_12 Depth=1
	v_cmp_gt_i32_e32 vcc, s8, v205
	s_and_b64 s[60:61], vcc, s[70:71]
	v_mov_b32_e32 v2, 50
	s_and_saveexec_b64 s[4:5], s[60:61]
	s_cbranch_execz .LBB14_87
; %bb.86:                               ;   in Loop: Header=BB14_12 Depth=1
	ds_read_b32 v5, v154
	v_mad_u64_u32 v[2:3], s[60:61], v205, s9, v[78:79]
	v_mad_u64_u32 v[2:3], s[60:61], v2, 48, v[40:41]
	s_waitcnt lgkmcnt(0)
	v_cvt_f32_f16_e32 v4, v5
	v_cvt_f32_f16_sdwa v5, v5 dst_sel:DWORD dst_unused:UNUSED_PAD src0_sel:WORD_1
	v_ashrrev_i32_e32 v3, 31, v2
	v_lshl_add_u64 v[2:3], v[2:3], 3, v[90:91]
	v_pk_add_f32 v[4:5], v[4:5], 0 op_sel_hi:[1,0]
	global_store_dwordx2 v[2:3], v[4:5], off
	v_mov_b32_e32 v2, 0
.LBB14_87:                              ;   in Loop: Header=BB14_12 Depth=1
	s_or_b64 exec, exec, s[4:5]
	v_cmp_gt_i32_e32 vcc, 50, v2
	s_mov_b64 s[4:5], -1
	s_and_saveexec_b64 s[72:73], vcc
; %bb.88:                               ;   in Loop: Header=BB14_12 Depth=1
	v_cmp_eq_u32_e32 vcc, 0, v2
	s_orn2_b64 s[4:5], vcc, exec
; %bb.89:                               ;   in Loop: Header=BB14_12 Depth=1
	s_or_b64 exec, exec, s[72:73]
	s_and_b64 exec, exec, s[4:5]
	s_cbranch_execz .LBB14_112
; %bb.90:                               ;   in Loop: Header=BB14_12 Depth=1
	v_cmp_gt_i32_e32 vcc, s8, v204
	s_and_b64 s[60:61], vcc, s[70:71]
	v_mov_b32_e32 v2, 50
	s_and_saveexec_b64 s[4:5], s[60:61]
	s_cbranch_execz .LBB14_92
; %bb.91:                               ;   in Loop: Header=BB14_12 Depth=1
	v_add_u32_e32 v2, v153, v171
	ds_read_b32 v5, v2 offset:4992
	v_mad_u64_u32 v[2:3], s[60:61], v204, s9, v[78:79]
	v_mad_u64_u32 v[2:3], s[60:61], v2, 48, v[40:41]
	s_waitcnt lgkmcnt(0)
	v_cvt_f32_f16_e32 v4, v5
	v_cvt_f32_f16_sdwa v5, v5 dst_sel:DWORD dst_unused:UNUSED_PAD src0_sel:WORD_1
	v_ashrrev_i32_e32 v3, 31, v2
	v_lshl_add_u64 v[2:3], v[2:3], 3, v[90:91]
	v_pk_add_f32 v[4:5], v[4:5], 0 op_sel_hi:[1,0]
	global_store_dwordx2 v[2:3], v[4:5], off
	v_mov_b32_e32 v2, 0
.LBB14_92:                              ;   in Loop: Header=BB14_12 Depth=1
	s_or_b64 exec, exec, s[4:5]
	v_cmp_gt_i32_e32 vcc, 50, v2
	s_mov_b64 s[4:5], -1
	s_and_saveexec_b64 s[72:73], vcc
; %bb.93:                               ;   in Loop: Header=BB14_12 Depth=1
	v_cmp_eq_u32_e32 vcc, 0, v2
	s_orn2_b64 s[4:5], vcc, exec
; %bb.94:                               ;   in Loop: Header=BB14_12 Depth=1
	s_or_b64 exec, exec, s[72:73]
	s_and_b64 exec, exec, s[4:5]
	s_cbranch_execz .LBB14_112
; %bb.95:                               ;   in Loop: Header=BB14_12 Depth=1
	v_cmp_gt_i32_e32 vcc, s8, v203
	s_and_b64 s[60:61], vcc, s[70:71]
	v_mov_b32_e32 v2, 50
	s_and_saveexec_b64 s[4:5], s[60:61]
	s_cbranch_execz .LBB14_97
; %bb.96:                               ;   in Loop: Header=BB14_12 Depth=1
	ds_read_b32 v5, v155
	v_mad_u64_u32 v[2:3], s[60:61], v203, s9, v[78:79]
	v_mad_u64_u32 v[2:3], s[60:61], v2, 48, v[40:41]
	s_waitcnt lgkmcnt(0)
	v_cvt_f32_f16_e32 v4, v5
	v_cvt_f32_f16_sdwa v5, v5 dst_sel:DWORD dst_unused:UNUSED_PAD src0_sel:WORD_1
	v_ashrrev_i32_e32 v3, 31, v2
	v_lshl_add_u64 v[2:3], v[2:3], 3, v[90:91]
	v_pk_add_f32 v[4:5], v[4:5], 0 op_sel_hi:[1,0]
	global_store_dwordx2 v[2:3], v[4:5], off
	v_mov_b32_e32 v2, 0
.LBB14_97:                              ;   in Loop: Header=BB14_12 Depth=1
	s_or_b64 exec, exec, s[4:5]
	v_cmp_gt_i32_e32 vcc, 50, v2
	s_mov_b64 s[4:5], -1
	s_and_saveexec_b64 s[72:73], vcc
; %bb.98:                               ;   in Loop: Header=BB14_12 Depth=1
	v_cmp_eq_u32_e32 vcc, 0, v2
	s_orn2_b64 s[4:5], vcc, exec
; %bb.99:                               ;   in Loop: Header=BB14_12 Depth=1
	s_or_b64 exec, exec, s[72:73]
	s_and_b64 exec, exec, s[4:5]
	s_cbranch_execz .LBB14_112
; %bb.100:                              ;   in Loop: Header=BB14_12 Depth=1
	v_cmp_gt_i32_e32 vcc, s8, v202
	s_and_b64 s[60:61], vcc, s[70:71]
	v_mov_b32_e32 v2, 50
	s_and_saveexec_b64 s[4:5], s[60:61]
	s_cbranch_execz .LBB14_102
; %bb.101:                              ;   in Loop: Header=BB14_12 Depth=1
	v_add_u32_e32 v2, v153, v171
	ds_read_b32 v5, v2 offset:8320
	v_mad_u64_u32 v[2:3], s[60:61], v202, s9, v[78:79]
	v_mad_u64_u32 v[2:3], s[60:61], v2, 48, v[40:41]
	s_waitcnt lgkmcnt(0)
	v_cvt_f32_f16_e32 v4, v5
	v_cvt_f32_f16_sdwa v5, v5 dst_sel:DWORD dst_unused:UNUSED_PAD src0_sel:WORD_1
	v_ashrrev_i32_e32 v3, 31, v2
	v_lshl_add_u64 v[2:3], v[2:3], 3, v[90:91]
	v_pk_add_f32 v[4:5], v[4:5], 0 op_sel_hi:[1,0]
	global_store_dwordx2 v[2:3], v[4:5], off
	v_mov_b32_e32 v2, 0
.LBB14_102:                             ;   in Loop: Header=BB14_12 Depth=1
	s_or_b64 exec, exec, s[4:5]
	v_cmp_gt_i32_e32 vcc, 50, v2
	s_mov_b64 s[4:5], -1
	s_and_saveexec_b64 s[72:73], vcc
; %bb.103:                              ;   in Loop: Header=BB14_12 Depth=1
	v_cmp_eq_u32_e32 vcc, 0, v2
	s_orn2_b64 s[4:5], vcc, exec
; %bb.104:                              ;   in Loop: Header=BB14_12 Depth=1
	s_or_b64 exec, exec, s[72:73]
	s_and_b64 exec, exec, s[4:5]
	s_cbranch_execz .LBB14_112
; %bb.105:                              ;   in Loop: Header=BB14_12 Depth=1
	v_cmp_gt_i32_e32 vcc, s8, v201
	s_and_b64 s[60:61], vcc, s[70:71]
	v_mov_b32_e32 v2, 50
	s_and_saveexec_b64 s[4:5], s[60:61]
	s_cbranch_execz .LBB14_107
; %bb.106:                              ;   in Loop: Header=BB14_12 Depth=1
	ds_read_b32 v5, v156
	v_mad_u64_u32 v[2:3], s[60:61], v201, s9, v[78:79]
	v_mad_u64_u32 v[2:3], s[60:61], v2, 48, v[40:41]
	s_waitcnt lgkmcnt(0)
	v_cvt_f32_f16_e32 v4, v5
	v_cvt_f32_f16_sdwa v5, v5 dst_sel:DWORD dst_unused:UNUSED_PAD src0_sel:WORD_1
	v_ashrrev_i32_e32 v3, 31, v2
	v_lshl_add_u64 v[2:3], v[2:3], 3, v[90:91]
	v_pk_add_f32 v[4:5], v[4:5], 0 op_sel_hi:[1,0]
	global_store_dwordx2 v[2:3], v[4:5], off
	v_mov_b32_e32 v2, 0
.LBB14_107:                             ;   in Loop: Header=BB14_12 Depth=1
	s_or_b64 exec, exec, s[4:5]
	v_cmp_gt_i32_e32 vcc, 50, v2
	s_mov_b64 s[4:5], -1
	s_and_saveexec_b64 s[72:73], vcc
; %bb.108:                              ;   in Loop: Header=BB14_12 Depth=1
	v_cmp_eq_u32_e32 vcc, 0, v2
	s_orn2_b64 s[4:5], vcc, exec
; %bb.109:                              ;   in Loop: Header=BB14_12 Depth=1
	s_or_b64 exec, exec, s[72:73]
	s_and_b64 exec, exec, s[4:5]
	s_cbranch_execz .LBB14_112
; %bb.110:                              ;   in Loop: Header=BB14_12 Depth=1
	v_cmp_gt_i32_e32 vcc, s8, v199
	s_and_b64 s[4:5], vcc, s[70:71]
	s_and_b64 exec, exec, s[4:5]
	s_cbranch_execz .LBB14_112
; %bb.111:                              ;   in Loop: Header=BB14_12 Depth=1
	v_add_u32_e32 v2, v153, v171
	ds_read_b32 v5, v2 offset:11648
	v_mad_u64_u32 v[2:3], s[4:5], v199, s9, v[78:79]
	v_mad_u64_u32 v[2:3], s[4:5], v2, 48, v[40:41]
	s_waitcnt lgkmcnt(0)
	v_cvt_f32_f16_e32 v4, v5
	v_cvt_f32_f16_sdwa v5, v5 dst_sel:DWORD dst_unused:UNUSED_PAD src0_sel:WORD_1
	v_ashrrev_i32_e32 v3, 31, v2
	v_lshl_add_u64 v[2:3], v[2:3], 3, v[90:91]
	v_pk_add_f32 v[4:5], v[4:5], 0 op_sel_hi:[1,0]
	global_store_dwordx2 v[2:3], v[4:5], off
.LBB14_112:                             ;   in Loop: Header=BB14_12 Depth=1
	s_or_b64 exec, exec, s[6:7]
	v_cmp_gt_i32_e64 s[4:5], s8, v198
	v_cmp_gt_i32_e64 s[6:7], s33, v200
	v_cmp_le_i32_e32 vcc, s33, v200
	s_and_b64 s[6:7], s[4:5], s[6:7]
	v_mov_b32_e32 v2, 50
	s_and_saveexec_b64 s[4:5], s[6:7]
	s_cbranch_execz .LBB14_114
; %bb.113:                              ;   in Loop: Header=BB14_12 Depth=1
	v_add_u32_e32 v2, v148, v132
	ds_read_b32 v4, v2 offset:128
	v_mad_u64_u32 v[2:3], s[6:7], v198, s9, v[74:75]
	v_mul_lo_u32 v6, v2, 48
	v_ashrrev_i32_e32 v5, 31, v6
	s_waitcnt lgkmcnt(0)
	v_cvt_f32_f16_e32 v2, v4
	v_cvt_f32_f16_sdwa v3, v4 dst_sel:DWORD dst_unused:UNUSED_PAD src0_sel:WORD_1
	v_or_b32_e32 v4, v6, v38
	v_lshl_add_u64 v[4:5], v[4:5], 3, v[90:91]
	v_pk_add_f32 v[2:3], v[2:3], 0 op_sel_hi:[1,0]
	global_store_dwordx2 v[4:5], v[2:3], off offset:256
	v_mov_b32_e32 v2, 0
.LBB14_114:                             ;   in Loop: Header=BB14_12 Depth=1
	s_or_b64 exec, exec, s[4:5]
	v_cmp_gt_i32_e64 s[4:5], 50, v2
	s_mov_b64 s[74:75], -1
	s_and_saveexec_b64 s[6:7], s[4:5]
; %bb.115:                              ;   in Loop: Header=BB14_12 Depth=1
	v_cmp_eq_u32_e64 s[4:5], 0, v2
	s_orn2_b64 s[74:75], s[4:5], exec
; %bb.116:                              ;   in Loop: Header=BB14_12 Depth=1
	s_or_b64 exec, exec, s[6:7]
	s_mov_b64 s[70:71], 0
	s_mov_b64 s[6:7], 0
                                        ; implicit-def: $vgpr2_vgpr3
	s_and_saveexec_b64 s[72:73], s[74:75]
	s_cbranch_execz .LBB14_132
; %bb.117:                              ;   in Loop: Header=BB14_12 Depth=1
	v_cmp_gt_i32_e64 s[4:5], s8, v197
	s_xor_b64 s[6:7], vcc, -1
	s_and_b64 s[60:61], s[4:5], s[6:7]
	v_mov_b32_e32 v2, 50
	s_and_saveexec_b64 s[4:5], s[60:61]
	s_cbranch_execz .LBB14_119
; %bb.118:                              ;   in Loop: Header=BB14_12 Depth=1
	ds_read_b32 v4, v157 offset:128
	v_mad_u64_u32 v[2:3], s[60:61], v197, s9, v[74:75]
	v_mul_lo_u32 v6, v2, 48
	v_ashrrev_i32_e32 v5, 31, v6
	s_waitcnt lgkmcnt(0)
	v_cvt_f32_f16_e32 v2, v4
	v_cvt_f32_f16_sdwa v3, v4 dst_sel:DWORD dst_unused:UNUSED_PAD src0_sel:WORD_1
	v_or_b32_e32 v4, v6, v38
	v_lshl_add_u64 v[4:5], v[4:5], 3, v[90:91]
	v_pk_add_f32 v[2:3], v[2:3], 0 op_sel_hi:[1,0]
	global_store_dwordx2 v[4:5], v[2:3], off offset:256
	v_mov_b32_e32 v2, 0
.LBB14_119:                             ;   in Loop: Header=BB14_12 Depth=1
	s_or_b64 exec, exec, s[4:5]
	v_cmp_gt_i32_e32 vcc, 50, v2
	s_mov_b64 s[76:77], -1
	s_and_saveexec_b64 s[4:5], vcc
; %bb.120:                              ;   in Loop: Header=BB14_12 Depth=1
	v_cmp_eq_u32_e32 vcc, 0, v2
	s_orn2_b64 s[76:77], vcc, exec
; %bb.121:                              ;   in Loop: Header=BB14_12 Depth=1
	s_or_b64 exec, exec, s[4:5]
	s_mov_b64 s[74:75], 0
                                        ; implicit-def: $vgpr2_vgpr3
	s_and_saveexec_b64 s[4:5], s[76:77]
	s_cbranch_execz .LBB14_131
; %bb.122:                              ;   in Loop: Header=BB14_12 Depth=1
	v_cmp_gt_i32_e32 vcc, s8, v196
	s_and_b64 s[60:61], vcc, s[6:7]
	v_mov_b32_e32 v2, 50
	s_and_saveexec_b64 s[74:75], s[60:61]
	s_cbranch_execz .LBB14_124
; %bb.123:                              ;   in Loop: Header=BB14_12 Depth=1
	ds_read_b32 v4, v158 offset:128
	v_mad_u64_u32 v[2:3], s[60:61], v196, s9, v[74:75]
	v_mul_lo_u32 v6, v2, 48
	v_ashrrev_i32_e32 v5, 31, v6
	s_waitcnt lgkmcnt(0)
	v_cvt_f32_f16_e32 v2, v4
	v_cvt_f32_f16_sdwa v3, v4 dst_sel:DWORD dst_unused:UNUSED_PAD src0_sel:WORD_1
	v_or_b32_e32 v4, v6, v38
	v_lshl_add_u64 v[4:5], v[4:5], 3, v[90:91]
	v_pk_add_f32 v[2:3], v[2:3], 0 op_sel_hi:[1,0]
	global_store_dwordx2 v[4:5], v[2:3], off offset:256
	v_mov_b32_e32 v2, 0
.LBB14_124:                             ;   in Loop: Header=BB14_12 Depth=1
	s_or_b64 exec, exec, s[74:75]
	v_cmp_gt_i32_e32 vcc, 50, v2
	s_mov_b64 s[78:79], -1
	s_and_saveexec_b64 s[74:75], vcc
; %bb.125:                              ;   in Loop: Header=BB14_12 Depth=1
	v_cmp_eq_u32_e32 vcc, 0, v2
	s_orn2_b64 s[78:79], vcc, exec
; %bb.126:                              ;   in Loop: Header=BB14_12 Depth=1
	s_or_b64 exec, exec, s[74:75]
	s_mov_b64 s[76:77], 0
                                        ; implicit-def: $vgpr2_vgpr3
	s_and_saveexec_b64 s[74:75], s[78:79]
	s_cbranch_execz .LBB14_130
; %bb.127:                              ;   in Loop: Header=BB14_12 Depth=1
	v_cmp_gt_i32_e32 vcc, s8, v81
	s_and_b64 s[60:61], vcc, s[6:7]
	s_mov_b64 s[6:7], 0
                                        ; implicit-def: $vgpr2_vgpr3
	s_and_saveexec_b64 s[76:77], s[60:61]
	s_xor_b64 s[76:77], exec, s[76:77]
	s_cbranch_execz .LBB14_129
; %bb.128:                              ;   in Loop: Header=BB14_12 Depth=1
	ds_read_b32 v3, v159 offset:128
	s_mov_b64 s[6:7], exec
	s_waitcnt lgkmcnt(0)
	v_cvt_f32_f16_e32 v2, v3
	v_cvt_f32_f16_sdwa v3, v3 dst_sel:DWORD dst_unused:UNUSED_PAD src0_sel:WORD_1
	v_pk_add_f32 v[2:3], v[2:3], 0 op_sel_hi:[1,0]
.LBB14_129:                             ;   in Loop: Header=BB14_12 Depth=1
	s_or_b64 exec, exec, s[76:77]
	s_and_b64 s[76:77], s[6:7], exec
.LBB14_130:                             ;   in Loop: Header=BB14_12 Depth=1
	s_or_b64 exec, exec, s[74:75]
	s_and_b64 s[74:75], s[76:77], exec
.LBB14_131:                             ;   in Loop: Header=BB14_12 Depth=1
	s_or_b64 exec, exec, s[4:5]
	s_and_b64 s[6:7], s[74:75], exec
.LBB14_132:                             ;   in Loop: Header=BB14_12 Depth=1
	s_or_b64 exec, exec, s[72:73]
	s_and_b64 vcc, exec, s[70:71]
	s_cbranch_vccz .LBB14_249
.LBB14_133:                             ;   in Loop: Header=BB14_12 Depth=1
	v_cmp_gt_i32_e64 s[4:5], s8, v192
	v_cmp_gt_i32_e32 vcc, s33, v195
	s_and_b64 s[90:91], s[4:5], vcc
	s_xor_b64 s[4:5], s[90:91], -1
	s_and_saveexec_b64 s[70:71], s[4:5]
	s_xor_b64 s[4:5], exec, s[70:71]
; %bb.134:                              ;   in Loop: Header=BB14_12 Depth=1
	v_add_u32_e32 v2, v153, v171
	ds_write_b32 v2, v59
; %bb.135:                              ;   in Loop: Header=BB14_12 Depth=1
	s_andn2_saveexec_b64 s[4:5], s[4:5]
	s_cbranch_execz .LBB14_137
; %bb.136:                              ;   in Loop: Header=BB14_12 Depth=1
	v_mad_u64_u32 v[2:3], s[70:71], v192, s27, v[80:81]
	v_ashrrev_i32_e32 v3, 31, v2
	v_lshl_add_u64 v[2:3], v[2:3], 3, v[108:109]
	global_load_dwordx2 v[2:3], v[2:3], off
	s_waitcnt vmcnt(0)
	v_cvt_pk_f16_f32 v2, v2, v3
	v_pk_mul_f16 v2, v2, v161
	v_add_u32_e32 v3, v153, v171
	ds_write_b32 v3, v2
.LBB14_137:                             ;   in Loop: Header=BB14_12 Depth=1
	s_or_b64 exec, exec, s[4:5]
	v_add_u32_e32 v117, v172, v193
	v_cmp_gt_i32_e64 s[4:5], s8, v117
	s_and_b64 s[88:89], s[4:5], vcc
	s_xor_b64 s[4:5], s[88:89], -1
	s_and_saveexec_b64 s[70:71], s[4:5]
	s_xor_b64 s[4:5], exec, s[70:71]
; %bb.138:                              ;   in Loop: Header=BB14_12 Depth=1
	v_add_u32_e32 v2, v153, v171
	ds_write_b32 v2, v59 offset:1664
; %bb.139:                              ;   in Loop: Header=BB14_12 Depth=1
	s_andn2_saveexec_b64 s[4:5], s[4:5]
	s_cbranch_execz .LBB14_141
; %bb.140:                              ;   in Loop: Header=BB14_12 Depth=1
	v_mad_u64_u32 v[2:3], s[70:71], v117, s27, v[80:81]
	v_ashrrev_i32_e32 v3, 31, v2
	v_lshl_add_u64 v[2:3], v[2:3], 3, v[108:109]
	global_load_dwordx2 v[2:3], v[2:3], off
	s_waitcnt vmcnt(0)
	v_cvt_pk_f16_f32 v2, v2, v3
	v_pk_mul_f16 v2, v2, v161
	v_add_u32_e32 v3, v153, v171
	ds_write_b32 v3, v2 offset:1664
.LBB14_141:                             ;   in Loop: Header=BB14_12 Depth=1
	s_or_b64 exec, exec, s[4:5]
	v_add_u32_e32 v116, v125, v193
	v_cmp_gt_i32_e64 s[4:5], s8, v116
	s_and_b64 s[86:87], s[4:5], vcc
	s_xor_b64 s[4:5], s[86:87], -1
	s_and_saveexec_b64 s[70:71], s[4:5]
	s_xor_b64 s[4:5], exec, s[70:71]
; %bb.142:                              ;   in Loop: Header=BB14_12 Depth=1
	v_add_u32_e32 v2, v153, v171
	ds_write_b32 v2, v59 offset:3328
; %bb.143:                              ;   in Loop: Header=BB14_12 Depth=1
	s_andn2_saveexec_b64 s[4:5], s[4:5]
	s_cbranch_execz .LBB14_145
; %bb.144:                              ;   in Loop: Header=BB14_12 Depth=1
	v_mad_u64_u32 v[2:3], s[70:71], v116, s27, v[80:81]
	v_ashrrev_i32_e32 v3, 31, v2
	v_lshl_add_u64 v[2:3], v[2:3], 3, v[108:109]
	global_load_dwordx2 v[2:3], v[2:3], off
	s_waitcnt vmcnt(0)
	v_cvt_pk_f16_f32 v2, v2, v3
	v_pk_mul_f16 v2, v2, v161
	v_add_u32_e32 v3, v153, v171
	ds_write_b32 v3, v2 offset:3328
.LBB14_145:                             ;   in Loop: Header=BB14_12 Depth=1
	;; [unrolled: 24-line block ×7, first 2 shown]
	s_or_b64 exec, exec, s[4:5]
	v_add_u32_e32 v110, v131, v193
	v_or_b32_e32 v2, v74, v194
	v_cmp_gt_i32_e64 s[4:5], s8, v110
	v_cmp_gt_i32_e32 vcc, s33, v2
	s_and_b64 s[74:75], s[4:5], vcc
	s_xor_b64 s[4:5], s[74:75], -1
	s_and_saveexec_b64 s[70:71], s[4:5]
	s_xor_b64 s[4:5], exec, s[70:71]
; %bb.166:                              ;   in Loop: Header=BB14_12 Depth=1
	ds_write_b32 v149, v59 offset:128
; %bb.167:                              ;   in Loop: Header=BB14_12 Depth=1
	s_andn2_saveexec_b64 s[4:5], s[4:5]
	s_cbranch_execz .LBB14_169
; %bb.168:                              ;   in Loop: Header=BB14_12 Depth=1
	v_mad_u64_u32 v[2:3], s[70:71], v110, s27, v[76:77]
	v_ashrrev_i32_e32 v3, 31, v2
	v_lshl_add_u64 v[2:3], v[2:3], 3, v[108:109]
	global_load_dwordx2 v[2:3], v[2:3], off
	s_waitcnt vmcnt(0)
	v_cvt_pk_f16_f32 v2, v2, v3
	v_pk_mul_f16 v2, v2, v161
	v_add_u32_e32 v3, v148, v132
	ds_write_b32 v3, v2 offset:128
.LBB14_169:                             ;   in Loop: Header=BB14_12 Depth=1
	s_or_b64 exec, exec, s[4:5]
	v_add_u32_e32 v29, v134, v193
	v_cmp_gt_i32_e64 s[4:5], s8, v29
	s_and_b64 s[72:73], s[4:5], vcc
	s_xor_b64 s[4:5], s[72:73], -1
	s_and_saveexec_b64 s[70:71], s[4:5]
	s_xor_b64 s[4:5], exec, s[70:71]
; %bb.170:                              ;   in Loop: Header=BB14_12 Depth=1
	ds_write_b32 v173, v59 offset:128
; %bb.171:                              ;   in Loop: Header=BB14_12 Depth=1
	s_andn2_saveexec_b64 s[4:5], s[4:5]
	s_cbranch_execz .LBB14_173
; %bb.172:                              ;   in Loop: Header=BB14_12 Depth=1
	v_mad_u64_u32 v[2:3], s[70:71], v29, s27, v[76:77]
	v_ashrrev_i32_e32 v3, 31, v2
	v_lshl_add_u64 v[2:3], v[2:3], 3, v[108:109]
	global_load_dwordx2 v[2:3], v[2:3], off
	s_waitcnt vmcnt(0)
	v_cvt_pk_f16_f32 v2, v2, v3
	v_pk_mul_f16 v2, v2, v161
	v_add_u32_e32 v3, v148, v132
	ds_write_b32 v3, v2 offset:3456
.LBB14_173:                             ;   in Loop: Header=BB14_12 Depth=1
	s_or_b64 exec, exec, s[4:5]
	v_add_u32_e32 v27, v135, v193
	v_cmp_gt_i32_e64 s[4:5], s8, v27
	;; [unrolled: 23-line block ×3, first 2 shown]
	s_and_b64 s[4:5], s[4:5], vcc
	s_xor_b64 s[60:61], s[4:5], -1
	s_and_saveexec_b64 s[92:93], s[60:61]
	s_xor_b64 s[92:93], exec, s[92:93]
; %bb.178:                              ;   in Loop: Header=BB14_12 Depth=1
	ds_write_b32 v175, v59 offset:128
                                        ; implicit-def: $vgpr108_vgpr109
; %bb.179:                              ;   in Loop: Header=BB14_12 Depth=1
	s_andn2_saveexec_b64 s[92:93], s[92:93]
	s_cbranch_execz .LBB14_181
; %bb.180:                              ;   in Loop: Header=BB14_12 Depth=1
	v_mad_u64_u32 v[2:3], s[60:61], v81, s27, v[76:77]
	v_ashrrev_i32_e32 v3, 31, v2
	v_lshl_add_u64 v[2:3], v[2:3], 3, v[108:109]
	global_load_dwordx2 v[2:3], v[2:3], off
	s_waitcnt vmcnt(0)
	v_cvt_pk_f16_f32 v2, v2, v3
	v_pk_mul_f16 v2, v2, v161
	v_add_u32_e32 v3, v148, v132
	ds_write_b32 v3, v2 offset:10112
.LBB14_181:                             ;   in Loop: Header=BB14_12 Depth=1
	s_or_b64 exec, exec, s[92:93]
	s_waitcnt lgkmcnt(0)
	s_barrier
	ds_read2_b64 v[10:13], v45 offset1:4
	ds_read2_b64 v[6:9], v45 offset0:8 offset1:12
	ds_read2_b64 v[2:5], v45 offset0:16 offset1:20
	s_cmp_gt_i32 s35, 1
	s_mov_b64 s[92:93], -1
	s_waitcnt lgkmcnt(0)
	s_barrier
                                        ; implicit-def: $vgpr14_vgpr15
                                        ; implicit-def: $vgpr16_vgpr17
                                        ; implicit-def: $vgpr108
                                        ; implicit-def: $vgpr109
                                        ; implicit-def: $vgpr118
                                        ; implicit-def: $vgpr119
	s_cbranch_scc1 .LBB14_183
; %bb.182:                              ;   in Loop: Header=BB14_12 Depth=1
	v_add_u32_e32 v14, v193, v41
	v_add_u32_e32 v16, v193, v163
	v_mul_hi_u32 v15, s16, v14
	v_mul_hi_u32 v17, s16, v16
	v_add_u32_e32 v15, v14, v15
	v_add_u32_e32 v17, v16, v17
	v_lshrrev_b32_e32 v15, s17, v15
	v_lshrrev_b32_e32 v17, s17, v17
	v_mul_lo_u32 v15, v15, s8
	v_mul_lo_u32 v17, v17, s8
	v_mbcnt_hi_u32_b32 v108, -1, v189
	v_sub_u32_e32 v14, v14, v15
	v_sub_u32_e32 v16, v16, v17
	v_and_b32_e32 v18, 64, v108
	v_mad_i64_i32 v[14:15], s[60:61], v14, s10, 0
	v_mad_i64_i32 v[16:17], s[60:61], v16, s10, 0
	v_add_u32_e32 v109, 64, v18
	v_xor_b32_e32 v118, 32, v108
	v_xor_b32_e32 v119, 16, v108
	s_mov_b64 s[92:93], 0
.LBB14_183:                             ;   in Loop: Header=BB14_12 Depth=1
	s_andn2_b64 vcc, exec, s[92:93]
	s_cbranch_vccnz .LBB14_187
; %bb.184:                              ;   in Loop: Header=BB14_12 Depth=1
	v_add_u32_e32 v14, v193, v41
	v_mul_hi_u32 v15, s16, v14
	v_add_u32_e32 v15, v14, v15
	v_lshrrev_b32_e32 v15, s17, v15
	v_mul_lo_u32 v15, v15, s8
	v_sub_u32_e32 v26, v14, v15
	v_add_u32_e32 v14, v193, v163
	v_mul_hi_u32 v15, s16, v14
	v_add_u32_e32 v15, v14, v15
	v_lshrrev_b32_e32 v15, s17, v15
	v_mul_lo_u32 v15, v15, s8
	v_mbcnt_hi_u32_b32 v108, -1, v189
	v_sub_u32_e32 v28, v14, v15
	v_and_b32_e32 v14, 64, v108
	v_add_u32_e32 v109, 64, v14
	v_xor_b32_e32 v118, 32, v108
	v_cmp_lt_i32_e32 vcc, v118, v109
	v_xor_b32_e32 v119, 16, v108
	v_readlane_b32 s60, v232, 12
	v_cndmask_b32_e32 v14, v108, v118, vcc
	v_cmp_lt_i32_e32 vcc, v119, v109
	v_lshlrev_b32_e32 v58, 2, v14
	s_add_i32 s35, s35, -1
	v_cndmask_b32_e32 v14, v108, v119, vcc
	v_lshlrev_b32_e32 v195, 2, v14
	v_lshl_add_u64 v[14:15], v[104:105], 0, v[106:107]
	v_readlane_b32 s61, v232, 13
	s_mov_b32 s92, s60
	v_lshl_add_u64 v[34:35], v[66:67], 0, v[14:15]
	v_lshl_add_u64 v[36:37], v[82:83], 0, v[14:15]
	;; [unrolled: 1-line block ×4, first 2 shown]
	v_mad_i64_i32 v[30:31], s[60:61], s92, v26, v[98:99]
	v_mad_i64_i32 v[32:33], s[60:61], s92, v28, v[98:99]
	v_lshl_add_u64 v[100:101], v[70:71], 0, v[14:15]
	v_lshl_add_u64 v[102:103], v[86:87], 0, v[14:15]
	;; [unrolled: 1-line block ×3, first 2 shown]
	v_mov_b32_e32 v196, 0
	v_mov_b32_e32 v193, 0xfeffffff
	;; [unrolled: 1-line block ×3, first 2 shown]
	s_mov_b32 s92, s35
	v_mov_b32_e32 v197, 0
	v_mov_b32_e32 v203, 0
	;; [unrolled: 1-line block ×11, first 2 shown]
.LBB14_185:                             ;   Parent Loop BB14_12 Depth=1
                                        ; =>  This Inner Loop Header: Depth=2
	v_lshl_add_u64 v[14:15], v[30:31], 0, v[60:61]
	global_load_dword v14, v[14:15], off
	v_add_u32_e32 v16, v164, v162
	v_lshl_add_u64 v[18:19], v[102:103], 0, v[68:69]
	v_lshl_add_u64 v[20:21], v[106:107], 0, v[68:69]
	v_mov_b32_e32 v214, v193
	v_add_u32_e32 v193, 0x800, v166
	v_mov_b32_e32 v213, v194
	s_add_i32 s92, s92, -1
	v_lshl_add_u64 v[30:31], v[30:31], 0, s[64:65]
	v_lshl_add_u64 v[102:103], v[102:103], 0, s[68:69]
	;; [unrolled: 1-line block ×3, first 2 shown]
	s_cmp_lg_u32 s92, 0
	s_waitcnt vmcnt(0)
	ds_write_b32 v16, v14 offset:13312
	v_lshl_add_u64 v[14:15], v[32:33], 0, v[60:61]
	global_load_dword v14, v[14:15], off
	v_lshl_add_u64 v[32:33], v[32:33], 0, s[64:65]
	s_waitcnt vmcnt(0)
	ds_write_b32 v16, v14 offset:14464
	global_load_dwordx4 v[14:17], v[100:101], off
	v_lshl_add_u64 v[100:101], v[100:101], 0, s[68:69]
	s_waitcnt vmcnt(0)
	ds_write_b128 v73, v[14:17]
	global_load_dwordx4 v[14:17], v[18:19], off
	s_waitcnt vmcnt(0)
	ds_write_b128 v75, v[14:17]
	global_load_dwordx4 v[14:17], v[20:21], off
	s_waitcnt vmcnt(0)
	ds_write_b128 v165, v[14:17]
	s_waitcnt lgkmcnt(0)
	s_barrier
	ds_read2_b64 v[14:17], v166 offset1:4
	s_waitcnt lgkmcnt(0)
	v_mfma_f32_16x16x16_f16 v[18:21], v[14:15], v[10:11], 0
	v_mfma_f32_16x16x16_f16 v[14:17], v[16:17], v[12:13], v[18:21]
	s_nop 6
	ds_read2_b64 v[18:21], v166 offset0:8 offset1:12
	s_waitcnt lgkmcnt(0)
	v_mfma_f32_16x16x16_f16 v[14:17], v[18:19], v[6:7], v[14:17]
	v_mfma_f32_16x16x16_f16 v[14:17], v[20:21], v[8:9], v[14:17]
	ds_read2_b64 v[18:21], v166 offset0:16 offset1:20
	s_waitcnt lgkmcnt(0)
	v_mfma_f32_16x16x16_f16 v[14:17], v[18:19], v[2:3], v[14:17]
	v_mfma_f32_16x16x16_f16 v[22:25], v[20:21], v[4:5], v[14:17]
	s_nop 6
	ds_read2_b64 v[14:17], v193 offset0:160 offset1:164
	s_waitcnt lgkmcnt(0)
	v_mfma_f32_16x16x16_f16 v[18:21], v[14:15], v[10:11], 0
	v_mfma_f32_16x16x16_f16 v[14:17], v[16:17], v[12:13], v[18:21]
	s_nop 6
	ds_read2_b64 v[18:21], v193 offset0:168 offset1:172
	s_waitcnt lgkmcnt(0)
	v_mfma_f32_16x16x16_f16 v[14:17], v[18:19], v[6:7], v[14:17]
	v_mfma_f32_16x16x16_f16 v[14:17], v[20:21], v[8:9], v[14:17]
	ds_read2_b64 v[18:21], v193 offset0:176 offset1:180
	v_add_u32_e32 v193, 0x1800, v166
	s_waitcnt lgkmcnt(0)
	v_mfma_f32_16x16x16_f16 v[14:17], v[18:19], v[2:3], v[14:17]
	v_mfma_f32_16x16x16_f16 v[18:21], v[20:21], v[4:5], v[14:17]
	s_nop 6
	ds_read2_b64 v[14:17], v193 offset0:64 offset1:68
	s_waitcnt lgkmcnt(0)
	v_mfma_f32_16x16x16_f16 v[208:211], v[14:15], v[10:11], 0
	v_mfma_f32_16x16x16_f16 v[14:17], v[16:17], v[12:13], v[208:211]
	s_nop 6
	ds_read2_b64 v[208:211], v193 offset0:72 offset1:76
	s_waitcnt lgkmcnt(0)
	v_mfma_f32_16x16x16_f16 v[14:17], v[208:209], v[6:7], v[14:17]
	v_mfma_f32_16x16x16_f16 v[14:17], v[210:211], v[8:9], v[14:17]
	ds_read2_b64 v[208:211], v193 offset0:80 offset1:84
	v_add_u32_e32 v193, 0x2000, v166
	s_waitcnt lgkmcnt(0)
	v_mfma_f32_16x16x16_f16 v[14:17], v[208:209], v[2:3], v[14:17]
	v_mfma_f32_16x16x16_f16 v[14:17], v[210:211], v[4:5], v[14:17]
	ds_read2_b64 v[208:211], v193 offset0:224 offset1:228
	s_waitcnt lgkmcnt(0)
	v_mfma_f32_16x16x16_f16 v[216:219], v[208:209], v[10:11], 0
	v_mfma_f32_16x16x16_f16 v[208:211], v[210:211], v[12:13], v[216:219]
	s_nop 6
	ds_read2_b64 v[216:219], v193 offset0:232 offset1:236
	s_waitcnt lgkmcnt(0)
	v_mfma_f32_16x16x16_f16 v[208:211], v[216:217], v[6:7], v[208:211]
	v_mfma_f32_16x16x16_f16 v[208:211], v[218:219], v[8:9], v[208:211]
	ds_read2_b64 v[216:219], v193 offset0:240 offset1:244
	s_waitcnt lgkmcnt(0)
	s_barrier
	ds_read_b32 v193, v79 offset:13312
	v_mfma_f32_16x16x16_f16 v[208:211], v[216:217], v[2:3], v[208:211]
	s_waitcnt lgkmcnt(0)
	v_cvt_f32_f16_e32 v194, v193
	v_cvt_f32_f16_sdwa v193, v193 dst_sel:DWORD dst_unused:UNUSED_PAD src0_sel:WORD_1
	v_add_f32_e32 v194, v22, v194
	ds_read_b32 v22, v120 offset:13312
	v_add_f32_e32 v212, v23, v193
	v_mfma_f32_16x16x16_f16 v[208:211], v[218:219], v[4:5], v[208:211]
	s_waitcnt lgkmcnt(0)
	v_cvt_f32_f16_e32 v23, v22
	v_cvt_f32_f16_sdwa v22, v22 dst_sel:DWORD dst_unused:UNUSED_PAD src0_sel:WORD_1
	v_add_f32_e32 v24, v24, v23
	v_add_f32_e32 v25, v25, v22
	v_add_u32_e32 v22, 0x3400, v167
	ds_read2_b32 v[22:23], v22 offset1:1
	s_waitcnt lgkmcnt(0)
	v_cvt_f32_f16_e32 v193, v22
	v_cvt_f32_f16_sdwa v22, v22 dst_sel:DWORD dst_unused:UNUSED_PAD src0_sel:WORD_1
	v_add_f32_e32 v215, v18, v193
	v_cvt_f32_f16_e32 v18, v23
	v_add_f32_e32 v22, v19, v22
	v_cvt_f32_f16_sdwa v19, v23 dst_sel:DWORD dst_unused:UNUSED_PAD src0_sel:WORD_1
	v_add_f32_e32 v23, v20, v18
	v_add_u32_e32 v18, 0x3400, v168
	v_add_f32_e32 v216, v21, v19
	ds_read2_b32 v[18:19], v18 offset1:1
	s_waitcnt lgkmcnt(0)
	v_cvt_f32_f16_e32 v20, v18
	v_cvt_f32_f16_sdwa v18, v18 dst_sel:DWORD dst_unused:UNUSED_PAD src0_sel:WORD_1
	v_add_f32_e32 v217, v14, v20
	v_cvt_f32_f16_e32 v14, v19
	v_add_f32_e32 v218, v15, v18
	v_cvt_f32_f16_sdwa v15, v19 dst_sel:DWORD dst_unused:UNUSED_PAD src0_sel:WORD_1
	v_add_f32_e32 v19, v16, v14
	v_add_u32_e32 v14, 0x3400, v169
	v_add_f32_e32 v219, v17, v15
	ds_read2_b32 v[14:15], v14 offset1:1
	s_waitcnt lgkmcnt(0)
	v_cvt_f32_f16_e32 v16, v14
	v_cvt_f32_f16_sdwa v14, v14 dst_sel:DWORD dst_unused:UNUSED_PAD src0_sel:WORD_1
	v_add_f32_e32 v208, v208, v16
	v_add_f32_e32 v220, v209, v14
	v_cvt_f32_f16_e32 v14, v15
	v_cvt_f32_f16_sdwa v15, v15 dst_sel:DWORD dst_unused:UNUSED_PAD src0_sel:WORD_1
	v_add_f32_e32 v16, 0x40051340, v25
	v_add_f32_e32 v221, v210, v14
	;; [unrolled: 1-line block ×5, first 2 shown]
	v_max3_f32 v14, v214, v14, v15
	v_add_f32_e32 v15, 0x40051340, v24
	v_max3_f32 v14, v14, v15, v16
	v_add_f32_e32 v15, 0x40051340, v215
	v_add_f32_e32 v16, 0x40051340, v22
	v_max3_f32 v14, v14, v15, v16
	v_add_f32_e32 v15, 0x40051340, v23
	;; [unrolled: 3-line block ×6, first 2 shown]
	v_add_f32_e32 v16, 0x40051340, v222
	v_max3_f32 v14, v14, v15, v16
	ds_bpermute_b32 v15, v58, v14
	s_waitcnt lgkmcnt(0)
	v_max_f32_e32 v15, v15, v15
	v_max_f32_e32 v14, v14, v15
	ds_bpermute_b32 v15, v195, v14
	s_waitcnt lgkmcnt(0)
	v_max_f32_e32 v15, v15, v15
	v_max_f32_e32 v193, v14, v15
	v_sub_f32_e32 v14, v194, v193
	v_mul_f32_e32 v15, 0x3fb8aa3b, v14
	v_fma_f32 v16, v14, s11, -v15
	v_rndne_f32_e32 v17, v15
	v_fmac_f32_e32 v16, 0x32a5705f, v14
	v_sub_f32_e32 v15, v15, v17
	v_add_f32_e32 v15, v15, v16
	v_exp_f32_e32 v15, v15
	v_cvt_i32_f32_e32 v16, v17
	v_cmp_ngt_f32_e32 vcc, s63, v14
	v_sub_f32_e32 v19, v19, v193
	v_ldexp_f32 v15, v15, v16
	v_cndmask_b32_e32 v15, 0, v15, vcc
	v_cmp_nlt_f32_e32 vcc, s62, v14
	s_nop 1
	v_cndmask_b32_e32 v14, v191, v15, vcc
	v_sub_f32_e32 v15, v212, v193
	v_mul_f32_e32 v16, 0x3fb8aa3b, v15
	v_fma_f32 v17, v15, s11, -v16
	v_rndne_f32_e32 v18, v16
	v_fmac_f32_e32 v17, 0x32a5705f, v15
	v_sub_f32_e32 v16, v16, v18
	v_add_f32_e32 v16, v16, v17
	v_exp_f32_e32 v16, v16
	v_cvt_i32_f32_e32 v17, v18
	v_cmp_ngt_f32_e32 vcc, s63, v15
	v_ldexp_f32 v16, v16, v17
	s_nop 0
	v_cndmask_b32_e32 v16, 0, v16, vcc
	v_cmp_nlt_f32_e32 vcc, s62, v15
	s_nop 1
	v_cndmask_b32_e32 v15, v191, v16, vcc
	v_sub_f32_e32 v16, v24, v193
	v_mul_f32_e32 v18, 0x3fb8aa3b, v16
	v_fma_f32 v20, v16, s11, -v18
	v_rndne_f32_e32 v21, v18
	v_fmac_f32_e32 v20, 0x32a5705f, v16
	v_sub_f32_e32 v18, v18, v21
	v_add_f32_e32 v18, v18, v20
	v_exp_f32_e32 v18, v18
	v_cvt_i32_f32_e32 v20, v21
	v_cmp_ngt_f32_e32 vcc, s63, v16
	v_add_f32_e32 v17, v14, v15
	v_ldexp_f32 v18, v18, v20
	v_cndmask_b32_e32 v18, 0, v18, vcc
	v_cmp_nlt_f32_e32 vcc, s62, v16
	s_nop 1
	v_cndmask_b32_e32 v16, v191, v18, vcc
	v_sub_f32_e32 v18, v25, v193
	v_mul_f32_e32 v20, 0x3fb8aa3b, v18
	v_fma_f32 v21, v18, s11, -v20
	v_rndne_f32_e32 v24, v20
	v_fmac_f32_e32 v21, 0x32a5705f, v18
	v_sub_f32_e32 v20, v20, v24
	v_add_f32_e32 v20, v20, v21
	v_exp_f32_e32 v20, v20
	v_cvt_i32_f32_e32 v21, v24
	v_cmp_ngt_f32_e32 vcc, s63, v18
	v_add_f32_e32 v17, v16, v17
	v_ldexp_f32 v20, v20, v21
	v_cndmask_b32_e32 v20, 0, v20, vcc
	v_cmp_nlt_f32_e32 vcc, s62, v18
	s_nop 1
	v_cndmask_b32_e32 v18, v191, v20, vcc
	v_add_f32_e32 v20, v18, v17
	v_sub_f32_e32 v17, v215, v193
	v_mul_f32_e32 v21, 0x3fb8aa3b, v17
	v_fma_f32 v24, v17, s11, -v21
	v_rndne_f32_e32 v25, v21
	v_fmac_f32_e32 v24, 0x32a5705f, v17
	v_sub_f32_e32 v21, v21, v25
	v_add_f32_e32 v21, v21, v24
	v_exp_f32_e32 v21, v21
	v_cvt_i32_f32_e32 v24, v25
	v_cmp_ngt_f32_e32 vcc, s63, v17
	v_ldexp_f32 v21, v21, v24
	s_nop 0
	v_cndmask_b32_e32 v21, 0, v21, vcc
	v_cmp_nlt_f32_e32 vcc, s62, v17
	s_nop 1
	v_cndmask_b32_e32 v17, v191, v21, vcc
	v_add_f32_e32 v21, v17, v20
	v_sub_f32_e32 v20, v22, v193
	v_mul_f32_e32 v22, 0x3fb8aa3b, v20
	v_fma_f32 v24, v20, s11, -v22
	v_rndne_f32_e32 v25, v22
	v_fmac_f32_e32 v24, 0x32a5705f, v20
	v_sub_f32_e32 v22, v22, v25
	v_add_f32_e32 v22, v22, v24
	v_exp_f32_e32 v22, v22
	v_cvt_i32_f32_e32 v24, v25
	v_cmp_ngt_f32_e32 vcc, s63, v20
	v_ldexp_f32 v22, v22, v24
	s_nop 0
	v_cndmask_b32_e32 v22, 0, v22, vcc
	v_cmp_nlt_f32_e32 vcc, s62, v20
	s_nop 1
	v_cndmask_b32_e32 v20, v191, v22, vcc
	v_add_f32_e32 v22, v20, v21
	v_sub_f32_e32 v21, v23, v193
	v_mul_f32_e32 v23, 0x3fb8aa3b, v21
	v_fma_f32 v24, v21, s11, -v23
	v_rndne_f32_e32 v25, v23
	v_fmac_f32_e32 v24, 0x32a5705f, v21
	v_sub_f32_e32 v23, v23, v25
	v_add_f32_e32 v23, v23, v24
	v_exp_f32_e32 v23, v23
	v_cvt_i32_f32_e32 v24, v25
	v_cmp_ngt_f32_e32 vcc, s63, v21
	v_cvt_pk_f16_f32 v20, v17, v20
	v_ldexp_f32 v23, v23, v24
	v_cndmask_b32_e32 v23, 0, v23, vcc
	v_cmp_nlt_f32_e32 vcc, s62, v21
	s_nop 1
	v_cndmask_b32_e32 v21, v191, v23, vcc
	v_sub_f32_e32 v23, v216, v193
	v_mul_f32_e32 v24, 0x3fb8aa3b, v23
	v_fma_f32 v25, v23, s11, -v24
	v_rndne_f32_e32 v194, v24
	v_fmac_f32_e32 v25, 0x32a5705f, v23
	v_sub_f32_e32 v24, v24, v194
	v_add_f32_e32 v24, v24, v25
	v_exp_f32_e32 v24, v24
	v_cvt_i32_f32_e32 v25, v194
	v_cmp_ngt_f32_e32 vcc, s63, v23
	v_add_f32_e32 v22, v21, v22
	v_ldexp_f32 v24, v24, v25
	v_cndmask_b32_e32 v24, 0, v24, vcc
	v_cmp_nlt_f32_e32 vcc, s62, v23
	s_nop 1
	v_cndmask_b32_e32 v23, v191, v24, vcc
	v_add_f32_e32 v24, v23, v22
	v_sub_f32_e32 v22, v217, v193
	v_mul_f32_e32 v25, 0x3fb8aa3b, v22
	v_fma_f32 v194, v22, s11, -v25
	v_rndne_f32_e32 v209, v25
	v_fmac_f32_e32 v194, 0x32a5705f, v22
	v_sub_f32_e32 v25, v25, v209
	v_add_f32_e32 v25, v25, v194
	v_exp_f32_e32 v25, v25
	v_cvt_i32_f32_e32 v194, v209
	v_cmp_ngt_f32_e32 vcc, s63, v22
	v_cvt_pk_f16_f32 v21, v21, v23
	v_ldexp_f32 v25, v25, v194
	v_cndmask_b32_e32 v25, 0, v25, vcc
	v_cmp_nlt_f32_e32 vcc, s62, v22
	s_nop 1
	v_cndmask_b32_e32 v22, v191, v25, vcc
	v_add_f32_e32 v25, v22, v24
	v_sub_f32_e32 v24, v218, v193
	v_mul_f32_e32 v194, 0x3fb8aa3b, v24
	v_fma_f32 v209, v24, s11, -v194
	v_rndne_f32_e32 v210, v194
	v_fmac_f32_e32 v209, 0x32a5705f, v24
	v_sub_f32_e32 v194, v194, v210
	v_add_f32_e32 v194, v194, v209
	v_exp_f32_e32 v194, v194
	v_cvt_i32_f32_e32 v209, v210
	v_cmp_ngt_f32_e32 vcc, s63, v24
	v_ldexp_f32 v194, v194, v209
	s_nop 0
	v_cndmask_b32_e32 v194, 0, v194, vcc
	v_cmp_nlt_f32_e32 vcc, s62, v24
	s_nop 1
	v_cndmask_b32_e32 v24, v191, v194, vcc
	v_add_f32_e32 v194, v24, v25
	v_mul_f32_e32 v25, 0x3fb8aa3b, v19
	v_fma_f32 v209, v19, s11, -v25
	v_rndne_f32_e32 v210, v25
	v_fmac_f32_e32 v209, 0x32a5705f, v19
	v_sub_f32_e32 v25, v25, v210
	v_add_f32_e32 v25, v25, v209
	v_exp_f32_e32 v25, v25
	v_cvt_i32_f32_e32 v209, v210
	v_cmp_ngt_f32_e32 vcc, s63, v19
	v_cvt_pk_f16_f32 v22, v22, v24
	v_ldexp_f32 v25, v25, v209
	v_cndmask_b32_e32 v25, 0, v25, vcc
	v_cmp_nlt_f32_e32 vcc, s62, v19
	s_nop 1
	v_cndmask_b32_e32 v25, v191, v25, vcc
	v_add_f32_e32 v19, v25, v194
	v_sub_f32_e32 v194, v219, v193
	v_mul_f32_e32 v209, 0x3fb8aa3b, v194
	v_fma_f32 v210, v194, s11, -v209
	v_rndne_f32_e32 v211, v209
	v_fmac_f32_e32 v210, 0x32a5705f, v194
	v_sub_f32_e32 v209, v209, v211
	v_add_f32_e32 v209, v209, v210
	v_exp_f32_e32 v209, v209
	v_cvt_i32_f32_e32 v210, v211
	v_cmp_ngt_f32_e32 vcc, s63, v194
	v_ldexp_f32 v209, v209, v210
	s_nop 0
	v_cndmask_b32_e32 v209, 0, v209, vcc
	v_cmp_nlt_f32_e32 vcc, s62, v194
	v_sub_f32_e32 v194, v208, v193
	v_mul_f32_e32 v208, 0x3fb8aa3b, v194
	v_fma_f32 v210, v194, s11, -v208
	v_rndne_f32_e32 v211, v208
	v_fmac_f32_e32 v210, 0x32a5705f, v194
	v_sub_f32_e32 v208, v208, v211
	v_add_f32_e32 v208, v208, v210
	v_exp_f32_e32 v208, v208
	v_cvt_i32_f32_e32 v210, v211
	v_cndmask_b32_e32 v209, v191, v209, vcc
	v_cmp_ngt_f32_e32 vcc, s63, v194
	v_add_f32_e32 v19, v209, v19
	v_ldexp_f32 v208, v208, v210
	v_cndmask_b32_e32 v208, 0, v208, vcc
	v_cmp_nlt_f32_e32 vcc, s62, v194
	v_sub_f32_e32 v194, v220, v193
	v_mul_f32_e32 v210, 0x3fb8aa3b, v194
	v_fma_f32 v211, v194, s11, -v210
	v_rndne_f32_e32 v212, v210
	v_fmac_f32_e32 v211, 0x32a5705f, v194
	v_sub_f32_e32 v210, v210, v212
	v_add_f32_e32 v210, v210, v211
	v_exp_f32_e32 v210, v210
	v_cvt_i32_f32_e32 v211, v212
	v_cndmask_b32_e32 v208, v191, v208, vcc
	v_cmp_ngt_f32_e32 vcc, s63, v194
	v_add_f32_e32 v19, v208, v19
	v_ldexp_f32 v210, v210, v211
	;; [unrolled: 15-line block ×4, first 2 shown]
	v_cndmask_b32_e32 v212, 0, v212, vcc
	v_cmp_nlt_f32_e32 vcc, s62, v194
	s_nop 1
	v_cndmask_b32_e32 v212, v191, v212, vcc
	v_add_f32_e32 v194, v212, v19
	v_sub_f32_e32 v19, v214, v193
	v_mul_f32_e32 v214, 0x3fb8aa3b, v19
	v_fma_f32 v215, v19, s11, -v214
	v_rndne_f32_e32 v216, v214
	v_fmac_f32_e32 v215, 0x32a5705f, v19
	v_sub_f32_e32 v214, v214, v216
	v_add_f32_e32 v214, v214, v215
	v_exp_f32_e32 v214, v214
	v_cvt_i32_f32_e32 v215, v216
	v_cmp_ngt_f32_e32 vcc, s63, v19
	v_ldexp_f32 v214, v214, v215
	s_nop 0
	v_cndmask_b32_e32 v214, 0, v214, vcc
	v_cmp_nlt_f32_e32 vcc, s62, v19
	s_nop 1
	v_cndmask_b32_e32 v214, v191, v214, vcc
	v_cmp_le_f32_e32 vcc, s94, v19
	s_nop 1
	v_cndmask_b32_e32 v19, 0, v214, vcc
	v_fmac_f32_e32 v194, v213, v19
	v_cvt_f16_f32_e32 v19, v19
	v_mul_u32_u24_e32 v214, 0x10001, v19
	v_pk_mul_f16 v213, v207, v214
	v_pk_mul_f16 v19, v206, v214
	;; [unrolled: 1-line block ×12, first 2 shown]
	global_load_dwordx4 v[214:217], v[34:35], off
	v_lshl_add_u64 v[198:199], v[36:37], 0, v[68:69]
	v_lshl_add_u64 v[34:35], v[34:35], 0, s[66:67]
	;; [unrolled: 1-line block ×3, first 2 shown]
	s_waitcnt vmcnt(0)
	ds_write_b128 v73, v[214:217]
	global_load_dwordx4 v[214:217], v[198:199], off
	v_lshl_add_u64 v[198:199], v[104:105], 0, v[68:69]
	v_lshl_add_u64 v[104:105], v[104:105], 0, s[66:67]
	s_waitcnt vmcnt(0)
	ds_write_b128 v75, v[214:217]
	global_load_dwordx4 v[214:217], v[198:199], off
	s_waitcnt vmcnt(0)
	ds_write_b128 v165, v[214:217]
	s_waitcnt lgkmcnt(0)
	s_barrier
	ds_read_u16 v198, v122 offset:208
	v_cvt_f32_f16_e32 v214, v213
	v_cvt_f32_f16_sdwa v215, v213 dst_sel:DWORD dst_unused:UNUSED_PAD src0_sel:WORD_1
	v_cvt_f32_f16_e32 v216, v19
	v_cvt_f32_f16_sdwa v217, v19 dst_sel:DWORD dst_unused:UNUSED_PAD src0_sel:WORD_1
	ds_read_u16 v19, v123
	ds_read_u16 v213, v123 offset:32
	ds_read_u16 v199, v124
	ds_read_u16 v218, v124 offset:32
	s_waitcnt lgkmcnt(1)
	v_perm_b32 v199, v199, v19, s34
	ds_read_u16 v19, v122
	ds_read_u16 v219, v122 offset:32
	s_waitcnt lgkmcnt(1)
	v_perm_b32 v198, v198, v19, s34
	v_cvt_pk_f16_f32 v19, v16, v18
	v_cvt_pk_f16_f32 v18, v14, v15
	s_nop 1
	v_mfma_f32_16x16x16_f16 v[214:217], v[198:199], v[18:19], v[214:217]
	ds_read_u16 v199, v122 offset:3328
	ds_read_u16 v220, v122 offset:3536
	;; [unrolled: 1-line block ×4, first 2 shown]
	s_nop 3
	v_cvt_f16_f32_e32 v14, v214
	v_cvt_f16_f32_e32 v15, v215
	;; [unrolled: 1-line block ×4, first 2 shown]
	v_cvt_f32_f16_e32 v214, v14
	v_cvt_f32_f16_e32 v215, v15
	s_waitcnt lgkmcnt(0)
	v_perm_b32 v15, v222, v221, s34
	v_perm_b32 v14, v220, v199, s34
	v_cvt_f32_f16_e32 v216, v16
	v_cvt_f32_f16_e32 v217, v198
	s_nop 1
	v_mfma_f32_16x16x16_f16 v[14:17], v[14:15], v[20:21], v[214:217]
	ds_read_u16 v23, v122 offset:6656
	ds_read_u16 v198, v122 offset:6864
	;; [unrolled: 1-line block ×4, first 2 shown]
	s_nop 3
	v_cvt_f16_f32_e32 v14, v14
	v_cvt_f16_f32_e32 v15, v15
	;; [unrolled: 1-line block ×4, first 2 shown]
	s_waitcnt lgkmcnt(0)
	v_perm_b32 v199, v214, v199, s34
	v_perm_b32 v198, v198, v23, s34
	v_cvt_f32_f16_e32 v14, v14
	v_cvt_f32_f16_e32 v15, v15
	;; [unrolled: 1-line block ×4, first 2 shown]
	v_cvt_pk_f16_f32 v23, v25, v209
	v_cvt_f32_f16_sdwa v209, v207 dst_sel:DWORD dst_unused:UNUSED_PAD src0_sel:WORD_1
	s_nop 0
	v_mfma_f32_16x16x16_f16 v[14:17], v[198:199], v[22:23], v[14:17]
	ds_read_u16 v24, v122 offset:9984
	ds_read_u16 v25, v122 offset:10192
	;; [unrolled: 1-line block ×4, first 2 shown]
	s_waitcnt lgkmcnt(0)
	v_perm_b32 v199, v199, v198, s34
	s_nop 1
	v_cvt_f16_f32_e32 v14, v14
	v_cvt_f16_f32_e32 v15, v15
	;; [unrolled: 1-line block ×4, first 2 shown]
	v_perm_b32 v198, v25, v24, s34
	v_cvt_f32_f16_e32 v14, v14
	v_cvt_f32_f16_e32 v15, v15
	v_cvt_f32_f16_e32 v16, v16
	v_cvt_f32_f16_e32 v17, v17
	v_cvt_pk_f16_f32 v25, v211, v212
	v_cvt_pk_f16_f32 v24, v208, v210
	v_cvt_f32_f16_e32 v208, v207
	v_cvt_f32_f16_e32 v210, v206
	v_mfma_f32_16x16x16_f16 v[14:17], v[198:199], v[24:25], v[14:17]
	ds_read_u16 v198, v122 offset:240
	v_perm_b32 v199, v218, v213, s34
	v_cvt_f32_f16_sdwa v211, v206 dst_sel:DWORD dst_unused:UNUSED_PAD src0_sel:WORD_1
	s_waitcnt lgkmcnt(0)
	v_perm_b32 v198, v198, v219, s34
	s_nop 1
	v_mfma_f32_16x16x16_f16 v[206:209], v[198:199], v[18:19], v[208:211]
	s_nop 2
	ds_read_u16 v210, v122 offset:3360
	ds_read_u16 v211, v122 offset:3568
	;; [unrolled: 1-line block ×4, first 2 shown]
	s_nop 0
	v_cvt_f16_f32_e32 v198, v206
	v_cvt_f16_f32_e32 v199, v207
	;; [unrolled: 1-line block ×4, first 2 shown]
	v_cvt_f32_f16_e32 v206, v198
	v_cvt_f32_f16_e32 v207, v199
	s_waitcnt lgkmcnt(0)
	v_perm_b32 v199, v213, v212, s34
	v_perm_b32 v198, v211, v210, s34
	v_cvt_f32_f16_e32 v208, v208
	v_cvt_f32_f16_e32 v209, v209
	ds_read_u16 v210, v122 offset:6688
	ds_read_u16 v211, v122 offset:6896
	;; [unrolled: 1-line block ×4, first 2 shown]
	v_mfma_f32_16x16x16_f16 v[206:209], v[198:199], v[20:21], v[206:209]
	s_nop 7
	v_cvt_f16_f32_e32 v198, v206
	v_cvt_f16_f32_e32 v199, v207
	;; [unrolled: 1-line block ×4, first 2 shown]
	v_cvt_f32_f16_e32 v206, v198
	v_cvt_f32_f16_e32 v207, v199
	s_waitcnt lgkmcnt(0)
	v_perm_b32 v199, v213, v212, s34
	v_perm_b32 v198, v211, v210, s34
	v_cvt_f32_f16_e32 v208, v208
	v_cvt_f32_f16_e32 v209, v209
	ds_read_u16 v210, v122 offset:10016
	ds_read_u16 v211, v122 offset:10224
	;; [unrolled: 1-line block ×4, first 2 shown]
	v_mfma_f32_16x16x16_f16 v[206:209], v[198:199], v[22:23], v[206:209]
	s_nop 7
	v_cvt_f16_f32_e32 v198, v206
	v_cvt_f16_f32_e32 v199, v207
	;; [unrolled: 1-line block ×4, first 2 shown]
	v_cvt_f32_f16_e32 v206, v198
	v_cvt_f32_f16_e32 v207, v199
	s_waitcnt lgkmcnt(0)
	v_perm_b32 v199, v213, v212, s34
	v_perm_b32 v198, v211, v210, s34
	v_cvt_f32_f16_e32 v208, v208
	v_cvt_f32_f16_e32 v209, v209
	;; [unrolled: 1-line block ×3, first 2 shown]
	v_cvt_f32_f16_sdwa v211, v205 dst_sel:DWORD dst_unused:UNUSED_PAD src0_sel:WORD_1
	v_mfma_f32_16x16x16_f16 v[206:209], v[198:199], v[24:25], v[206:209]
	ds_read_u16 v198, v122 offset:64
	ds_read_u16 v214, v122 offset:272
	;; [unrolled: 1-line block ×4, first 2 shown]
	v_cvt_f32_f16_e32 v212, v204
	v_cvt_f32_f16_sdwa v213, v204 dst_sel:DWORD dst_unused:UNUSED_PAD src0_sel:WORD_1
	s_waitcnt lgkmcnt(2)
	v_perm_b32 v198, v214, v198, s34
	s_waitcnt lgkmcnt(0)
	v_perm_b32 v199, v215, v199, s34
	ds_read_u16 v214, v122 offset:3392
	ds_read_u16 v215, v122 offset:3600
	ds_read_u16 v216, v123 offset:3392
	ds_read_u16 v217, v124 offset:3392
	v_mfma_f32_16x16x16_f16 v[210:213], v[198:199], v[18:19], v[210:213]
	s_nop 7
	v_cvt_f16_f32_e32 v198, v210
	v_cvt_f16_f32_e32 v199, v211
	v_cvt_f16_f32_e32 v204, v212
	v_cvt_f16_f32_e32 v205, v213
	v_cvt_f32_f16_e32 v210, v198
	v_cvt_f32_f16_e32 v211, v199
	s_waitcnt lgkmcnt(0)
	v_perm_b32 v199, v217, v216, s34
	v_perm_b32 v198, v215, v214, s34
	v_cvt_f32_f16_e32 v212, v204
	v_cvt_f32_f16_e32 v213, v205
	ds_read_u16 v214, v122 offset:6720
	ds_read_u16 v215, v122 offset:6928
	ds_read_u16 v216, v123 offset:6720
	ds_read_u16 v217, v124 offset:6720
	v_mfma_f32_16x16x16_f16 v[210:213], v[198:199], v[20:21], v[210:213]
	s_nop 7
	v_cvt_f16_f32_e32 v198, v210
	v_cvt_f16_f32_e32 v199, v211
	v_cvt_f16_f32_e32 v204, v212
	v_cvt_f16_f32_e32 v205, v213
	v_cvt_f32_f16_e32 v210, v198
	v_cvt_f32_f16_e32 v211, v199
	s_waitcnt lgkmcnt(0)
	v_perm_b32 v199, v217, v216, s34
	v_perm_b32 v198, v215, v214, s34
	v_cvt_f32_f16_e32 v212, v204
	v_cvt_f32_f16_e32 v213, v205
	;; [unrolled: 17-line block ×3, first 2 shown]
	v_cvt_f32_f16_e32 v214, v203
	v_cvt_f32_f16_sdwa v215, v203 dst_sel:DWORD dst_unused:UNUSED_PAD src0_sel:WORD_1
	v_mfma_f32_16x16x16_f16 v[210:213], v[198:199], v[24:25], v[210:213]
	ds_read_u16 v198, v122 offset:96
	ds_read_u16 v204, v122 offset:304
	ds_read_u16 v199, v123 offset:96
	ds_read_u16 v205, v124 offset:96
	v_cvt_f32_f16_e32 v216, v202
	v_cvt_f32_f16_sdwa v217, v202 dst_sel:DWORD dst_unused:UNUSED_PAD src0_sel:WORD_1
	s_waitcnt lgkmcnt(2)
	v_perm_b32 v198, v204, v198, s34
	s_waitcnt lgkmcnt(0)
	v_perm_b32 v199, v205, v199, s34
	s_nop 1
	v_mfma_f32_16x16x16_f16 v[202:205], v[198:199], v[18:19], v[214:217]
	s_nop 2
	ds_read_u16 v214, v122 offset:3424
	ds_read_u16 v215, v122 offset:3632
	;; [unrolled: 1-line block ×4, first 2 shown]
	s_nop 0
	v_cvt_f16_f32_e32 v198, v202
	v_cvt_f16_f32_e32 v199, v203
	;; [unrolled: 1-line block ×4, first 2 shown]
	v_cvt_f32_f16_e32 v202, v198
	v_cvt_f32_f16_e32 v203, v199
	s_waitcnt lgkmcnt(0)
	v_perm_b32 v199, v217, v216, s34
	v_perm_b32 v198, v215, v214, s34
	v_cvt_f32_f16_e32 v204, v204
	v_cvt_f32_f16_e32 v205, v205
	ds_read_u16 v214, v122 offset:6752
	ds_read_u16 v215, v122 offset:6960
	;; [unrolled: 1-line block ×4, first 2 shown]
	v_mfma_f32_16x16x16_f16 v[202:205], v[198:199], v[20:21], v[202:205]
	s_nop 7
	v_cvt_f16_f32_e32 v198, v202
	v_cvt_f16_f32_e32 v199, v203
	;; [unrolled: 1-line block ×4, first 2 shown]
	v_cvt_f32_f16_e32 v202, v198
	v_cvt_f32_f16_e32 v203, v199
	s_waitcnt lgkmcnt(0)
	v_perm_b32 v199, v217, v216, s34
	v_perm_b32 v198, v215, v214, s34
	v_cvt_f32_f16_e32 v204, v204
	v_cvt_f32_f16_e32 v205, v205
	ds_read_u16 v214, v122 offset:10080
	ds_read_u16 v215, v122 offset:10288
	;; [unrolled: 1-line block ×4, first 2 shown]
	v_mfma_f32_16x16x16_f16 v[202:205], v[198:199], v[22:23], v[202:205]
	s_nop 7
	v_cvt_f16_f32_e32 v198, v202
	v_cvt_f16_f32_e32 v199, v203
	;; [unrolled: 1-line block ×4, first 2 shown]
	v_cvt_f32_f16_e32 v202, v198
	v_cvt_f32_f16_e32 v203, v199
	s_waitcnt lgkmcnt(0)
	v_perm_b32 v199, v217, v216, s34
	v_perm_b32 v198, v215, v214, s34
	v_cvt_f32_f16_e32 v204, v204
	v_cvt_f32_f16_e32 v205, v205
	;; [unrolled: 1-line block ×3, first 2 shown]
	v_cvt_f32_f16_sdwa v215, v201 dst_sel:DWORD dst_unused:UNUSED_PAD src0_sel:WORD_1
	v_mfma_f32_16x16x16_f16 v[202:205], v[198:199], v[24:25], v[202:205]
	ds_read_u16 v198, v122 offset:128
	ds_read_u16 v218, v122 offset:336
	;; [unrolled: 1-line block ×4, first 2 shown]
	v_cvt_f32_f16_e32 v216, v200
	v_cvt_f32_f16_sdwa v217, v200 dst_sel:DWORD dst_unused:UNUSED_PAD src0_sel:WORD_1
	s_waitcnt lgkmcnt(2)
	v_perm_b32 v198, v218, v198, s34
	s_waitcnt lgkmcnt(0)
	v_perm_b32 v199, v219, v199, s34
	s_nop 1
	v_mfma_f32_16x16x16_f16 v[198:201], v[198:199], v[18:19], v[214:217]
	s_nop 2
	ds_read_u16 v214, v122 offset:3456
	ds_read_u16 v216, v122 offset:3664
	;; [unrolled: 1-line block ×4, first 2 shown]
	s_nop 0
	v_cvt_f16_f32_e32 v198, v198
	v_cvt_f16_f32_e32 v199, v199
	;; [unrolled: 1-line block ×4, first 2 shown]
	s_waitcnt lgkmcnt(0)
	v_perm_b32 v215, v217, v215, s34
	v_perm_b32 v214, v216, v214, s34
	v_cvt_f32_f16_e32 v198, v198
	v_cvt_f32_f16_e32 v199, v199
	;; [unrolled: 1-line block ×4, first 2 shown]
	s_nop 1
	v_mfma_f32_16x16x16_f16 v[198:201], v[214:215], v[20:21], v[198:201]
	ds_read_u16 v214, v122 offset:6784
	ds_read_u16 v216, v122 offset:6992
	;; [unrolled: 1-line block ×4, first 2 shown]
	s_nop 3
	v_cvt_f16_f32_e32 v198, v198
	v_cvt_f16_f32_e32 v199, v199
	v_cvt_f16_f32_e32 v200, v200
	v_cvt_f16_f32_e32 v201, v201
	s_waitcnt lgkmcnt(0)
	v_perm_b32 v215, v217, v215, s34
	v_perm_b32 v214, v216, v214, s34
	v_cvt_f32_f16_e32 v198, v198
	v_cvt_f32_f16_e32 v199, v199
	;; [unrolled: 1-line block ×4, first 2 shown]
	s_nop 1
	v_mfma_f32_16x16x16_f16 v[198:201], v[214:215], v[22:23], v[198:201]
	ds_read_u16 v214, v122 offset:10112
	ds_read_u16 v216, v122 offset:10320
	;; [unrolled: 1-line block ×8, first 2 shown]
	v_cvt_f16_f32_e32 v198, v198
	v_cvt_f16_f32_e32 v199, v199
	;; [unrolled: 1-line block ×4, first 2 shown]
	s_waitcnt lgkmcnt(4)
	v_perm_b32 v215, v217, v215, s34
	v_perm_b32 v214, v216, v214, s34
	v_cvt_f32_f16_e32 v198, v198
	v_cvt_f32_f16_e32 v199, v199
	v_cvt_f32_f16_e32 v200, v200
	v_cvt_f32_f16_e32 v201, v201
	s_nop 1
	v_mfma_f32_16x16x16_f16 v[214:217], v[214:215], v[24:25], v[198:201]
	s_nop 2
	v_cvt_f32_f16_e32 v198, v197
	v_cvt_f32_f16_sdwa v199, v197 dst_sel:DWORD dst_unused:UNUSED_PAD src0_sel:WORD_1
	v_cvt_f32_f16_e32 v200, v196
	v_cvt_f32_f16_sdwa v201, v196 dst_sel:DWORD dst_unused:UNUSED_PAD src0_sel:WORD_1
	s_waitcnt lgkmcnt(0)
	v_perm_b32 v197, v221, v220, s34
	v_perm_b32 v196, v219, v218, s34
	s_nop 1
	v_mfma_f32_16x16x16_f16 v[196:199], v[196:197], v[18:19], v[198:201]
	s_nop 2
	ds_read_u16 v200, v122 offset:3488
	ds_read_u16 v201, v122 offset:3696
	;; [unrolled: 1-line block ×4, first 2 shown]
	s_nop 0
	v_cvt_f16_f32_e32 v18, v196
	v_cvt_f16_f32_e32 v19, v197
	;; [unrolled: 1-line block ×4, first 2 shown]
	v_cvt_f32_f16_e32 v196, v18
	v_cvt_f32_f16_e32 v197, v19
	s_waitcnt lgkmcnt(0)
	v_perm_b32 v19, v219, v218, s34
	v_perm_b32 v18, v201, v200, s34
	v_cvt_f32_f16_e32 v198, v198
	v_cvt_f32_f16_e32 v199, v199
	v_cvt_pk_f16_f32 v201, v214, v215
	v_cvt_pk_f16_f32 v200, v216, v217
	v_mfma_f32_16x16x16_f16 v[18:21], v[18:19], v[20:21], v[196:199]
	s_nop 2
	ds_read_u16 v196, v122 offset:6816
	ds_read_u16 v198, v122 offset:7024
	;; [unrolled: 1-line block ×4, first 2 shown]
	s_nop 0
	v_cvt_f16_f32_e32 v18, v18
	v_cvt_f16_f32_e32 v19, v19
	;; [unrolled: 1-line block ×4, first 2 shown]
	s_waitcnt lgkmcnt(0)
	v_perm_b32 v197, v199, v197, s34
	v_perm_b32 v196, v198, v196, s34
	v_cvt_f32_f16_e32 v18, v18
	v_cvt_f32_f16_e32 v19, v19
	;; [unrolled: 1-line block ×4, first 2 shown]
	s_nop 1
	v_mfma_f32_16x16x16_f16 v[18:21], v[196:197], v[22:23], v[18:21]
	ds_read_u16 v22, v122 offset:10144
	ds_read_u16 v196, v122 offset:10352
	;; [unrolled: 1-line block ×4, first 2 shown]
	s_waitcnt lgkmcnt(0)
	s_barrier
	s_nop 1
	v_cvt_f16_f32_e32 v18, v18
	v_cvt_f16_f32_e32 v19, v19
	;; [unrolled: 1-line block ×4, first 2 shown]
	v_perm_b32 v23, v197, v23, s34
	v_perm_b32 v22, v196, v22, s34
	v_cvt_f32_f16_e32 v18, v18
	v_cvt_f32_f16_e32 v19, v19
	;; [unrolled: 1-line block ×4, first 2 shown]
	v_cvt_pk_f16_f32 v196, v202, v203
	v_cvt_pk_f16_f32 v197, v204, v205
	v_mfma_f32_16x16x16_f16 v[18:21], v[22:23], v[24:25], v[18:21]
	v_cvt_pk_f16_f32 v203, v210, v211
	v_cvt_pk_f16_f32 v202, v212, v213
	;; [unrolled: 1-line block ×6, first 2 shown]
	s_nop 1
	v_cvt_pk_f16_f32 v199, v18, v19
	v_cvt_pk_f16_f32 v198, v20, v21
	s_cbranch_scc1 .LBB14_185
; %bb.186:                              ;   in Loop: Header=BB14_12 Depth=1
	v_mad_i64_i32 v[14:15], s[60:61], v26, s10, 0
	v_mad_i64_i32 v[16:17], s[60:61], v28, s10, 0
	v_readlane_b32 s60, v232, 10
	v_readlane_b32 s61, v232, 11
	s_lshl_b32 s92, s35, 6
	s_mov_b32 s35, s61
	s_mov_b32 s93, s61
	v_writelane_b32 v232, s34, 10
	s_nop 1
	v_writelane_b32 v232, s35, 11
	s_branch .LBB14_188
.LBB14_187:                             ;   in Loop: Header=BB14_12 Depth=1
	v_mov_b32_e32 v193, 0xfeffffff
	v_mov_b32_e32 v194, 0
	s_mov_b64 s[92:93], 0
	v_mov_b32_e32 v198, 0
	v_mov_b32_e32 v199, 0
	;; [unrolled: 1-line block ×12, first 2 shown]
.LBB14_188:                             ;   in Loop: Header=BB14_12 Depth=1
	s_lshl_b64 s[60:61], s[92:93], 1
	v_lshl_add_u64 v[18:19], v[98:99], 0, s[60:61]
	v_lshlrev_b32_e32 v58, 1, v72
	v_lshl_add_u64 v[18:19], v[18:19], 0, v[58:59]
	v_lshl_add_u64 v[14:15], v[14:15], 1, v[18:19]
	global_load_dword v14, v[14:15], off
	v_add_u32_e32 v20, v164, v162
	s_mul_i32 s35, s92, s55
	s_mul_hi_u32 s60, s92, s54
	s_add_i32 s61, s60, s35
	s_mul_i32 s60, s92, s54
	s_lshl_b64 s[60:61], s[60:61], 2
	v_lshlrev_b32_e32 v58, 2, v44
	v_add_u32_e32 v24, 0x800, v166
	v_cmp_lt_i32_e32 vcc, v118, v109
	s_mul_i32 s35, s92, s57
	s_waitcnt vmcnt(0)
	ds_write_b32 v20, v14 offset:13312
	v_lshl_add_u64 v[14:15], v[16:17], 1, v[18:19]
	global_load_dword v14, v[14:15], off
	v_lshl_add_u64 v[16:17], v[96:97], 0, s[60:61]
	s_mul_hi_u32 s60, s92, s56
	s_add_i32 s61, s60, s35
	s_mul_i32 s60, s92, s56
	s_lshl_b64 s[60:61], s[60:61], 2
	v_lshl_add_u64 v[94:95], v[94:95], 0, s[60:61]
	s_waitcnt vmcnt(0)
	ds_write_b32 v20, v14 offset:14464
	v_lshl_add_u64 v[14:15], v[42:43], 2, v[16:17]
	v_lshl_add_u64 v[18:19], v[14:15], 0, v[58:59]
	v_lshl_add_u64 v[20:21], v[48:49], 2, v[16:17]
	v_lshlrev_b32_e32 v14, 2, v46
	v_mov_b32_e32 v15, v59
	v_lshl_add_u64 v[16:17], v[50:51], 2, v[16:17]
	v_lshl_add_u64 v[22:23], v[16:17], 0, v[14:15]
	global_load_dwordx4 v[16:19], v[18:19], off offset:128
	v_lshl_add_u64 v[20:21], v[20:21], 0, v[14:15]
	s_waitcnt vmcnt(0)
	ds_write_b128 v73, v[16:19]
	global_load_dwordx4 v[16:19], v[20:21], off
	s_waitcnt vmcnt(0)
	ds_write_b128 v75, v[16:19]
	global_load_dwordx4 v[16:19], v[22:23], off
	s_waitcnt vmcnt(0)
	ds_write_b128 v165, v[16:19]
	s_waitcnt lgkmcnt(0)
	s_barrier
	ds_read2_b64 v[16:19], v166 offset1:4
	s_waitcnt lgkmcnt(0)
	v_mfma_f32_16x16x16_f16 v[20:23], v[16:17], v[10:11], 0
	v_mfma_f32_16x16x16_f16 v[16:19], v[18:19], v[12:13], v[20:23]
	s_nop 6
	ds_read2_b64 v[20:23], v166 offset0:8 offset1:12
	s_waitcnt lgkmcnt(0)
	v_mfma_f32_16x16x16_f16 v[16:19], v[20:21], v[6:7], v[16:19]
	v_mfma_f32_16x16x16_f16 v[16:19], v[22:23], v[8:9], v[16:19]
	ds_read2_b64 v[20:23], v166 offset0:16 offset1:20
	s_waitcnt lgkmcnt(0)
	v_mfma_f32_16x16x16_f16 v[16:19], v[20:21], v[2:3], v[16:19]
	v_mfma_f32_16x16x16_f16 v[16:19], v[22:23], v[4:5], v[16:19]
	;; [unrolled: 4-line block ×3, first 2 shown]
	s_nop 6
	ds_read2_b64 v[30:33], v24 offset0:168 offset1:172
	s_waitcnt lgkmcnt(0)
	v_mfma_f32_16x16x16_f16 v[20:23], v[30:31], v[6:7], v[20:23]
	v_mfma_f32_16x16x16_f16 v[20:23], v[32:33], v[8:9], v[20:23]
	ds_read2_b64 v[30:33], v24 offset0:176 offset1:180
	v_add_u32_e32 v24, 0x1800, v166
	s_waitcnt lgkmcnt(0)
	v_mfma_f32_16x16x16_f16 v[20:23], v[30:31], v[2:3], v[20:23]
	v_mfma_f32_16x16x16_f16 v[30:33], v[32:33], v[4:5], v[20:23]
	s_nop 6
	ds_read2_b64 v[20:23], v24 offset0:64 offset1:68
	s_waitcnt lgkmcnt(0)
	v_mfma_f32_16x16x16_f16 v[34:37], v[20:21], v[10:11], 0
	v_mfma_f32_16x16x16_f16 v[20:23], v[22:23], v[12:13], v[34:37]
	s_nop 6
	ds_read2_b64 v[34:37], v24 offset0:72 offset1:76
	s_waitcnt lgkmcnt(0)
	v_mfma_f32_16x16x16_f16 v[20:23], v[34:35], v[6:7], v[20:23]
	v_mfma_f32_16x16x16_f16 v[20:23], v[36:37], v[8:9], v[20:23]
	ds_read2_b64 v[34:37], v24 offset0:80 offset1:84
	v_add_u32_e32 v24, 0x2000, v166
	s_waitcnt lgkmcnt(0)
	v_mfma_f32_16x16x16_f16 v[20:23], v[34:35], v[2:3], v[20:23]
	v_mfma_f32_16x16x16_f16 v[34:37], v[36:37], v[4:5], v[20:23]
	s_nop 6
	ds_read2_b64 v[20:23], v24 offset0:224 offset1:228
	s_waitcnt lgkmcnt(0)
	v_mfma_f32_16x16x16_f16 v[96:99], v[20:21], v[10:11], 0
	v_mfma_f32_16x16x16_f16 v[10:13], v[22:23], v[12:13], v[96:99]
	ds_read2_b64 v[20:23], v24 offset0:232 offset1:236
	s_waitcnt lgkmcnt(0)
	v_mfma_f32_16x16x16_f16 v[10:13], v[20:21], v[6:7], v[10:13]
	v_mfma_f32_16x16x16_f16 v[6:9], v[22:23], v[8:9], v[10:13]
	s_nop 6
	ds_read2_b64 v[10:13], v24 offset0:240 offset1:244
	s_waitcnt lgkmcnt(0)
	v_mfma_f32_16x16x16_f16 v[6:9], v[10:11], v[2:3], v[6:9]
	s_barrier
	v_mfma_f32_16x16x16_f16 v[2:5], v[12:13], v[4:5], v[6:9]
	s_nop 5
	ds_read_b32 v6, v79 offset:13312
	s_waitcnt lgkmcnt(0)
	v_cvt_f32_f16_e32 v7, v6
	v_cvt_f32_f16_sdwa v6, v6 dst_sel:DWORD dst_unused:UNUSED_PAD src0_sel:WORD_1
	v_add_f32_e32 v20, v16, v7
	v_add_f32_e32 v25, v17, v6
	ds_read_b32 v6, v120 offset:13312
	s_waitcnt lgkmcnt(0)
	v_cvt_f32_f16_e32 v7, v6
	v_cvt_f32_f16_sdwa v6, v6 dst_sel:DWORD dst_unused:UNUSED_PAD src0_sel:WORD_1
	v_add_f32_e32 v18, v18, v7
	v_add_f32_e32 v19, v19, v6
	v_add_u32_e32 v6, 0x3400, v167
	ds_read2_b32 v[6:7], v6 offset1:1
	s_waitcnt lgkmcnt(0)
	v_cvt_f32_f16_e32 v8, v6
	v_cvt_f32_f16_sdwa v6, v6 dst_sel:DWORD dst_unused:UNUSED_PAD src0_sel:WORD_1
	v_add_f32_e32 v23, v30, v8
	v_add_f32_e32 v22, v31, v6
	v_cvt_f32_f16_e32 v6, v7
	v_cvt_f32_f16_sdwa v7, v7 dst_sel:DWORD dst_unused:UNUSED_PAD src0_sel:WORD_1
	v_add_f32_e32 v21, v32, v6
	v_add_u32_e32 v6, 0x3400, v168
	v_add_f32_e32 v12, v33, v7
	ds_read2_b32 v[6:7], v6 offset1:1
	s_waitcnt lgkmcnt(0)
	v_cvt_f32_f16_e32 v8, v6
	v_cvt_f32_f16_sdwa v6, v6 dst_sel:DWORD dst_unused:UNUSED_PAD src0_sel:WORD_1
	v_add_f32_e32 v11, v34, v8
	v_add_f32_e32 v10, v35, v6
	v_cvt_f32_f16_e32 v6, v7
	v_cvt_f32_f16_sdwa v7, v7 dst_sel:DWORD dst_unused:UNUSED_PAD src0_sel:WORD_1
	v_add_u32_e32 v35, v121, v63
	v_add_f32_e32 v9, v36, v6
	v_add_u32_e32 v6, 0x3400, v169
	v_add_f32_e32 v8, v37, v7
	ds_read2_b32 v[6:7], v6 offset1:1
	v_add_u32_e32 v36, v121, v47
	s_waitcnt lgkmcnt(0)
	v_cvt_f32_f16_e32 v13, v6
	v_cvt_f32_f16_sdwa v6, v6 dst_sel:DWORD dst_unused:UNUSED_PAD src0_sel:WORD_1
	v_add_f32_e32 v13, v2, v13
	v_add_f32_e32 v2, v3, v6
	v_cvt_f32_f16_e32 v3, v7
	v_cvt_f32_f16_sdwa v6, v7 dst_sel:DWORD dst_unused:UNUSED_PAD src0_sel:WORD_1
	v_add_f32_e32 v7, 0x40051340, v19
	v_add_f32_e32 v4, v4, v3
	;; [unrolled: 1-line block ×5, first 2 shown]
	v_max3_f32 v5, v193, v5, v6
	v_add_f32_e32 v6, 0x40051340, v18
	v_max3_f32 v5, v5, v6, v7
	v_add_f32_e32 v6, 0x40051340, v23
	v_add_f32_e32 v7, 0x40051340, v22
	v_max3_f32 v5, v5, v6, v7
	v_add_f32_e32 v6, 0x40051340, v21
	;; [unrolled: 3-line block ×6, first 2 shown]
	v_add_f32_e32 v7, 0x40051340, v3
	v_max3_f32 v5, v5, v6, v7
	v_cndmask_b32_e32 v6, v108, v118, vcc
	v_lshlrev_b32_e32 v24, 2, v6
	ds_bpermute_b32 v6, v24, v5
	v_cmp_lt_i32_e32 vcc, v119, v109
	s_waitcnt lgkmcnt(0)
	v_max_f32_e32 v6, v6, v6
	v_max_f32_e32 v5, v5, v6
	v_cndmask_b32_e32 v6, v108, v119, vcc
	v_lshlrev_b32_e32 v17, 2, v6
	ds_bpermute_b32 v6, v17, v5
	s_waitcnt lgkmcnt(0)
	v_max_f32_e32 v6, v6, v6
	v_max_f32_e32 v16, v5, v6
	v_sub_f32_e32 v5, v20, v16
	v_mul_f32_e32 v6, 0x3fb8aa3b, v5
	v_fma_f32 v7, v5, s11, -v6
	v_rndne_f32_e32 v20, v6
	v_fmac_f32_e32 v7, 0x32a5705f, v5
	v_sub_f32_e32 v6, v6, v20
	v_add_f32_e32 v6, v6, v7
	v_exp_f32_e32 v6, v6
	v_cvt_i32_f32_e32 v7, v20
	v_cmp_ngt_f32_e32 vcc, s63, v5
	v_sub_f32_e32 v18, v18, v16
	v_sub_f32_e32 v19, v19, v16
	v_ldexp_f32 v6, v6, v7
	v_cndmask_b32_e32 v6, 0, v6, vcc
	v_cmp_nlt_f32_e32 vcc, s62, v5
	v_sub_f32_e32 v5, v25, v16
	v_mul_f32_e32 v7, 0x3fb8aa3b, v5
	v_fma_f32 v20, v5, s11, -v7
	v_rndne_f32_e32 v25, v7
	v_fmac_f32_e32 v20, 0x32a5705f, v5
	v_sub_f32_e32 v7, v7, v25
	v_add_f32_e32 v7, v7, v20
	v_exp_f32_e32 v7, v7
	v_cvt_i32_f32_e32 v20, v25
	v_cndmask_b32_e32 v6, v191, v6, vcc
	v_cmp_ngt_f32_e32 vcc, s63, v5
	v_sub_f32_e32 v22, v22, v16
	v_ldexp_f32 v7, v7, v20
	v_mul_f32_e32 v20, 0x3fb8aa3b, v18
	v_fma_f32 v25, v18, s11, -v20
	v_rndne_f32_e32 v26, v20
	v_fmac_f32_e32 v25, 0x32a5705f, v18
	v_sub_f32_e32 v20, v20, v26
	v_add_f32_e32 v20, v20, v25
	v_exp_f32_e32 v20, v20
	v_cvt_i32_f32_e32 v25, v26
	v_cndmask_b32_e32 v7, 0, v7, vcc
	v_cmp_nlt_f32_e32 vcc, s62, v5
	v_sub_f32_e32 v21, v21, v16
	v_ldexp_f32 v20, v20, v25
	v_cndmask_b32_e32 v7, v191, v7, vcc
	v_cmp_ngt_f32_e32 vcc, s63, v18
	v_sub_f32_e32 v12, v12, v16
	v_sub_f32_e32 v11, v11, v16
	v_cndmask_b32_e32 v20, 0, v20, vcc
	v_cmp_nlt_f32_e32 vcc, s62, v18
	v_sub_f32_e32 v10, v10, v16
	v_sub_f32_e32 v9, v9, v16
	v_cndmask_b32_e32 v18, v191, v20, vcc
	v_mul_f32_e32 v20, 0x3fb8aa3b, v19
	v_fma_f32 v25, v19, s11, -v20
	v_rndne_f32_e32 v26, v20
	v_fmac_f32_e32 v25, 0x32a5705f, v19
	v_sub_f32_e32 v20, v20, v26
	v_add_f32_e32 v20, v20, v25
	v_exp_f32_e32 v20, v20
	v_cvt_i32_f32_e32 v25, v26
	v_cmp_ngt_f32_e32 vcc, s63, v19
	v_sub_f32_e32 v8, v8, v16
	v_add_f32_e32 v5, v6, v7
	v_ldexp_f32 v20, v20, v25
	v_cndmask_b32_e32 v20, 0, v20, vcc
	v_cmp_nlt_f32_e32 vcc, s62, v19
	v_sub_f32_e32 v19, v23, v16
	v_mul_f32_e32 v23, 0x3fb8aa3b, v19
	v_fma_f32 v25, v19, s11, -v23
	v_rndne_f32_e32 v26, v23
	v_fmac_f32_e32 v25, 0x32a5705f, v19
	v_sub_f32_e32 v23, v23, v26
	v_add_f32_e32 v23, v23, v25
	v_exp_f32_e32 v23, v23
	v_cvt_i32_f32_e32 v25, v26
	v_cndmask_b32_e32 v20, v191, v20, vcc
	v_cmp_ngt_f32_e32 vcc, s63, v19
	v_sub_f32_e32 v2, v2, v16
	v_ldexp_f32 v23, v23, v25
	v_cndmask_b32_e32 v23, 0, v23, vcc
	v_cmp_nlt_f32_e32 vcc, s62, v19
	v_add_f32_e32 v5, v18, v5
	v_add_f32_e32 v5, v20, v5
	v_cndmask_b32_e32 v19, v191, v23, vcc
	v_mul_f32_e32 v23, 0x3fb8aa3b, v22
	v_fma_f32 v25, v22, s11, -v23
	v_rndne_f32_e32 v26, v23
	v_fmac_f32_e32 v25, 0x32a5705f, v22
	v_sub_f32_e32 v23, v23, v26
	v_add_f32_e32 v23, v23, v25
	v_exp_f32_e32 v23, v23
	v_cvt_i32_f32_e32 v25, v26
	v_cmp_ngt_f32_e32 vcc, s63, v22
	v_add_f32_e32 v5, v19, v5
	v_sub_f32_e32 v4, v4, v16
	v_ldexp_f32 v23, v23, v25
	v_cndmask_b32_e32 v23, 0, v23, vcc
	v_cmp_nlt_f32_e32 vcc, s62, v22
	v_mul_f32_e32 v22, 0x3fb8aa3b, v21
	v_rndne_f32_e32 v25, v22
	v_cndmask_b32_e32 v26, v191, v23, vcc
	v_fma_f32 v23, v21, s11, -v22
	v_fmac_f32_e32 v23, 0x32a5705f, v21
	v_sub_f32_e32 v22, v22, v25
	v_add_f32_e32 v22, v22, v23
	v_exp_f32_e32 v22, v22
	v_cvt_i32_f32_e32 v23, v25
	v_cmp_ngt_f32_e32 vcc, s63, v21
	v_add_f32_e32 v5, v26, v5
	v_sub_f32_e32 v3, v3, v16
	v_ldexp_f32 v22, v22, v23
	v_cndmask_b32_e32 v22, 0, v22, vcc
	v_cmp_nlt_f32_e32 vcc, s62, v21
	s_nop 1
	v_cndmask_b32_e32 v21, v191, v22, vcc
	v_mul_f32_e32 v22, 0x3fb8aa3b, v12
	v_fma_f32 v23, v12, s11, -v22
	v_rndne_f32_e32 v25, v22
	v_fmac_f32_e32 v23, 0x32a5705f, v12
	v_sub_f32_e32 v22, v22, v25
	v_add_f32_e32 v22, v22, v23
	v_exp_f32_e32 v22, v22
	v_cvt_i32_f32_e32 v23, v25
	v_cmp_ngt_f32_e32 vcc, s63, v12
	v_add_f32_e32 v5, v21, v5
	v_ldexp_f32 v22, v22, v23
	v_cndmask_b32_e32 v22, 0, v22, vcc
	v_cmp_nlt_f32_e32 vcc, s62, v12
	v_mul_f32_e32 v12, 0x3fb8aa3b, v11
	v_rndne_f32_e32 v23, v12
	v_cndmask_b32_e32 v28, v191, v22, vcc
	v_fma_f32 v22, v11, s11, -v12
	v_fmac_f32_e32 v22, 0x32a5705f, v11
	v_sub_f32_e32 v12, v12, v23
	v_add_f32_e32 v12, v12, v22
	v_exp_f32_e32 v12, v12
	v_cvt_i32_f32_e32 v22, v23
	v_cmp_ngt_f32_e32 vcc, s63, v11
	v_add_f32_e32 v5, v28, v5
	v_cvt_pk_f16_f32 v21, v21, v28
	v_ldexp_f32 v12, v12, v22
	v_cndmask_b32_e32 v12, 0, v12, vcc
	v_cmp_nlt_f32_e32 vcc, s62, v11
	v_mul_f32_e32 v11, 0x3fb8aa3b, v10
	v_rndne_f32_e32 v22, v11
	v_cndmask_b32_e32 v30, v191, v12, vcc
	v_fma_f32 v12, v10, s11, -v11
	v_fmac_f32_e32 v12, 0x32a5705f, v10
	v_sub_f32_e32 v11, v11, v22
	v_add_f32_e32 v11, v11, v12
	v_exp_f32_e32 v11, v11
	v_cvt_i32_f32_e32 v12, v22
	v_cmp_ngt_f32_e32 vcc, s63, v10
	v_add_f32_e32 v5, v30, v5
	v_ldexp_f32 v11, v11, v12
	v_cndmask_b32_e32 v11, 0, v11, vcc
	v_cmp_nlt_f32_e32 vcc, s62, v10
	v_mul_f32_e32 v10, 0x3fb8aa3b, v9
	v_rndne_f32_e32 v12, v10
	v_cndmask_b32_e32 v31, v191, v11, vcc
	v_fma_f32 v11, v9, s11, -v10
	v_fmac_f32_e32 v11, 0x32a5705f, v9
	v_sub_f32_e32 v10, v10, v12
	v_add_f32_e32 v10, v10, v11
	v_exp_f32_e32 v10, v10
	v_cvt_i32_f32_e32 v11, v12
	v_cmp_ngt_f32_e32 vcc, s63, v9
	v_add_f32_e32 v5, v31, v5
	;; [unrolled: 14-line block ×3, first 2 shown]
	v_ldexp_f32 v9, v9, v10
	v_cndmask_b32_e32 v9, 0, v9, vcc
	v_cmp_nlt_f32_e32 vcc, s62, v8
	v_sub_f32_e32 v8, v13, v16
	s_nop 0
	v_cndmask_b32_e32 v96, v191, v9, vcc
	v_mul_f32_e32 v9, 0x3fb8aa3b, v8
	v_fma_f32 v10, v8, s11, -v9
	v_rndne_f32_e32 v11, v9
	v_fmac_f32_e32 v10, 0x32a5705f, v8
	v_sub_f32_e32 v9, v9, v11
	v_add_f32_e32 v9, v9, v10
	v_exp_f32_e32 v9, v9
	v_cvt_i32_f32_e32 v10, v11
	v_cmp_ngt_f32_e32 vcc, s63, v8
	v_add_f32_e32 v5, v96, v5
	v_ldexp_f32 v9, v9, v10
	v_cndmask_b32_e32 v9, 0, v9, vcc
	v_cmp_nlt_f32_e32 vcc, s62, v8
	v_mul_f32_e32 v8, 0x3fb8aa3b, v2
	v_rndne_f32_e32 v10, v8
	v_cndmask_b32_e32 v37, v191, v9, vcc
	v_fma_f32 v9, v2, s11, -v8
	v_fmac_f32_e32 v9, 0x32a5705f, v2
	v_sub_f32_e32 v8, v8, v10
	v_add_f32_e32 v8, v8, v9
	v_exp_f32_e32 v8, v8
	v_cvt_i32_f32_e32 v9, v10
	v_cmp_ngt_f32_e32 vcc, s63, v2
	v_add_f32_e32 v5, v37, v5
	v_ldexp_f32 v8, v8, v9
	v_cndmask_b32_e32 v8, 0, v8, vcc
	v_cmp_nlt_f32_e32 vcc, s62, v2
	s_nop 1
	v_cndmask_b32_e32 v97, v191, v8, vcc
	v_add_f32_e32 v2, v97, v5
	v_mul_f32_e32 v5, 0x3fb8aa3b, v4
	v_fma_f32 v8, v4, s11, -v5
	v_rndne_f32_e32 v9, v5
	v_fmac_f32_e32 v8, 0x32a5705f, v4
	v_sub_f32_e32 v5, v5, v9
	v_add_f32_e32 v5, v5, v8
	v_exp_f32_e32 v5, v5
	v_cvt_i32_f32_e32 v8, v9
	v_cmp_ngt_f32_e32 vcc, s63, v4
	v_ldexp_f32 v5, v5, v8
	s_nop 0
	v_cndmask_b32_e32 v5, 0, v5, vcc
	v_cmp_nlt_f32_e32 vcc, s62, v4
	v_mul_f32_e32 v4, 0x3fb8aa3b, v3
	v_rndne_f32_e32 v8, v4
	v_cndmask_b32_e32 v98, v191, v5, vcc
	v_fma_f32 v5, v3, s11, -v4
	v_fmac_f32_e32 v5, 0x32a5705f, v3
	v_sub_f32_e32 v4, v4, v8
	v_add_f32_e32 v4, v4, v5
	v_exp_f32_e32 v4, v4
	v_cvt_i32_f32_e32 v5, v8
	v_cmp_ngt_f32_e32 vcc, s63, v3
	v_add_f32_e32 v2, v98, v2
	v_ldexp_f32 v4, v4, v5
	v_cndmask_b32_e32 v4, 0, v4, vcc
	v_cmp_nlt_f32_e32 vcc, s62, v3
	s_nop 1
	v_cndmask_b32_e32 v99, v191, v4, vcc
	v_add_f32_e32 v25, v99, v2
	v_sub_f32_e32 v2, v193, v16
	v_mul_f32_e32 v3, 0x3fb8aa3b, v2
	v_fma_f32 v4, v2, s11, -v3
	v_rndne_f32_e32 v5, v3
	v_fmac_f32_e32 v4, 0x32a5705f, v2
	v_sub_f32_e32 v3, v3, v5
	v_add_f32_e32 v3, v3, v4
	v_exp_f32_e32 v3, v3
	v_cvt_i32_f32_e32 v4, v5
	v_cmp_ngt_f32_e32 vcc, s63, v2
	v_ldexp_f32 v3, v3, v4
	s_nop 0
	v_cndmask_b32_e32 v3, 0, v3, vcc
	v_cmp_nlt_f32_e32 vcc, s62, v2
	s_nop 1
	v_cndmask_b32_e32 v3, v191, v3, vcc
	v_cmp_le_f32_e32 vcc, s94, v2
	s_nop 1
	v_cndmask_b32_e32 v2, 0, v3, vcc
	v_fmac_f32_e32 v25, v194, v2
	v_cvt_f16_f32_e32 v2, v2
	v_cmp_eq_u64_e32 vcc, 0, v[92:93]
	s_and_b64 vcc, exec, vcc
	v_mul_u32_u24_e32 v2, 0x10001, v2
	v_pk_mul_f16 v23, v207, v2
	v_pk_mul_f16 v22, v206, v2
	;; [unrolled: 1-line block ×12, first 2 shown]
	v_lshl_add_u64 v[2:3], v[52:53], 2, v[94:95]
	v_lshl_add_u64 v[2:3], v[2:3], 0, v[58:59]
	global_load_dwordx4 v[2:5], v[2:3], off offset:128
	s_waitcnt vmcnt(0)
	ds_write_b128 v73, v[2:5]
	v_lshl_add_u64 v[2:3], v[54:55], 2, v[94:95]
	v_lshl_add_u64 v[2:3], v[2:3], 0, v[14:15]
	global_load_dwordx4 v[2:5], v[2:3], off
	s_waitcnt vmcnt(0)
	ds_write_b128 v75, v[2:5]
	v_lshl_add_u64 v[2:3], v[56:57], 2, v[94:95]
	v_lshl_add_u64 v[2:3], v[2:3], 0, v[14:15]
	global_load_dwordx4 v[2:5], v[2:3], off
	s_waitcnt vmcnt(0)
	ds_write_b128 v165, v[2:5]
	s_waitcnt lgkmcnt(0)
	s_barrier
	ds_read_u16 v14, v122 offset:208
	v_cvt_f32_f16_e32 v4, v22
	v_cvt_f32_f16_sdwa v5, v22 dst_sel:DWORD dst_unused:UNUSED_PAD src0_sel:WORD_1
	ds_read_u16 v15, v36
	ds_read_u16 v58, v36 offset:32
	ds_read_u16 v22, v35
	ds_read_u16 v94, v35 offset:32
	v_cvt_f32_f16_e32 v2, v23
	v_cvt_f32_f16_sdwa v3, v23 dst_sel:DWORD dst_unused:UNUSED_PAD src0_sel:WORD_1
	v_cvt_pk_f16_f32 v23, v18, v20
	s_waitcnt lgkmcnt(1)
	v_perm_b32 v15, v22, v15, s34
	ds_read_u16 v22, v122
	ds_read_u16 v95, v122 offset:32
	v_cvt_pk_f16_f32 v20, v19, v26
	v_cvt_pk_f16_f32 v19, v34, v96
	;; [unrolled: 1-line block ×3, first 2 shown]
	s_waitcnt lgkmcnt(1)
	v_perm_b32 v14, v14, v22, s34
	v_cvt_pk_f16_f32 v22, v6, v7
	v_perm_b32 v31, v94, v58, s34
	v_cvt_f32_f16_e32 v94, v9
	v_mfma_f32_16x16x16_f16 v[2:5], v[14:15], v[22:23], v[2:5]
	ds_read_u16 v6, v122 offset:3328
	ds_read_u16 v14, v122 offset:3536
	;; [unrolled: 1-line block ×4, first 2 shown]
	v_cvt_f32_f16_e32 v96, v8
	s_nop 2
	v_cvt_f16_f32_e32 v2, v2
	v_cvt_f16_f32_e32 v3, v3
	;; [unrolled: 1-line block ×4, first 2 shown]
	s_waitcnt lgkmcnt(0)
	v_perm_b32 v7, v15, v7, s34
	v_perm_b32 v6, v14, v6, s34
	v_cvt_f32_f16_e32 v2, v2
	v_cvt_f32_f16_e32 v3, v3
	;; [unrolled: 1-line block ×4, first 2 shown]
	s_nop 1
	v_mfma_f32_16x16x16_f16 v[2:5], v[6:7], v[20:21], v[2:5]
	ds_read_u16 v6, v122 offset:6656
	ds_read_u16 v14, v122 offset:6864
	;; [unrolled: 1-line block ×4, first 2 shown]
	s_nop 3
	v_cvt_f16_f32_e32 v2, v2
	v_cvt_f16_f32_e32 v3, v3
	;; [unrolled: 1-line block ×4, first 2 shown]
	s_waitcnt lgkmcnt(0)
	v_perm_b32 v7, v15, v7, s34
	v_perm_b32 v6, v14, v6, s34
	v_cvt_f32_f16_e32 v2, v2
	v_cvt_f32_f16_e32 v3, v3
	;; [unrolled: 1-line block ×4, first 2 shown]
	s_nop 1
	v_mfma_f32_16x16x16_f16 v[2:5], v[6:7], v[18:19], v[2:5]
	ds_read_u16 v6, v122 offset:9984
	ds_read_u16 v14, v122 offset:10192
	;; [unrolled: 1-line block ×5, first 2 shown]
	s_nop 2
	v_cvt_f16_f32_e32 v2, v2
	v_cvt_f16_f32_e32 v3, v3
	;; [unrolled: 1-line block ×4, first 2 shown]
	s_waitcnt lgkmcnt(1)
	v_perm_b32 v7, v15, v7, s34
	v_perm_b32 v6, v14, v6, s34
	v_cvt_f32_f16_e32 v2, v2
	v_cvt_f32_f16_e32 v3, v3
	;; [unrolled: 1-line block ×4, first 2 shown]
	v_cvt_pk_f16_f32 v15, v98, v99
	v_cvt_pk_f16_f32 v14, v37, v97
	s_waitcnt lgkmcnt(0)
	v_perm_b32 v30, v28, v95, s34
	v_cvt_f32_f16_sdwa v95, v9 dst_sel:DWORD dst_unused:UNUSED_PAD src0_sel:WORD_1
	v_mfma_f32_16x16x16_f16 v[2:5], v[6:7], v[14:15], v[2:5]
	v_cvt_f32_f16_e32 v6, v100
	v_cvt_f32_f16_sdwa v7, v100 dst_sel:DWORD dst_unused:UNUSED_PAD src0_sel:WORD_1
	v_cvt_f32_f16_sdwa v97, v8 dst_sel:DWORD dst_unused:UNUSED_PAD src0_sel:WORD_1
	s_nop 4
	v_cvt_f16_f32_e32 v4, v4
	v_cvt_f16_f32_e32 v5, v5
	v_perm_b32 v26, v5, v4, s34
	v_cvt_f32_f16_e32 v4, v101
	v_cvt_f32_f16_sdwa v5, v101 dst_sel:DWORD dst_unused:UNUSED_PAD src0_sel:WORD_1
	s_nop 1
	v_mfma_f32_16x16x16_f16 v[4:7], v[30:31], v[22:23], v[4:7]
	ds_read_u16 v28, v122 offset:3360
	ds_read_u16 v30, v122 offset:3568
	ds_read_u16 v31, v36 offset:3360
	ds_read_u16 v34, v35 offset:3360
	s_nop 3
	v_cvt_f16_f32_e32 v4, v4
	v_cvt_f16_f32_e32 v5, v5
	v_cvt_f16_f32_e32 v6, v6
	v_cvt_f16_f32_e32 v7, v7
	s_waitcnt lgkmcnt(0)
	v_perm_b32 v31, v34, v31, s34
	v_perm_b32 v30, v30, v28, s34
	v_cvt_f32_f16_e32 v4, v4
	v_cvt_f32_f16_e32 v5, v5
	v_cvt_f32_f16_e32 v6, v6
	v_cvt_f32_f16_e32 v7, v7
	s_nop 1
	v_mfma_f32_16x16x16_f16 v[4:7], v[30:31], v[20:21], v[4:7]
	ds_read_u16 v28, v122 offset:6688
	ds_read_u16 v30, v122 offset:6896
	ds_read_u16 v31, v36 offset:6688
	ds_read_u16 v34, v35 offset:6688
	s_nop 3
	v_cvt_f16_f32_e32 v4, v4
	v_cvt_f16_f32_e32 v5, v5
	v_cvt_f16_f32_e32 v6, v6
	v_cvt_f16_f32_e32 v7, v7
	s_waitcnt lgkmcnt(0)
	v_perm_b32 v31, v34, v31, s34
	v_perm_b32 v30, v30, v28, s34
	v_cvt_f32_f16_e32 v4, v4
	v_cvt_f32_f16_e32 v5, v5
	v_cvt_f32_f16_e32 v6, v6
	v_cvt_f32_f16_e32 v7, v7
	;; [unrolled: 18-line block ×3, first 2 shown]
	s_nop 1
	v_mfma_f32_16x16x16_f16 v[4:7], v[30:31], v[14:15], v[4:7]
	s_nop 7
	v_cvt_f16_f32_e32 v6, v6
	v_cvt_f16_f32_e32 v7, v7
	v_perm_b32 v28, v7, v6, s34
	ds_read_u16 v6, v122 offset:64
	ds_read_u16 v30, v122 offset:272
	;; [unrolled: 1-line block ×4, first 2 shown]
	s_waitcnt lgkmcnt(2)
	v_perm_b32 v6, v30, v6, s34
	s_waitcnt lgkmcnt(0)
	v_perm_b32 v7, v31, v7, s34
	ds_read_u16 v30, v122 offset:3392
	ds_read_u16 v34, v122 offset:3600
	;; [unrolled: 1-line block ×4, first 2 shown]
	v_mfma_f32_16x16x16_f16 v[6:9], v[6:7], v[22:23], v[94:97]
	s_waitcnt lgkmcnt(0)
	v_perm_b32 v31, v37, v31, s34
	v_perm_b32 v30, v34, v30, s34
	v_cvt_f32_f16_e32 v94, v11
	s_nop 3
	v_cvt_f16_f32_e32 v6, v6
	v_cvt_f16_f32_e32 v7, v7
	;; [unrolled: 1-line block ×4, first 2 shown]
	v_cvt_f32_f16_e32 v6, v6
	v_cvt_f32_f16_e32 v7, v7
	;; [unrolled: 1-line block ×4, first 2 shown]
	v_cvt_f32_f16_sdwa v95, v11 dst_sel:DWORD dst_unused:UNUSED_PAD src0_sel:WORD_1
	v_cvt_f32_f16_e32 v96, v10
	v_mfma_f32_16x16x16_f16 v[6:9], v[30:31], v[20:21], v[6:9]
	ds_read_u16 v30, v122 offset:6720
	ds_read_u16 v34, v122 offset:6928
	;; [unrolled: 1-line block ×4, first 2 shown]
	v_cvt_f32_f16_sdwa v97, v10 dst_sel:DWORD dst_unused:UNUSED_PAD src0_sel:WORD_1
	s_nop 2
	v_cvt_f16_f32_e32 v6, v6
	v_cvt_f16_f32_e32 v7, v7
	;; [unrolled: 1-line block ×4, first 2 shown]
	s_waitcnt lgkmcnt(0)
	v_perm_b32 v31, v37, v31, s34
	v_perm_b32 v30, v34, v30, s34
	v_cvt_f32_f16_e32 v6, v6
	v_cvt_f32_f16_e32 v7, v7
	;; [unrolled: 1-line block ×4, first 2 shown]
	s_nop 1
	v_mfma_f32_16x16x16_f16 v[6:9], v[30:31], v[18:19], v[6:9]
	ds_read_u16 v30, v122 offset:10048
	ds_read_u16 v34, v122 offset:10256
	;; [unrolled: 1-line block ×4, first 2 shown]
	s_nop 3
	v_cvt_f16_f32_e32 v6, v6
	v_cvt_f16_f32_e32 v7, v7
	v_cvt_f16_f32_e32 v8, v8
	v_cvt_f16_f32_e32 v9, v9
	s_waitcnt lgkmcnt(0)
	v_perm_b32 v31, v37, v31, s34
	v_perm_b32 v30, v34, v30, s34
	v_cvt_f32_f16_e32 v6, v6
	v_cvt_f32_f16_e32 v7, v7
	;; [unrolled: 1-line block ×4, first 2 shown]
	s_nop 1
	v_mfma_f32_16x16x16_f16 v[6:9], v[30:31], v[14:15], v[6:9]
	s_nop 7
	v_cvt_f16_f32_e32 v8, v8
	v_cvt_f16_f32_e32 v9, v9
	v_perm_b32 v30, v9, v8, s34
	ds_read_u16 v8, v122 offset:96
	ds_read_u16 v31, v122 offset:304
	;; [unrolled: 1-line block ×4, first 2 shown]
	s_waitcnt lgkmcnt(2)
	v_perm_b32 v8, v31, v8, s34
	s_waitcnt lgkmcnt(0)
	v_perm_b32 v9, v34, v9, s34
	ds_read_u16 v31, v122 offset:3424
	ds_read_u16 v34, v122 offset:3632
	;; [unrolled: 1-line block ×4, first 2 shown]
	v_mfma_f32_16x16x16_f16 v[8:11], v[8:9], v[22:23], v[94:97]
	s_waitcnt lgkmcnt(0)
	s_nop 1
	v_perm_b32 v95, v58, v37, s34
	v_perm_b32 v94, v34, v31, s34
	ds_read_u16 v31, v122 offset:6752
	ds_read_u16 v34, v122 offset:6960
	;; [unrolled: 1-line block ×4, first 2 shown]
	v_cvt_f16_f32_e32 v8, v8
	v_cvt_f16_f32_e32 v9, v9
	;; [unrolled: 1-line block ×4, first 2 shown]
	v_cvt_f32_f16_e32 v8, v8
	v_cvt_f32_f16_e32 v9, v9
	;; [unrolled: 1-line block ×5, first 2 shown]
	v_cvt_f32_f16_sdwa v97, v12 dst_sel:DWORD dst_unused:UNUSED_PAD src0_sel:WORD_1
	v_mfma_f32_16x16x16_f16 v[8:11], v[94:95], v[20:21], v[8:11]
	s_waitcnt lgkmcnt(0)
	v_perm_b32 v95, v58, v37, s34
	v_perm_b32 v94, v34, v31, s34
	ds_read_u16 v31, v122 offset:10080
	ds_read_u16 v34, v122 offset:10288
	;; [unrolled: 1-line block ×4, first 2 shown]
	s_nop 0
	v_cvt_f16_f32_e32 v8, v8
	v_cvt_f16_f32_e32 v9, v9
	;; [unrolled: 1-line block ×4, first 2 shown]
	v_cvt_f32_f16_e32 v8, v8
	v_cvt_f32_f16_e32 v9, v9
	;; [unrolled: 1-line block ×4, first 2 shown]
	s_nop 1
	v_mfma_f32_16x16x16_f16 v[8:11], v[94:95], v[18:19], v[8:11]
	s_waitcnt lgkmcnt(0)
	v_perm_b32 v95, v58, v37, s34
	v_perm_b32 v94, v34, v31, s34
	s_nop 4
	v_cvt_f16_f32_e32 v8, v8
	v_cvt_f16_f32_e32 v9, v9
	;; [unrolled: 1-line block ×4, first 2 shown]
	v_cvt_f32_f16_e32 v8, v8
	v_cvt_f32_f16_e32 v9, v9
	;; [unrolled: 1-line block ×4, first 2 shown]
	s_nop 1
	v_mfma_f32_16x16x16_f16 v[8:11], v[94:95], v[14:15], v[8:11]
	v_cvt_f32_f16_e32 v94, v13
	v_cvt_f32_f16_sdwa v95, v13 dst_sel:DWORD dst_unused:UNUSED_PAD src0_sel:WORD_1
	s_nop 5
	v_cvt_f16_f32_e32 v10, v10
	v_cvt_f16_f32_e32 v11, v11
	v_perm_b32 v31, v11, v10, s34
	ds_read_u16 v10, v122 offset:128
	ds_read_u16 v34, v122 offset:336
	;; [unrolled: 1-line block ×4, first 2 shown]
	s_waitcnt lgkmcnt(2)
	v_perm_b32 v10, v34, v10, s34
	s_waitcnt lgkmcnt(0)
	v_perm_b32 v11, v37, v11, s34
	s_nop 1
	v_mfma_f32_16x16x16_f16 v[10:13], v[10:11], v[22:23], v[94:97]
	ds_read_u16 v34, v122 offset:3456
	ds_read_u16 v37, v122 offset:3664
	;; [unrolled: 1-line block ×4, first 2 shown]
	v_cvt_f32_f16_e32 v96, v32
	v_cvt_f32_f16_sdwa v97, v32 dst_sel:DWORD dst_unused:UNUSED_PAD src0_sel:WORD_1
	s_nop 1
	v_cvt_f16_f32_e32 v10, v10
	v_cvt_f16_f32_e32 v11, v11
	;; [unrolled: 1-line block ×4, first 2 shown]
	s_waitcnt lgkmcnt(0)
	v_perm_b32 v95, v94, v58, s34
	v_perm_b32 v94, v37, v34, s34
	v_cvt_f32_f16_e32 v10, v10
	v_cvt_f32_f16_e32 v11, v11
	v_cvt_f32_f16_e32 v12, v12
	v_cvt_f32_f16_e32 v13, v13
	s_nop 1
	v_mfma_f32_16x16x16_f16 v[10:13], v[94:95], v[20:21], v[10:13]
	ds_read_u16 v34, v122 offset:6784
	ds_read_u16 v37, v122 offset:6992
	;; [unrolled: 1-line block ×4, first 2 shown]
	s_nop 3
	v_cvt_f16_f32_e32 v10, v10
	v_cvt_f16_f32_e32 v11, v11
	v_cvt_f16_f32_e32 v12, v12
	v_cvt_f16_f32_e32 v13, v13
	s_waitcnt lgkmcnt(0)
	v_perm_b32 v95, v94, v58, s34
	v_perm_b32 v94, v37, v34, s34
	v_cvt_f32_f16_e32 v10, v10
	v_cvt_f32_f16_e32 v11, v11
	;; [unrolled: 1-line block ×4, first 2 shown]
	s_nop 1
	v_mfma_f32_16x16x16_f16 v[10:13], v[94:95], v[18:19], v[10:13]
	ds_read_u16 v34, v122 offset:10112
	ds_read_u16 v37, v122 offset:10320
	;; [unrolled: 1-line block ×4, first 2 shown]
	s_nop 3
	v_cvt_f16_f32_e32 v10, v10
	v_cvt_f16_f32_e32 v11, v11
	;; [unrolled: 1-line block ×4, first 2 shown]
	s_waitcnt lgkmcnt(0)
	v_perm_b32 v95, v94, v58, s34
	v_perm_b32 v94, v37, v34, s34
	v_cvt_f32_f16_e32 v10, v10
	v_cvt_f32_f16_e32 v11, v11
	;; [unrolled: 1-line block ×4, first 2 shown]
	s_nop 1
	v_mfma_f32_16x16x16_f16 v[10:13], v[94:95], v[14:15], v[10:13]
	v_cvt_f32_f16_e32 v94, v33
	v_cvt_f32_f16_sdwa v95, v33 dst_sel:DWORD dst_unused:UNUSED_PAD src0_sel:WORD_1
	s_nop 5
	v_cvt_f16_f32_e32 v12, v12
	v_cvt_f16_f32_e32 v13, v13
	v_perm_b32 v34, v13, v12, s34
	ds_read_u16 v12, v122 offset:160
	ds_read_u16 v37, v122 offset:368
	;; [unrolled: 1-line block ×4, first 2 shown]
	s_waitcnt lgkmcnt(2)
	v_perm_b32 v12, v37, v12, s34
	s_waitcnt lgkmcnt(0)
	v_perm_b32 v13, v58, v13, s34
	ds_read_u16 v32, v122 offset:3488
	ds_read_u16 v33, v122 offset:3696
	;; [unrolled: 1-line block ×4, first 2 shown]
	v_mfma_f32_16x16x16_f16 v[94:97], v[12:13], v[22:23], v[94:97]
	s_nop 7
	v_cvt_f16_f32_e32 v12, v94
	v_cvt_f16_f32_e32 v13, v95
	;; [unrolled: 1-line block ×4, first 2 shown]
	v_cvt_f32_f16_e32 v94, v12
	v_cvt_f32_f16_e32 v95, v13
	s_waitcnt lgkmcnt(0)
	v_perm_b32 v13, v58, v37, s34
	v_perm_b32 v12, v33, v32, s34
	v_cvt_f32_f16_e32 v96, v22
	v_cvt_f32_f16_e32 v97, v23
	ds_read_u16 v32, v122 offset:6816
	ds_read_u16 v33, v122 offset:7024
	;; [unrolled: 1-line block ×4, first 2 shown]
	v_mfma_f32_16x16x16_f16 v[20:23], v[12:13], v[20:21], v[94:97]
	s_nop 7
	v_cvt_f16_f32_e32 v12, v20
	v_cvt_f16_f32_e32 v13, v21
	;; [unrolled: 1-line block ×4, first 2 shown]
	v_cvt_f32_f16_e32 v20, v12
	v_cvt_f32_f16_e32 v21, v13
	s_waitcnt lgkmcnt(0)
	v_perm_b32 v13, v58, v37, s34
	v_perm_b32 v12, v33, v32, s34
	v_cvt_f32_f16_e32 v22, v22
	v_cvt_f32_f16_e32 v23, v23
	s_nop 1
	v_mfma_f32_16x16x16_f16 v[18:21], v[12:13], v[18:19], v[20:23]
	ds_read_u16 v12, v122 offset:10144
	ds_read_u16 v13, v122 offset:10352
	s_nop 0
	ds_read_u16 v22, v36 offset:10144
	ds_read_u16 v23, v35 offset:10144
	s_waitcnt lgkmcnt(0)
	s_barrier
	s_nop 0
	v_cvt_f16_f32_e32 v18, v18
	v_cvt_f16_f32_e32 v19, v19
	;; [unrolled: 1-line block ×4, first 2 shown]
	v_perm_b32 v23, v23, v22, s34
	v_perm_b32 v22, v13, v12, s34
	v_cvt_f32_f16_e32 v18, v18
	v_cvt_f32_f16_e32 v19, v19
	v_cvt_f32_f16_e32 v20, v20
	v_cvt_f32_f16_e32 v21, v21
	s_nop 1
	v_mfma_f32_16x16x16_f16 v[12:15], v[22:23], v[14:15], v[18:21]
	s_nop 7
	v_cvt_f16_f32_e32 v14, v14
	v_cvt_f16_f32_e32 v15, v15
	v_perm_b32 v14, v15, v14, s34
	ds_bpermute_b32 v15, v24, v25
	s_waitcnt lgkmcnt(0)
	v_add_f32_e32 v15, v25, v15
	ds_bpermute_b32 v17, v17, v15
	s_waitcnt lgkmcnt(0)
	v_add_f32_e32 v17, v15, v17
	s_cbranch_vccnz .LBB14_251
; %bb.189:                              ;   in Loop: Header=BB14_12 Depth=1
	v_cvt_pk_f16_f32 v3, v2, v3
	v_lshlrev_b32_e32 v2, 2, v62
	v_readfirstlane_b32 s60, v92
	v_readfirstlane_b32 s61, v93
	v_cvt_pk_f16_f32 v4, v4, v5
	v_cvt_pk_f16_f32 v5, v6, v7
	v_max_f32_e32 v7, v16, v16
	v_cvt_pk_f16_f32 v8, v8, v9
	v_cvt_pk_f16_f32 v9, v10, v11
	global_load_dword v6, v2, s[60:61]
	v_cvt_pk_f16_f32 v10, v12, v13
	s_waitcnt vmcnt(0)
	v_max_f32_e32 v2, v6, v6
	v_max_f32_e32 v2, v7, v2
	v_sub_f32_e32 v7, v16, v2
	v_mul_f32_e32 v11, 0x3fb8aa3b, v7
	v_fma_f32 v12, v7, s11, -v11
	v_rndne_f32_e32 v13, v11
	v_fmac_f32_e32 v12, 0x32a5705f, v7
	v_sub_f32_e32 v11, v11, v13
	v_add_f32_e32 v11, v11, v12
	v_exp_f32_e32 v11, v11
	v_cvt_i32_f32_e32 v12, v13
	v_cmp_ngt_f32_e32 vcc, s63, v7
	v_ldexp_f32 v11, v11, v12
	s_nop 0
	v_cndmask_b32_e32 v11, 0, v11, vcc
	v_cmp_nlt_f32_e32 vcc, s62, v7
	v_sub_f32_e32 v12, v6, v2
	s_nop 0
	v_cndmask_b32_e32 v11, v191, v11, vcc
	v_cmp_le_f32_e32 vcc, s94, v7
	s_nop 1
	v_cndmask_b32_e32 v11, 0, v11, vcc
	v_cvt_f16_f32_e32 v6, v11
	v_cmp_ngt_f32_e32 vcc, s63, v12
	v_mul_u32_u24_e32 v13, 0x10001, v6
	v_pk_mul_f16 v7, v3, v13
	v_mul_f32_e32 v3, 0x3fb8aa3b, v12
	v_pk_mul_f16 v26, v26, v13
	v_pk_mul_f16 v6, v4, v13
	;; [unrolled: 1-line block ×11, first 2 shown]
	v_fma_f32 v10, v12, s11, -v3
	v_rndne_f32_e32 v13, v3
	v_fmac_f32_e32 v10, 0x32a5705f, v12
	v_sub_f32_e32 v3, v3, v13
	v_add_f32_e32 v3, v3, v10
	v_exp_f32_e32 v3, v3
	v_cvt_i32_f32_e32 v10, v13
	v_ldexp_f32 v3, v3, v10
	v_cndmask_b32_e32 v3, 0, v3, vcc
	v_cmp_nlt_f32_e32 vcc, s62, v12
	s_nop 1
	v_cndmask_b32_e32 v3, v191, v3, vcc
	v_fmac_f32_e32 v3, v17, v11
	v_mov_b64_e32 v[16:17], v[2:3]
	s_and_saveexec_b64 s[92:93], s[0:1]
.LBB14_190:                             ;   in Loop: Header=BB14_12 Depth=1
	ds_write2_b32 v160, v16, v17 offset0:48 offset1:49
.LBB14_191:                             ;   in Loop: Header=BB14_12 Depth=1
	s_or_b64 exec, exec, s[92:93]
	v_add_u32_e32 v2, v77, v141
	s_waitcnt lgkmcnt(0)
	s_barrier
	ds_write2_b32 v2, v7, v26 offset1:1
	ds_write2_b32 v2, v6, v28 offset0:8 offset1:9
	ds_write2_b32 v2, v5, v30 offset0:16 offset1:17
	;; [unrolled: 1-line block ×5, first 2 shown]
	v_mov_b32_e32 v2, 50
	s_waitcnt lgkmcnt(0)
	s_barrier
	s_and_saveexec_b64 s[92:93], s[90:91]
	s_cbranch_execz .LBB14_193
; %bb.192:                              ;   in Loop: Header=BB14_12 Depth=1
	ds_read_b32 v6, v176 offset:196
	ds_read_b32 v4, v177
	v_mad_u64_u32 v[2:3], s[60:61], v192, s9, v[78:79]
	v_mad_u64_u32 v[2:3], s[60:61], v2, 48, v[40:41]
	s_waitcnt lgkmcnt(0)
	v_cvt_f32_f16_sdwa v5, v4 dst_sel:DWORD dst_unused:UNUSED_PAD src0_sel:WORD_1
	v_cvt_f32_f16_e32 v4, v4
	v_ashrrev_i32_e32 v3, 31, v2
	v_lshl_add_u64 v[2:3], v[2:3], 3, v[90:91]
	v_pk_add_f32 v[4:5], v[4:5], 0 op_sel_hi:[1,0]
	s_nop 0
	v_div_scale_f32 v7, s[60:61], v6, v6, v5
	v_rcp_f32_e32 v8, v7
	s_nop 0
	v_fma_f32 v9, -v7, v8, 1.0
	v_fmac_f32_e32 v8, v9, v8
	v_div_scale_f32 v9, vcc, v5, v6, v5
	v_mul_f32_e32 v10, v9, v8
	v_fma_f32 v11, -v7, v10, v9
	v_fmac_f32_e32 v10, v11, v8
	v_fma_f32 v7, -v7, v10, v9
	v_div_fmas_f32 v7, v7, v8, v10
	v_div_fixup_f32 v5, v7, v6, v5
	v_div_scale_f32 v7, s[60:61], v6, v6, v4
	v_rcp_f32_e32 v8, v7
	s_nop 0
	v_fma_f32 v9, -v7, v8, 1.0
	v_fmac_f32_e32 v8, v9, v8
	v_div_scale_f32 v9, vcc, v4, v6, v4
	v_mul_f32_e32 v10, v9, v8
	v_fma_f32 v11, -v7, v10, v9
	v_fmac_f32_e32 v10, v11, v8
	v_fma_f32 v7, -v7, v10, v9
	v_div_fmas_f32 v7, v7, v8, v10
	v_div_fixup_f32 v4, v7, v6, v4
	global_store_dwordx2 v[2:3], v[4:5], off
	v_mov_b32_e32 v2, 0
.LBB14_193:                             ;   in Loop: Header=BB14_12 Depth=1
	s_or_b64 exec, exec, s[92:93]
	v_cmp_gt_i32_e32 vcc, 50, v2
	s_mov_b64 s[92:93], -1
	s_and_saveexec_b64 s[90:91], vcc
; %bb.194:                              ;   in Loop: Header=BB14_12 Depth=1
	v_cmp_eq_u32_e32 vcc, 0, v2
	s_orn2_b64 s[92:93], vcc, exec
; %bb.195:                              ;   in Loop: Header=BB14_12 Depth=1
	s_or_b64 exec, exec, s[90:91]
	s_and_saveexec_b64 s[90:91], s[92:93]
	s_cbranch_execz .LBB14_228
; %bb.196:                              ;   in Loop: Header=BB14_12 Depth=1
	v_mov_b32_e32 v2, 50
	s_and_saveexec_b64 s[92:93], s[88:89]
	s_cbranch_execz .LBB14_198
; %bb.197:                              ;   in Loop: Header=BB14_12 Depth=1
	ds_read_b32 v6, v178 offset:196
	ds_read_b32 v4, v179
	v_mad_u64_u32 v[2:3], s[60:61], v117, s9, v[78:79]
	v_mad_u64_u32 v[2:3], s[60:61], v2, 48, v[40:41]
	s_waitcnt lgkmcnt(0)
	v_cvt_f32_f16_sdwa v5, v4 dst_sel:DWORD dst_unused:UNUSED_PAD src0_sel:WORD_1
	v_cvt_f32_f16_e32 v4, v4
	v_ashrrev_i32_e32 v3, 31, v2
	v_lshl_add_u64 v[2:3], v[2:3], 3, v[90:91]
	v_pk_add_f32 v[4:5], v[4:5], 0 op_sel_hi:[1,0]
	s_nop 0
	v_div_scale_f32 v7, s[60:61], v6, v6, v5
	v_rcp_f32_e32 v8, v7
	s_nop 0
	v_fma_f32 v9, -v7, v8, 1.0
	v_fmac_f32_e32 v8, v9, v8
	v_div_scale_f32 v9, vcc, v5, v6, v5
	v_mul_f32_e32 v10, v9, v8
	v_fma_f32 v11, -v7, v10, v9
	v_fmac_f32_e32 v10, v11, v8
	v_fma_f32 v7, -v7, v10, v9
	v_div_fmas_f32 v7, v7, v8, v10
	v_div_fixup_f32 v5, v7, v6, v5
	v_div_scale_f32 v7, s[60:61], v6, v6, v4
	v_rcp_f32_e32 v8, v7
	s_nop 0
	v_fma_f32 v9, -v7, v8, 1.0
	v_fmac_f32_e32 v8, v9, v8
	v_div_scale_f32 v9, vcc, v4, v6, v4
	v_mul_f32_e32 v10, v9, v8
	v_fma_f32 v11, -v7, v10, v9
	v_fmac_f32_e32 v10, v11, v8
	v_fma_f32 v7, -v7, v10, v9
	v_div_fmas_f32 v7, v7, v8, v10
	v_div_fixup_f32 v4, v7, v6, v4
	global_store_dwordx2 v[2:3], v[4:5], off
	v_mov_b32_e32 v2, 0
.LBB14_198:                             ;   in Loop: Header=BB14_12 Depth=1
	s_or_b64 exec, exec, s[92:93]
	v_cmp_gt_i32_e32 vcc, 50, v2
	s_mov_b64 s[88:89], -1
	s_and_saveexec_b64 s[92:93], vcc
; %bb.199:                              ;   in Loop: Header=BB14_12 Depth=1
	v_cmp_eq_u32_e32 vcc, 0, v2
	s_orn2_b64 s[88:89], vcc, exec
; %bb.200:                              ;   in Loop: Header=BB14_12 Depth=1
	s_or_b64 exec, exec, s[92:93]
	s_and_b64 exec, exec, s[88:89]
	s_cbranch_execz .LBB14_228
; %bb.201:                              ;   in Loop: Header=BB14_12 Depth=1
	v_mov_b32_e32 v2, 50
	s_and_saveexec_b64 s[88:89], s[86:87]
	s_cbranch_execz .LBB14_203
; %bb.202:                              ;   in Loop: Header=BB14_12 Depth=1
	ds_read_b32 v6, v142 offset:196
	ds_read_b32 v4, v180
	v_mad_u64_u32 v[2:3], s[60:61], v116, s9, v[78:79]
	v_mad_u64_u32 v[2:3], s[60:61], v2, 48, v[40:41]
	s_waitcnt lgkmcnt(0)
	v_cvt_f32_f16_sdwa v5, v4 dst_sel:DWORD dst_unused:UNUSED_PAD src0_sel:WORD_1
	v_cvt_f32_f16_e32 v4, v4
	v_ashrrev_i32_e32 v3, 31, v2
	v_lshl_add_u64 v[2:3], v[2:3], 3, v[90:91]
	v_pk_add_f32 v[4:5], v[4:5], 0 op_sel_hi:[1,0]
	s_nop 0
	v_div_scale_f32 v7, s[60:61], v6, v6, v5
	v_rcp_f32_e32 v8, v7
	s_nop 0
	v_fma_f32 v9, -v7, v8, 1.0
	v_fmac_f32_e32 v8, v9, v8
	v_div_scale_f32 v9, vcc, v5, v6, v5
	v_mul_f32_e32 v10, v9, v8
	v_fma_f32 v11, -v7, v10, v9
	v_fmac_f32_e32 v10, v11, v8
	v_fma_f32 v7, -v7, v10, v9
	v_div_fmas_f32 v7, v7, v8, v10
	v_div_fixup_f32 v5, v7, v6, v5
	v_div_scale_f32 v7, s[60:61], v6, v6, v4
	v_rcp_f32_e32 v8, v7
	s_nop 0
	v_fma_f32 v9, -v7, v8, 1.0
	v_fmac_f32_e32 v8, v9, v8
	v_div_scale_f32 v9, vcc, v4, v6, v4
	v_mul_f32_e32 v10, v9, v8
	v_fma_f32 v11, -v7, v10, v9
	v_fmac_f32_e32 v10, v11, v8
	v_fma_f32 v7, -v7, v10, v9
	v_div_fmas_f32 v7, v7, v8, v10
	v_div_fixup_f32 v4, v7, v6, v4
	global_store_dwordx2 v[2:3], v[4:5], off
	v_mov_b32_e32 v2, 0
.LBB14_203:                             ;   in Loop: Header=BB14_12 Depth=1
	s_or_b64 exec, exec, s[88:89]
	v_cmp_gt_i32_e32 vcc, 50, v2
	s_mov_b64 s[86:87], -1
	s_and_saveexec_b64 s[88:89], vcc
; %bb.204:                              ;   in Loop: Header=BB14_12 Depth=1
	v_cmp_eq_u32_e32 vcc, 0, v2
	s_orn2_b64 s[86:87], vcc, exec
; %bb.205:                              ;   in Loop: Header=BB14_12 Depth=1
	s_or_b64 exec, exec, s[88:89]
	s_and_b64 exec, exec, s[86:87]
	;; [unrolled: 54-line block ×4, first 2 shown]
	s_cbranch_execz .LBB14_228
; %bb.216:                              ;   in Loop: Header=BB14_12 Depth=1
	v_mov_b32_e32 v2, 50
	s_and_saveexec_b64 s[82:83], s[80:81]
	s_cbranch_execz .LBB14_218
; %bb.217:                              ;   in Loop: Header=BB14_12 Depth=1
	ds_read_b32 v2, v185
	ds_read_b32 v6, v184 offset:196
	v_mad_u64_u32 v[4:5], s[60:61], v113, s9, v[78:79]
	v_mad_u64_u32 v[4:5], s[60:61], v4, 48, v[40:41]
	s_waitcnt lgkmcnt(1)
	v_cvt_f32_f16_sdwa v3, v2 dst_sel:DWORD dst_unused:UNUSED_PAD src0_sel:WORD_1
	v_cvt_f32_f16_e32 v2, v2
	v_ashrrev_i32_e32 v5, 31, v4
	v_lshl_add_u64 v[4:5], v[4:5], 3, v[90:91]
	v_pk_add_f32 v[2:3], v[2:3], 0 op_sel_hi:[1,0]
	s_waitcnt lgkmcnt(0)
	v_div_scale_f32 v7, s[60:61], v6, v6, v3
	v_rcp_f32_e32 v8, v7
	s_nop 0
	v_fma_f32 v9, -v7, v8, 1.0
	v_fmac_f32_e32 v8, v9, v8
	v_div_scale_f32 v9, vcc, v3, v6, v3
	v_mul_f32_e32 v10, v9, v8
	v_fma_f32 v11, -v7, v10, v9
	v_fmac_f32_e32 v10, v11, v8
	v_fma_f32 v7, -v7, v10, v9
	v_div_scale_f32 v9, s[60:61], v6, v6, v2
	v_rcp_f32_e32 v11, v9
	v_div_fmas_f32 v7, v7, v8, v10
	v_div_fixup_f32 v3, v7, v6, v3
	v_fma_f32 v7, -v9, v11, 1.0
	v_fmac_f32_e32 v11, v7, v11
	v_div_scale_f32 v7, vcc, v2, v6, v2
	v_mul_f32_e32 v8, v7, v11
	v_fma_f32 v10, -v9, v8, v7
	v_fmac_f32_e32 v8, v10, v11
	v_fma_f32 v7, -v9, v8, v7
	v_div_fmas_f32 v7, v7, v11, v8
	v_div_fixup_f32 v2, v7, v6, v2
	global_store_dwordx2 v[4:5], v[2:3], off
	v_mov_b32_e32 v2, 0
.LBB14_218:                             ;   in Loop: Header=BB14_12 Depth=1
	s_or_b64 exec, exec, s[82:83]
	v_cmp_gt_i32_e32 vcc, 50, v2
	s_mov_b64 s[80:81], -1
	s_and_saveexec_b64 s[82:83], vcc
; %bb.219:                              ;   in Loop: Header=BB14_12 Depth=1
	v_cmp_eq_u32_e32 vcc, 0, v2
	s_orn2_b64 s[80:81], vcc, exec
; %bb.220:                              ;   in Loop: Header=BB14_12 Depth=1
	s_or_b64 exec, exec, s[82:83]
	s_and_b64 exec, exec, s[80:81]
	s_cbranch_execz .LBB14_228
; %bb.221:                              ;   in Loop: Header=BB14_12 Depth=1
	v_mov_b32_e32 v2, 50
	s_and_saveexec_b64 s[80:81], s[78:79]
	s_cbranch_execz .LBB14_223
; %bb.222:                              ;   in Loop: Header=BB14_12 Depth=1
	ds_read_b32 v2, v186
	ds_read_b32 v6, v144 offset:196
	v_mad_u64_u32 v[4:5], s[60:61], v112, s9, v[78:79]
	v_mad_u64_u32 v[4:5], s[60:61], v4, 48, v[40:41]
	s_waitcnt lgkmcnt(1)
	v_cvt_f32_f16_sdwa v3, v2 dst_sel:DWORD dst_unused:UNUSED_PAD src0_sel:WORD_1
	v_cvt_f32_f16_e32 v2, v2
	v_ashrrev_i32_e32 v5, 31, v4
	v_lshl_add_u64 v[4:5], v[4:5], 3, v[90:91]
	v_pk_add_f32 v[2:3], v[2:3], 0 op_sel_hi:[1,0]
	s_waitcnt lgkmcnt(0)
	v_div_scale_f32 v7, s[60:61], v6, v6, v3
	v_rcp_f32_e32 v8, v7
	s_nop 0
	v_fma_f32 v9, -v7, v8, 1.0
	v_fmac_f32_e32 v8, v9, v8
	v_div_scale_f32 v9, vcc, v3, v6, v3
	v_mul_f32_e32 v10, v9, v8
	v_fma_f32 v11, -v7, v10, v9
	v_fmac_f32_e32 v10, v11, v8
	v_fma_f32 v7, -v7, v10, v9
	v_div_scale_f32 v9, s[60:61], v6, v6, v2
	v_rcp_f32_e32 v11, v9
	v_div_fmas_f32 v7, v7, v8, v10
	v_div_fixup_f32 v3, v7, v6, v3
	v_fma_f32 v7, -v9, v11, 1.0
	v_fmac_f32_e32 v11, v7, v11
	v_div_scale_f32 v7, vcc, v2, v6, v2
	v_mul_f32_e32 v8, v7, v11
	v_fma_f32 v10, -v9, v8, v7
	v_fmac_f32_e32 v8, v10, v11
	v_fma_f32 v7, -v9, v8, v7
	v_div_fmas_f32 v7, v7, v11, v8
	v_div_fixup_f32 v2, v7, v6, v2
	global_store_dwordx2 v[4:5], v[2:3], off
	v_mov_b32_e32 v2, 0
.LBB14_223:                             ;   in Loop: Header=BB14_12 Depth=1
	s_or_b64 exec, exec, s[80:81]
	v_cmp_gt_i32_e32 vcc, 50, v2
	s_mov_b64 s[78:79], -1
	s_and_saveexec_b64 s[80:81], vcc
; %bb.224:                              ;   in Loop: Header=BB14_12 Depth=1
	v_cmp_eq_u32_e32 vcc, 0, v2
	s_orn2_b64 s[78:79], vcc, exec
; %bb.225:                              ;   in Loop: Header=BB14_12 Depth=1
	s_or_b64 exec, exec, s[80:81]
	s_and_b64 exec, exec, s[78:79]
	s_cbranch_execz .LBB14_228
; %bb.226:                              ;   in Loop: Header=BB14_12 Depth=1
	s_and_b64 exec, exec, s[76:77]
	s_cbranch_execz .LBB14_228
; %bb.227:                              ;   in Loop: Header=BB14_12 Depth=1
	ds_read_b32 v2, v188
	ds_read_b32 v6, v187 offset:196
	v_mad_u64_u32 v[4:5], s[60:61], v111, s9, v[78:79]
	v_mad_u64_u32 v[4:5], s[60:61], v4, 48, v[40:41]
	s_waitcnt lgkmcnt(1)
	v_cvt_f32_f16_sdwa v3, v2 dst_sel:DWORD dst_unused:UNUSED_PAD src0_sel:WORD_1
	v_cvt_f32_f16_e32 v2, v2
	v_ashrrev_i32_e32 v5, 31, v4
	v_lshl_add_u64 v[4:5], v[4:5], 3, v[90:91]
	v_pk_add_f32 v[2:3], v[2:3], 0 op_sel_hi:[1,0]
	s_waitcnt lgkmcnt(0)
	v_div_scale_f32 v7, s[60:61], v6, v6, v3
	v_rcp_f32_e32 v8, v7
	s_nop 0
	v_fma_f32 v9, -v7, v8, 1.0
	v_fmac_f32_e32 v8, v9, v8
	v_div_scale_f32 v9, vcc, v3, v6, v3
	v_mul_f32_e32 v10, v9, v8
	v_fma_f32 v11, -v7, v10, v9
	v_fmac_f32_e32 v10, v11, v8
	v_fma_f32 v7, -v7, v10, v9
	v_div_scale_f32 v9, s[60:61], v6, v6, v2
	v_rcp_f32_e32 v11, v9
	v_div_fmas_f32 v7, v7, v8, v10
	v_div_fixup_f32 v3, v7, v6, v3
	v_fma_f32 v7, -v9, v11, 1.0
	v_fmac_f32_e32 v11, v7, v11
	v_div_scale_f32 v7, vcc, v2, v6, v2
	v_mul_f32_e32 v8, v7, v11
	v_fma_f32 v10, -v9, v8, v7
	v_fmac_f32_e32 v8, v10, v11
	v_fma_f32 v7, -v9, v8, v7
	v_div_fmas_f32 v7, v7, v11, v8
	v_div_fixup_f32 v2, v7, v6, v2
	global_store_dwordx2 v[4:5], v[2:3], off
.LBB14_228:                             ;   in Loop: Header=BB14_12 Depth=1
	s_or_b64 exec, exec, s[90:91]
	v_mov_b32_e32 v2, 50
	s_and_saveexec_b64 s[76:77], s[74:75]
	s_cbranch_execz .LBB14_230
; %bb.229:                              ;   in Loop: Header=BB14_12 Depth=1
	ds_read_b32 v2, v149 offset:128
	ds_read_b32 v6, v133 offset:196
	v_mad_u64_u32 v[4:5], s[60:61], v110, s9, v[74:75]
	v_mul_lo_u32 v4, v4, 48
	s_waitcnt lgkmcnt(1)
	v_cvt_f32_f16_sdwa v3, v2 dst_sel:DWORD dst_unused:UNUSED_PAD src0_sel:WORD_1
	v_cvt_f32_f16_e32 v2, v2
	v_ashrrev_i32_e32 v5, 31, v4
	v_or_b32_e32 v4, v4, v38
	v_lshl_add_u64 v[4:5], v[4:5], 3, v[90:91]
	v_pk_add_f32 v[2:3], v[2:3], 0 op_sel_hi:[1,0]
	s_waitcnt lgkmcnt(0)
	v_div_scale_f32 v7, s[60:61], v6, v6, v3
	v_rcp_f32_e32 v8, v7
	s_nop 0
	v_fma_f32 v9, -v7, v8, 1.0
	v_fmac_f32_e32 v8, v9, v8
	v_div_scale_f32 v9, vcc, v3, v6, v3
	v_mul_f32_e32 v10, v9, v8
	v_fma_f32 v11, -v7, v10, v9
	v_fmac_f32_e32 v10, v11, v8
	v_fma_f32 v7, -v7, v10, v9
	v_div_scale_f32 v9, s[60:61], v6, v6, v2
	v_rcp_f32_e32 v11, v9
	v_div_fmas_f32 v7, v7, v8, v10
	v_div_fixup_f32 v3, v7, v6, v3
	v_fma_f32 v7, -v9, v11, 1.0
	v_fmac_f32_e32 v11, v7, v11
	v_div_scale_f32 v7, vcc, v2, v6, v2
	v_mul_f32_e32 v8, v7, v11
	v_fma_f32 v10, -v9, v8, v7
	v_fmac_f32_e32 v8, v10, v11
	v_fma_f32 v7, -v9, v8, v7
	v_div_fmas_f32 v7, v7, v11, v8
	v_div_fixup_f32 v2, v7, v6, v2
	global_store_dwordx2 v[4:5], v[2:3], off offset:256
	v_mov_b32_e32 v2, 0
.LBB14_230:                             ;   in Loop: Header=BB14_12 Depth=1
	s_or_b64 exec, exec, s[76:77]
	v_cmp_gt_i32_e32 vcc, 50, v2
	s_mov_b64 s[76:77], -1
	s_and_saveexec_b64 s[74:75], vcc
; %bb.231:                              ;   in Loop: Header=BB14_12 Depth=1
	v_cmp_eq_u32_e32 vcc, 0, v2
	s_orn2_b64 s[76:77], vcc, exec
; %bb.232:                              ;   in Loop: Header=BB14_12 Depth=1
	s_or_b64 exec, exec, s[74:75]
                                        ; implicit-def: $vgpr2_vgpr3
	s_and_saveexec_b64 s[74:75], s[76:77]
	s_cbranch_execz .LBB14_248
; %bb.233:                              ;   in Loop: Header=BB14_12 Depth=1
	v_mov_b32_e32 v2, 50
	s_and_saveexec_b64 s[76:77], s[72:73]
	s_cbranch_execz .LBB14_235
; %bb.234:                              ;   in Loop: Header=BB14_12 Depth=1
	ds_read_b32 v2, v150 offset:128
	ds_read_b32 v6, v145 offset:196
	v_mad_u64_u32 v[4:5], s[60:61], v29, s9, v[74:75]
	v_mul_lo_u32 v4, v4, 48
	s_waitcnt lgkmcnt(1)
	v_cvt_f32_f16_sdwa v3, v2 dst_sel:DWORD dst_unused:UNUSED_PAD src0_sel:WORD_1
	v_cvt_f32_f16_e32 v2, v2
	v_ashrrev_i32_e32 v5, 31, v4
	v_or_b32_e32 v4, v4, v38
	v_lshl_add_u64 v[4:5], v[4:5], 3, v[90:91]
	v_pk_add_f32 v[2:3], v[2:3], 0 op_sel_hi:[1,0]
	s_waitcnt lgkmcnt(0)
	v_div_scale_f32 v7, s[60:61], v6, v6, v3
	v_rcp_f32_e32 v8, v7
	s_nop 0
	v_fma_f32 v9, -v7, v8, 1.0
	v_fmac_f32_e32 v8, v9, v8
	v_div_scale_f32 v9, vcc, v3, v6, v3
	v_mul_f32_e32 v10, v9, v8
	v_fma_f32 v11, -v7, v10, v9
	v_fmac_f32_e32 v10, v11, v8
	v_fma_f32 v7, -v7, v10, v9
	v_div_scale_f32 v9, s[60:61], v6, v6, v2
	v_rcp_f32_e32 v11, v9
	v_div_fmas_f32 v7, v7, v8, v10
	v_div_fixup_f32 v3, v7, v6, v3
	v_fma_f32 v7, -v9, v11, 1.0
	v_fmac_f32_e32 v11, v7, v11
	v_div_scale_f32 v7, vcc, v2, v6, v2
	v_mul_f32_e32 v8, v7, v11
	v_fma_f32 v10, -v9, v8, v7
	v_fmac_f32_e32 v8, v10, v11
	v_fma_f32 v7, -v9, v8, v7
	v_div_fmas_f32 v7, v7, v11, v8
	v_div_fixup_f32 v2, v7, v6, v2
	global_store_dwordx2 v[4:5], v[2:3], off offset:256
	v_mov_b32_e32 v2, 0
.LBB14_235:                             ;   in Loop: Header=BB14_12 Depth=1
	s_or_b64 exec, exec, s[76:77]
	v_cmp_gt_i32_e32 vcc, 50, v2
	s_mov_b64 s[78:79], -1
	s_and_saveexec_b64 s[72:73], vcc
; %bb.236:                              ;   in Loop: Header=BB14_12 Depth=1
	v_cmp_eq_u32_e32 vcc, 0, v2
	s_orn2_b64 s[78:79], vcc, exec
; %bb.237:                              ;   in Loop: Header=BB14_12 Depth=1
	s_or_b64 exec, exec, s[72:73]
	s_mov_b64 s[76:77], s[6:7]
                                        ; implicit-def: $vgpr2_vgpr3
	s_and_saveexec_b64 s[72:73], s[78:79]
	s_cbranch_execz .LBB14_247
; %bb.238:                              ;   in Loop: Header=BB14_12 Depth=1
	v_mov_b32_e32 v2, 50
	s_and_saveexec_b64 s[76:77], s[70:71]
	s_cbranch_execz .LBB14_240
; %bb.239:                              ;   in Loop: Header=BB14_12 Depth=1
	ds_read_b32 v2, v151 offset:128
	ds_read_b32 v6, v146 offset:196
	v_mad_u64_u32 v[4:5], s[60:61], v27, s9, v[74:75]
	v_mul_lo_u32 v4, v4, 48
	s_waitcnt lgkmcnt(1)
	v_cvt_f32_f16_sdwa v3, v2 dst_sel:DWORD dst_unused:UNUSED_PAD src0_sel:WORD_1
	v_cvt_f32_f16_e32 v2, v2
	v_ashrrev_i32_e32 v5, 31, v4
	v_or_b32_e32 v4, v4, v38
	v_lshl_add_u64 v[4:5], v[4:5], 3, v[90:91]
	v_pk_add_f32 v[2:3], v[2:3], 0 op_sel_hi:[1,0]
	s_waitcnt lgkmcnt(0)
	v_div_scale_f32 v7, s[60:61], v6, v6, v3
	v_rcp_f32_e32 v8, v7
	s_nop 0
	v_fma_f32 v9, -v7, v8, 1.0
	v_fmac_f32_e32 v8, v9, v8
	v_div_scale_f32 v9, vcc, v3, v6, v3
	v_mul_f32_e32 v10, v9, v8
	v_fma_f32 v11, -v7, v10, v9
	v_fmac_f32_e32 v10, v11, v8
	v_fma_f32 v7, -v7, v10, v9
	v_div_scale_f32 v9, s[60:61], v6, v6, v2
	v_rcp_f32_e32 v11, v9
	v_div_fmas_f32 v7, v7, v8, v10
	v_div_fixup_f32 v3, v7, v6, v3
	v_fma_f32 v7, -v9, v11, 1.0
	v_fmac_f32_e32 v11, v7, v11
	v_div_scale_f32 v7, vcc, v2, v6, v2
	v_mul_f32_e32 v8, v7, v11
	v_fma_f32 v10, -v9, v8, v7
	v_fmac_f32_e32 v8, v10, v11
	v_fma_f32 v7, -v9, v8, v7
	v_div_fmas_f32 v7, v7, v11, v8
	v_div_fixup_f32 v2, v7, v6, v2
	global_store_dwordx2 v[4:5], v[2:3], off offset:256
	v_mov_b32_e32 v2, 0
.LBB14_240:                             ;   in Loop: Header=BB14_12 Depth=1
	s_or_b64 exec, exec, s[76:77]
	v_cmp_gt_i32_e32 vcc, 50, v2
	s_mov_b64 s[78:79], -1
	s_and_saveexec_b64 s[70:71], vcc
; %bb.241:                              ;   in Loop: Header=BB14_12 Depth=1
	v_cmp_eq_u32_e32 vcc, 0, v2
	s_orn2_b64 s[78:79], vcc, exec
; %bb.242:                              ;   in Loop: Header=BB14_12 Depth=1
	s_or_b64 exec, exec, s[70:71]
	s_mov_b64 s[76:77], s[6:7]
                                        ; implicit-def: $vgpr2_vgpr3
	s_and_saveexec_b64 s[70:71], s[78:79]
	s_cbranch_execz .LBB14_246
; %bb.243:                              ;   in Loop: Header=BB14_12 Depth=1
	s_mov_b64 s[78:79], s[6:7]
                                        ; implicit-def: $vgpr2_vgpr3
	s_and_saveexec_b64 s[76:77], s[4:5]
	s_cbranch_execz .LBB14_245
; %bb.244:                              ;   in Loop: Header=BB14_12 Depth=1
	ds_read_b32 v2, v152 offset:128
	ds_read_b32 v4, v147 offset:196
	s_or_b64 s[78:79], s[6:7], exec
	s_waitcnt lgkmcnt(1)
	v_cvt_f32_f16_sdwa v3, v2 dst_sel:DWORD dst_unused:UNUSED_PAD src0_sel:WORD_1
	v_cvt_f32_f16_e32 v2, v2
	v_pk_add_f32 v[2:3], v[2:3], 0 op_sel_hi:[1,0]
	s_waitcnt lgkmcnt(0)
	v_div_scale_f32 v5, s[4:5], v4, v4, v3
	v_rcp_f32_e32 v7, v5
	v_div_scale_f32 v6, s[4:5], v4, v4, v2
	v_div_scale_f32 v9, vcc, v3, v4, v3
	v_fma_f32 v10, -v5, v7, 1.0
	v_fmac_f32_e32 v7, v10, v7
	v_rcp_f32_e32 v8, v6
	v_mul_f32_e32 v10, v9, v7
	v_fma_f32 v12, -v5, v10, v9
	v_fmac_f32_e32 v10, v12, v7
	v_fma_f32 v5, -v5, v10, v9
	v_fma_f32 v11, -v6, v8, 1.0
	v_div_fmas_f32 v5, v5, v7, v10
	v_div_fixup_f32 v3, v5, v4, v3
	v_fmac_f32_e32 v8, v11, v8
	v_div_scale_f32 v5, vcc, v2, v4, v2
	v_mul_f32_e32 v7, v5, v8
	v_fma_f32 v9, -v6, v7, v5
	v_fmac_f32_e32 v7, v9, v8
	v_fma_f32 v5, -v6, v7, v5
	v_div_fmas_f32 v5, v5, v8, v7
	v_div_fixup_f32 v2, v5, v4, v2
.LBB14_245:                             ;   in Loop: Header=BB14_12 Depth=1
	s_or_b64 exec, exec, s[76:77]
	s_andn2_b64 s[4:5], s[6:7], exec
	s_and_b64 s[60:61], s[78:79], exec
	s_or_b64 s[76:77], s[4:5], s[60:61]
.LBB14_246:                             ;   in Loop: Header=BB14_12 Depth=1
	s_or_b64 exec, exec, s[70:71]
	s_andn2_b64 s[4:5], s[6:7], exec
	s_and_b64 s[60:61], s[76:77], exec
	s_or_b64 s[76:77], s[4:5], s[60:61]
.LBB14_247:                             ;   in Loop: Header=BB14_12 Depth=1
	s_or_b64 exec, exec, s[72:73]
	s_andn2_b64 s[4:5], s[6:7], exec
	s_and_b64 s[6:7], s[76:77], exec
	s_or_b64 s[6:7], s[4:5], s[6:7]
.LBB14_248:                             ;   in Loop: Header=BB14_12 Depth=1
	s_or_b64 exec, exec, s[74:75]
.LBB14_249:                             ;   in Loop: Header=BB14_12 Depth=1
	s_and_saveexec_b64 s[4:5], s[6:7]
	s_cbranch_execz .LBB14_11
; %bb.250:                              ;   in Loop: Header=BB14_12 Depth=1
	v_mad_u64_u32 v[4:5], s[6:7], v81, s9, v[74:75]
	v_mul_lo_u32 v4, v4, 48
	v_ashrrev_i32_e32 v5, 31, v4
	v_or_b32_e32 v4, v4, v38
	v_lshl_add_u64 v[4:5], v[4:5], 3, v[90:91]
	global_store_dwordx2 v[4:5], v[2:3], off offset:256
	s_branch .LBB14_11
.LBB14_251:                             ;   in Loop: Header=BB14_12 Depth=1
	v_cvt_f16_f32_e32 v2, v2
	v_cvt_f16_f32_e32 v3, v3
	;; [unrolled: 1-line block ×12, first 2 shown]
	v_perm_b32 v4, v7, v4, s34
	v_perm_b32 v5, v6, v5, s34
	;; [unrolled: 1-line block ×6, first 2 shown]
	s_and_saveexec_b64 s[92:93], s[0:1]
	s_cbranch_execnz .LBB14_190
	s_branch .LBB14_191
.LBB14_252:
	s_andn2_b64 vcc, exec, s[4:5]
	s_cbranch_vccnz .LBB14_313
; %bb.253:
	s_abs_i32 s0, s97
	v_cvt_f32_u32_e32 v2, s0
	s_sub_i32 s3, 0, s0
	s_abs_i32 s2, s26
	s_xor_b32 s1, s26, s97
	v_rcp_iflag_f32_e32 v2, v2
	s_ashr_i32 s1, s1, 31
	v_mov_b32_e32 v12, s35
	v_mul_f32_e32 v2, 0x4f7ffffe, v2
	v_cvt_u32_f32_e32 v2, v2
	s_nop 0
	v_readfirstlane_b32 s4, v2
	s_mul_i32 s3, s3, s4
	s_mul_hi_u32 s3, s4, s3
	s_add_i32 s4, s4, s3
	s_mul_hi_u32 s3, s2, s4
	s_mul_i32 s4, s3, s0
	s_sub_i32 s2, s2, s4
	s_add_i32 s5, s3, 1
	s_sub_i32 s4, s2, s0
	s_cmp_ge_u32 s2, s0
	s_cselect_b32 s3, s5, s3
	s_cselect_b32 s2, s4, s2
	s_add_i32 s4, s3, 1
	s_cmp_ge_u32 s2, s0
	s_cselect_b32 s0, s4, s3
	s_abs_i32 s2, s96
	v_cvt_f32_u32_e32 v2, s2
	s_xor_b32 s0, s0, s1
	s_sub_i32 s4, 0, s2
	s_sub_i32 s3, s0, s1
	v_rcp_iflag_f32_e32 v2, v2
	s_mul_i32 s0, s3, s97
	s_sub_i32 s0, s26, s0
	s_abs_i32 s5, s0
	v_mul_f32_e32 v2, 0x4f7ffffe, v2
	v_cvt_u32_f32_e32 v2, v2
	s_xor_b32 s1, s0, s96
	s_ashr_i32 s1, s1, 31
	v_readfirstlane_b32 s6, v2
	s_mul_i32 s4, s4, s6
	s_mul_hi_u32 s4, s6, s4
	s_add_i32 s6, s6, s4
	s_mul_hi_u32 s4, s5, s6
	s_mul_i32 s6, s4, s2
	s_sub_i32 s5, s5, s6
	s_add_i32 s7, s4, 1
	s_sub_i32 s6, s5, s2
	s_cmp_ge_u32 s5, s2
	s_cselect_b32 s4, s7, s4
	s_cselect_b32 s5, s6, s5
	s_add_i32 s6, s4, 1
	s_cmp_ge_u32 s5, s2
	s_cselect_b32 s2, s6, s4
	s_abs_i32 s4, s95
	v_cvt_f32_u32_e32 v2, s4
	s_xor_b32 s2, s2, s1
	s_sub_i32 s5, 0, s4
	s_sub_i32 s9, s2, s1
	v_rcp_iflag_f32_e32 v2, v2
	s_mul_i32 s1, s9, s96
	s_sub_i32 s1, s0, s1
	s_abs_i32 s2, s1
	v_mul_f32_e32 v2, 0x4f7ffffe, v2
	v_cvt_u32_f32_e32 v2, v2
	s_xor_b32 s0, s1, s95
	s_ashr_i32 s0, s0, 31
	v_readfirstlane_b32 s6, v2
	s_mul_i32 s5, s5, s6
	s_mul_hi_u32 s5, s6, s5
	s_add_i32 s6, s6, s5
	s_mul_hi_u32 s5, s2, s6
	s_mul_i32 s6, s5, s4
	s_sub_i32 s2, s2, s6
	s_add_i32 s7, s5, 1
	s_sub_i32 s6, s2, s4
	s_cmp_ge_u32 s2, s4
	s_cselect_b32 s5, s7, s5
	s_cselect_b32 s2, s6, s2
	s_add_i32 s6, s5, 1
	s_cmp_ge_u32 s2, s4
	s_cselect_b32 s2, s6, s5
	s_xor_b32 s2, s2, s0
	s_sub_i32 s0, s2, s0
	s_mul_i32 s2, s0, s95
	s_sub_i32 s1, s1, s2
	s_ashr_i32 s2, s1, 31
	s_abs_i32 s1, s1
	s_mul_hi_u32 s4, s1, s22
	s_mul_i32 s5, s4, s99
	s_sub_i32 s1, s1, s5
	s_xor_b32 s2, s2, s14
	s_add_i32 s5, s4, 1
	s_sub_i32 s6, s1, s99
	s_cmp_ge_u32 s1, s99
	s_cselect_b32 s4, s5, s4
	s_cselect_b32 s1, s6, s1
	s_add_i32 s5, s4, 1
	s_cmp_ge_u32 s1, s99
	s_cselect_b32 s1, s5, s4
	v_readlane_b32 s4, v232, 6
	s_abs_i32 s11, s4
	v_cvt_f32_u32_e32 v2, s11
	s_xor_b32 s1, s1, s2
	s_sub_i32 s1, s1, s2
	s_cmp_eq_u64 s[46:47], 0
	v_rcp_iflag_f32_e32 v2, v2
	v_readlane_b32 s5, v232, 7
	v_mul_f32_e32 v2, 0x4f7ffffe, v2
	v_cvt_u32_f32_e32 v2, v2
	s_nop 0
	v_readfirstlane_b32 s14, v2
	s_cbranch_scc1 .LBB14_255
; %bb.254:
	v_readlane_b32 s2, v232, 0
	s_mul_i32 s2, s3, s2
	s_add_i32 s4, s1, s2
	s_ashr_i32 s5, s4, 31
	s_lshl_b64 s[4:5], s[4:5], 2
	s_add_u32 s4, s46, s4
	s_addc_u32 s5, s47, s5
	v_mov_b32_e32 v2, 0
	global_load_dword v2, v2, s[4:5]
	s_waitcnt vmcnt(0)
	v_ashrrev_i32_e32 v3, 31, v2
	v_lshrrev_b32_e32 v3, 26, v3
	v_add_u32_e32 v2, v2, v3
	v_ashrrev_i32_e32 v2, 6, v2
	v_min_i32_e32 v12, s35, v2
.LBB14_255:
	s_mul_i32 s2, s9, s33
	s_lshl_b32 s22, s0, 2
	s_add_i32 s0, s22, s2
	s_mul_i32 s2, s3, s25
	s_ashr_i32 s4, s2, 31
	s_add_u32 s2, s36, s2
	s_mul_i32 s0, s0, s24
	s_addc_u32 s4, s37, s4
	s_ashr_i32 s5, s0, 31
	s_add_u32 s6, s2, s0
	s_addc_u32 s7, s4, s5
	s_lshl_b32 s2, s1, 4
	v_lshrrev_b32_e32 v3, 2, v41
	v_and_b32_e32 v2, 3, v41
	v_add_u32_e32 v3, s2, v3
	v_or_b32_e32 v4, s22, v2
	v_cmp_le_i32_e64 s[0:1], s8, v3
	v_cmp_le_i32_e64 s[4:5], s33, v4
	s_mov_b32 s24, 0x10001
	v_lshl_add_u32 v70, v40, 2, 0
	v_cmp_gt_i32_e32 vcc, s33, v4
	s_or_b64 s[0:1], s[0:1], s[4:5]
	s_and_saveexec_b64 s[4:5], s[0:1]
	s_xor_b64 s[0:1], exec, s[4:5]
	v_readlane_b32 s26, v232, 5
; %bb.256:
	s_movk_i32 s4, 0xd0
	v_mad_u32_u24 v3, v41, s4, v70
	v_mov_b32_e32 v4, 0
	ds_write_b32 v3, v4
                                        ; implicit-def: $vgpr3
; %bb.257:
	s_or_saveexec_b64 s[0:1], s[0:1]
	v_mul_lo_u32 v1, v1, s24
	s_xor_b64 exec, exec, s[0:1]
	s_cbranch_execz .LBB14_259
; %bb.258:
	v_mul_lo_u32 v3, v3, s27
	v_mul_lo_u32 v4, v2, s26
	v_add3_u32 v4, v4, v40, v3
	v_ashrrev_i32_e32 v5, 31, v4
	v_lshl_add_u64 v[4:5], v[4:5], 3, s[6:7]
	global_load_dwordx2 v[4:5], v[4:5], off
	s_movk_i32 s4, 0xd0
	s_waitcnt vmcnt(0)
	v_cvt_pk_f16_f32 v3, v4, v5
	v_pk_mul_f16 v3, v3, v1
	v_mad_u32_u24 v4, v41, s4, v70
	ds_write_b32 v4, v3
.LBB14_259:
	s_or_b64 exec, exec, s[0:1]
	v_add_u32_e32 v16, 8, v41
	v_lshrrev_b32_e32 v3, 2, v16
	v_add_u32_e32 v3, s2, v3
	v_cmp_le_i32_e64 s[0:1], s8, v3
	s_xor_b64 s[4:5], vcc, -1
	s_or_b64 s[0:1], s[0:1], s[4:5]
	s_and_saveexec_b64 s[24:25], s[0:1]
	s_xor_b64 s[0:1], exec, s[24:25]
; %bb.260:
	s_movk_i32 s24, 0xd0
	v_mad_u32_u24 v3, v16, s24, v70
	v_mov_b32_e32 v4, 0
	ds_write_b32 v3, v4
                                        ; implicit-def: $vgpr3
; %bb.261:
	s_andn2_saveexec_b64 s[0:1], s[0:1]
	s_cbranch_execz .LBB14_263
; %bb.262:
	v_mul_lo_u32 v3, v3, s27
	v_mul_lo_u32 v4, v2, s26
	v_add3_u32 v4, v4, v40, v3
	v_ashrrev_i32_e32 v5, 31, v4
	v_lshl_add_u64 v[4:5], v[4:5], 3, s[6:7]
	global_load_dwordx2 v[4:5], v[4:5], off
	s_movk_i32 s24, 0xd0
	s_waitcnt vmcnt(0)
	v_cvt_pk_f16_f32 v3, v4, v5
	v_pk_mul_f16 v3, v3, v1
	v_mad_u32_u24 v4, v16, s24, v70
	ds_write_b32 v4, v3
.LBB14_263:
	s_or_b64 exec, exec, s[0:1]
	v_add_u32_e32 v71, 16, v41
	v_lshrrev_b32_e32 v3, 2, v71
	v_add_u32_e32 v3, s2, v3
	v_cmp_le_i32_e32 vcc, s8, v3
	s_or_b64 s[0:1], vcc, s[4:5]
	s_and_saveexec_b64 s[24:25], s[0:1]
	s_xor_b64 s[0:1], exec, s[24:25]
; %bb.264:
	s_movk_i32 s24, 0xd0
	v_mad_u32_u24 v3, v71, s24, v70
	v_mov_b32_e32 v4, 0
	ds_write_b32 v3, v4
                                        ; implicit-def: $vgpr3
; %bb.265:
	s_andn2_saveexec_b64 s[0:1], s[0:1]
	s_cbranch_execz .LBB14_267
; %bb.266:
	v_mul_lo_u32 v3, v3, s27
	v_mul_lo_u32 v4, v2, s26
	v_add3_u32 v4, v4, v40, v3
	v_ashrrev_i32_e32 v5, 31, v4
	v_lshl_add_u64 v[4:5], v[4:5], 3, s[6:7]
	global_load_dwordx2 v[4:5], v[4:5], off
	s_movk_i32 s24, 0xd0
	s_waitcnt vmcnt(0)
	v_cvt_pk_f16_f32 v3, v4, v5
	v_pk_mul_f16 v3, v3, v1
	v_mad_u32_u24 v4, v71, s24, v70
	ds_write_b32 v4, v3
.LBB14_267:
	s_or_b64 exec, exec, s[0:1]
	v_add_u32_e32 v3, 24, v41
	v_lshrrev_b32_e32 v4, 2, v3
	v_add_u32_e32 v4, s2, v4
	v_cmp_le_i32_e32 vcc, s8, v4
	s_or_b64 s[0:1], vcc, s[4:5]
	s_and_saveexec_b64 s[24:25], s[0:1]
	s_xor_b64 s[0:1], exec, s[24:25]
; %bb.268:
	s_movk_i32 s24, 0xd0
	v_mad_u32_u24 v3, v3, s24, v70
	v_mov_b32_e32 v4, 0
	ds_write_b32 v3, v4
                                        ; implicit-def: $vgpr4
                                        ; implicit-def: $vgpr3
; %bb.269:
	s_andn2_saveexec_b64 s[0:1], s[0:1]
	s_cbranch_execz .LBB14_271
; %bb.270:
	v_mul_lo_u32 v4, v4, s27
	v_mul_lo_u32 v5, v2, s26
	v_add3_u32 v4, v5, v40, v4
	v_ashrrev_i32_e32 v5, 31, v4
	v_lshl_add_u64 v[4:5], v[4:5], 3, s[6:7]
	global_load_dwordx2 v[4:5], v[4:5], off
	s_movk_i32 s24, 0xd0
	v_mad_u32_u24 v3, v3, s24, v70
	s_waitcnt vmcnt(0)
	v_cvt_pk_f16_f32 v4, v4, v5
	v_pk_mul_f16 v4, v4, v1
	ds_write_b32 v3, v4
.LBB14_271:
	s_or_b64 exec, exec, s[0:1]
	v_add_u32_e32 v72, 32, v41
	v_lshrrev_b32_e32 v3, 2, v72
	v_add_u32_e32 v3, s2, v3
	v_cmp_le_i32_e32 vcc, s8, v3
	s_or_b64 s[0:1], vcc, s[4:5]
	s_and_saveexec_b64 s[24:25], s[0:1]
	s_xor_b64 s[0:1], exec, s[24:25]
; %bb.272:
	s_movk_i32 s24, 0xd0
	v_mad_u32_u24 v3, v72, s24, v70
	v_mov_b32_e32 v4, 0
	ds_write_b32 v3, v4
                                        ; implicit-def: $vgpr3
; %bb.273:
	s_andn2_saveexec_b64 s[0:1], s[0:1]
	s_cbranch_execz .LBB14_275
; %bb.274:
	v_mul_lo_u32 v3, v3, s27
	v_mul_lo_u32 v4, v2, s26
	v_add3_u32 v4, v4, v40, v3
	v_ashrrev_i32_e32 v5, 31, v4
	v_lshl_add_u64 v[4:5], v[4:5], 3, s[6:7]
	global_load_dwordx2 v[4:5], v[4:5], off
	s_movk_i32 s24, 0xd0
	s_waitcnt vmcnt(0)
	v_cvt_pk_f16_f32 v3, v4, v5
	v_pk_mul_f16 v3, v3, v1
	v_mad_u32_u24 v4, v72, s24, v70
	ds_write_b32 v4, v3
.LBB14_275:
	s_or_b64 exec, exec, s[0:1]
	v_add_u32_e32 v3, 40, v41
	v_lshrrev_b32_e32 v4, 2, v3
	v_add_u32_e32 v4, s2, v4
	v_cmp_le_i32_e32 vcc, s8, v4
	s_or_b64 s[0:1], vcc, s[4:5]
	s_and_saveexec_b64 s[24:25], s[0:1]
	s_xor_b64 s[0:1], exec, s[24:25]
; %bb.276:
	s_movk_i32 s24, 0xd0
	v_mad_u32_u24 v3, v3, s24, v70
	v_mov_b32_e32 v4, 0
	ds_write_b32 v3, v4
                                        ; implicit-def: $vgpr4
                                        ; implicit-def: $vgpr3
; %bb.277:
	s_andn2_saveexec_b64 s[0:1], s[0:1]
	s_cbranch_execz .LBB14_279
; %bb.278:
	v_mul_lo_u32 v4, v4, s27
	v_mul_lo_u32 v5, v2, s26
	v_add3_u32 v4, v5, v40, v4
	v_ashrrev_i32_e32 v5, 31, v4
	v_lshl_add_u64 v[4:5], v[4:5], 3, s[6:7]
	global_load_dwordx2 v[4:5], v[4:5], off
	s_movk_i32 s24, 0xd0
	v_mad_u32_u24 v3, v3, s24, v70
	s_waitcnt vmcnt(0)
	v_cvt_pk_f16_f32 v4, v4, v5
	v_pk_mul_f16 v4, v4, v1
	ds_write_b32 v3, v4
.LBB14_279:
	s_or_b64 exec, exec, s[0:1]
	v_add_u32_e32 v75, 48, v41
	v_lshrrev_b32_e32 v3, 2, v75
	v_add_u32_e32 v3, s2, v3
	v_cmp_le_i32_e32 vcc, s8, v3
	s_or_b64 s[0:1], vcc, s[4:5]
	s_and_saveexec_b64 s[24:25], s[0:1]
	s_xor_b64 s[0:1], exec, s[24:25]
; %bb.280:
	s_movk_i32 s24, 0xd0
	v_mad_u32_u24 v3, v75, s24, v70
	v_mov_b32_e32 v4, 0
	ds_write_b32 v3, v4
                                        ; implicit-def: $vgpr3
; %bb.281:
	s_andn2_saveexec_b64 s[0:1], s[0:1]
	s_cbranch_execz .LBB14_283
; %bb.282:
	v_mul_lo_u32 v3, v3, s27
	v_mul_lo_u32 v4, v2, s26
	v_add3_u32 v4, v4, v40, v3
	v_ashrrev_i32_e32 v5, 31, v4
	v_lshl_add_u64 v[4:5], v[4:5], 3, s[6:7]
	global_load_dwordx2 v[4:5], v[4:5], off
	s_movk_i32 s24, 0xd0
	s_waitcnt vmcnt(0)
	v_cvt_pk_f16_f32 v3, v4, v5
	v_pk_mul_f16 v3, v3, v1
	v_mad_u32_u24 v4, v75, s24, v70
	ds_write_b32 v4, v3
.LBB14_283:
	s_or_b64 exec, exec, s[0:1]
	v_add_u32_e32 v3, 56, v41
	v_lshrrev_b32_e32 v4, 2, v3
	v_add_u32_e32 v4, s2, v4
	v_cmp_le_i32_e32 vcc, s8, v4
	s_or_b64 s[0:1], vcc, s[4:5]
	s_and_saveexec_b64 s[4:5], s[0:1]
	s_xor_b64 s[0:1], exec, s[4:5]
; %bb.284:
	s_movk_i32 s4, 0xd0
	v_mad_u32_u24 v2, v3, s4, v70
	v_mov_b32_e32 v3, 0
	ds_write_b32 v2, v3
                                        ; implicit-def: $vgpr4
                                        ; implicit-def: $vgpr2
                                        ; implicit-def: $vgpr3
; %bb.285:
	s_or_saveexec_b64 s[0:1], s[0:1]
	v_and_b32_e32 v80, 0x3ff, v0
	s_xor_b64 exec, exec, s[0:1]
	s_cbranch_execz .LBB14_287
; %bb.286:
	v_mul_lo_u32 v0, v4, s27
	v_mul_lo_u32 v2, v2, s26
	v_add3_u32 v4, v2, v40, v0
	v_ashrrev_i32_e32 v5, 31, v4
	v_lshl_add_u64 v[4:5], v[4:5], 3, s[6:7]
	global_load_dwordx2 v[4:5], v[4:5], off
	s_movk_i32 s4, 0xd0
	v_mad_u32_u24 v2, v3, s4, v70
	s_waitcnt vmcnt(0)
	v_cvt_pk_f16_f32 v0, v4, v5
	v_pk_mul_f16 v0, v0, v1
	ds_write_b32 v2, v0
.LBB14_287:
	s_or_b64 exec, exec, s[0:1]
	v_lshrrev_b32_e32 v0, 4, v80
	v_lshl_add_u32 v73, v39, 2, v0
	v_and_b32_e32 v0, 3, v0
	v_lshrrev_b32_e32 v2, 2, v73
	v_add_u32_e32 v3, s2, v2
	v_or_b32_e32 v2, s22, v0
	v_cmp_le_i32_e64 s[0:1], s8, v3
	v_cmp_le_i32_e64 s[4:5], s33, v2
	v_and_b32_e32 v74, 15, v80
	v_cmp_gt_i32_e32 vcc, s33, v2
	s_or_b64 s[0:1], s[0:1], s[4:5]
	s_and_saveexec_b64 s[4:5], s[0:1]
	s_xor_b64 s[0:1], exec, s[4:5]
; %bb.288:
	v_mul_u32_u24_e32 v2, 0xd0, v73
	v_lshlrev_b32_e32 v3, 2, v74
	v_add3_u32 v2, 0, v2, v3
	v_mov_b32_e32 v3, 0
	ds_write_b32 v2, v3 offset:128
                                        ; implicit-def: $vgpr3
; %bb.289:
	s_or_saveexec_b64 s[0:1], s[0:1]
	v_or_b32_e32 v2, 32, v74
	v_lshl_add_u32 v76, v74, 2, 0
	s_xor_b64 exec, exec, s[0:1]
	s_cbranch_execz .LBB14_291
; %bb.290:
	v_mul_lo_u32 v3, v3, s27
	v_mul_lo_u32 v4, v0, s26
	v_add3_u32 v4, v4, v2, v3
	v_ashrrev_i32_e32 v5, 31, v4
	v_lshl_add_u64 v[4:5], v[4:5], 3, s[6:7]
	global_load_dwordx2 v[4:5], v[4:5], off
	s_movk_i32 s4, 0xd0
	s_waitcnt vmcnt(0)
	v_cvt_pk_f16_f32 v3, v4, v5
	v_pk_mul_f16 v3, v3, v1
	v_mad_u32_u24 v4, v73, s4, v76
	ds_write_b32 v4, v3 offset:128
.LBB14_291:
	s_or_b64 exec, exec, s[0:1]
	v_add_u32_e32 v77, 16, v73
	v_lshrrev_b32_e32 v3, 2, v77
	v_add_u32_e32 v3, s2, v3
	v_cmp_le_i32_e64 s[0:1], s8, v3
	s_xor_b64 s[4:5], vcc, -1
	s_sub_i32 s22, 0, s11
	s_or_b64 s[0:1], s[0:1], s[4:5]
	s_and_saveexec_b64 s[24:25], s[0:1]
	s_xor_b64 s[0:1], exec, s[24:25]
; %bb.292:
	v_mul_u32_u24_e32 v3, 0xd0, v77
	v_lshlrev_b32_e32 v4, 2, v74
	v_add3_u32 v3, 0, v3, v4
	v_mov_b32_e32 v4, 0
	ds_write_b32 v3, v4 offset:128
                                        ; implicit-def: $vgpr3
; %bb.293:
	s_or_saveexec_b64 s[0:1], s[0:1]
	s_mul_i32 s22, s22, s14
	s_xor_b64 exec, exec, s[0:1]
	s_cbranch_execz .LBB14_295
; %bb.294:
	v_mul_lo_u32 v3, v3, s27
	v_mul_lo_u32 v4, v0, s26
	v_add3_u32 v4, v4, v2, v3
	v_ashrrev_i32_e32 v5, 31, v4
	v_lshl_add_u64 v[4:5], v[4:5], 3, s[6:7]
	global_load_dwordx2 v[4:5], v[4:5], off
	s_movk_i32 s24, 0xd0
	s_waitcnt vmcnt(0)
	v_cvt_pk_f16_f32 v3, v4, v5
	v_pk_mul_f16 v3, v3, v1
	v_mad_u32_u24 v4, v77, s24, v76
	ds_write_b32 v4, v3 offset:128
.LBB14_295:
	s_or_b64 exec, exec, s[0:1]
	v_add_u32_e32 v78, 32, v73
	v_lshrrev_b32_e32 v3, 2, v78
	v_add_u32_e32 v3, s2, v3
	v_cmp_le_i32_e32 vcc, s8, v3
	s_mul_hi_u32 s24, s14, s22
	s_or_b64 s[0:1], vcc, s[4:5]
	s_and_saveexec_b64 s[28:29], s[0:1]
	s_xor_b64 s[0:1], exec, s[28:29]
; %bb.296:
	v_mul_u32_u24_e32 v3, 0xd0, v78
	v_lshlrev_b32_e32 v4, 2, v74
	v_add3_u32 v3, 0, v3, v4
	v_mov_b32_e32 v4, 0
	ds_write_b32 v3, v4 offset:128
                                        ; implicit-def: $vgpr3
; %bb.297:
	s_or_saveexec_b64 s[0:1], s[0:1]
	s_abs_i32 s22, s3
	s_add_i32 s14, s14, s24
	s_xor_b64 exec, exec, s[0:1]
	s_cbranch_execz .LBB14_299
; %bb.298:
	v_mul_lo_u32 v3, v3, s27
	v_mul_lo_u32 v4, v0, s26
	v_add3_u32 v4, v4, v2, v3
	v_ashrrev_i32_e32 v5, 31, v4
	v_lshl_add_u64 v[4:5], v[4:5], 3, s[6:7]
	global_load_dwordx2 v[4:5], v[4:5], off
	s_movk_i32 s24, 0xd0
	s_waitcnt vmcnt(0)
	v_cvt_pk_f16_f32 v3, v4, v5
	v_pk_mul_f16 v3, v3, v1
	v_mad_u32_u24 v4, v78, s24, v76
	ds_write_b32 v4, v3 offset:128
.LBB14_299:
	s_or_b64 exec, exec, s[0:1]
	v_add_u32_e32 v79, 48, v73
	v_lshrrev_b32_e32 v3, 2, v79
	v_add_u32_e32 v3, s2, v3
	v_cmp_le_i32_e32 vcc, s8, v3
	s_mul_hi_u32 s14, s22, s14
	s_or_b64 s[0:1], vcc, s[4:5]
	s_and_saveexec_b64 s[4:5], s[0:1]
	s_xor_b64 s[0:1], exec, s[4:5]
; %bb.300:
	v_mul_u32_u24_e32 v0, 0xd0, v79
	v_lshlrev_b32_e32 v1, 2, v74
	v_add3_u32 v0, 0, v0, v1
	v_mov_b32_e32 v1, 0
	ds_write_b32 v0, v1 offset:128
                                        ; implicit-def: $vgpr3
                                        ; implicit-def: $vgpr0
                                        ; implicit-def: $vgpr2
                                        ; implicit-def: $vgpr1
; %bb.301:
	s_or_saveexec_b64 s[0:1], s[0:1]
	s_ashr_i32 s4, s3, 31
	s_xor_b64 exec, exec, s[0:1]
	s_cbranch_execz .LBB14_303
; %bb.302:
	v_mul_lo_u32 v3, v3, s27
	v_mul_lo_u32 v0, v0, s26
	v_add3_u32 v2, v0, v2, v3
	v_ashrrev_i32_e32 v3, 31, v2
	v_lshl_add_u64 v[2:3], v[2:3], 3, s[6:7]
	global_load_dwordx2 v[2:3], v[2:3], off
	s_movk_i32 s5, 0xd0
	s_waitcnt vmcnt(0)
	v_cvt_pk_f16_f32 v0, v2, v3
	v_pk_mul_f16 v0, v0, v1
	v_mad_u32_u24 v1, v79, s5, v76
	ds_write_b32 v1, v0 offset:128
.LBB14_303:
	s_or_b64 exec, exec, s[0:1]
	s_mul_hi_u32 s0, s12, s3
	s_mul_i32 s1, s12, s4
	s_add_i32 s0, s0, s1
	s_mul_i32 s1, s13, s3
	s_add_i32 s0, s0, s1
	s_mul_i32 s1, s12, s3
	s_add_u32 s1, s38, s1
	s_mul_i32 s5, s9, s23
	s_addc_u32 s0, s39, s0
	s_ashr_i32 s6, s5, 31
	s_add_u32 s44, s1, s5
	s_mul_i32 s14, s14, s11
	s_addc_u32 s45, s0, s6
	s_sub_i32 s0, s22, s14
	s_sub_i32 s1, s0, s11
	s_cmp_ge_u32 s0, s11
	s_cselect_b32 s0, s1, s0
	s_sub_i32 s1, s0, s11
	s_cmp_ge_u32 s0, s11
	s_cselect_b32 s0, s1, s0
	s_xor_b32 s0, s0, s4
	s_sub_i32 s0, s0, s4
	s_ashr_i32 s1, s0, 31
	s_mul_i32 s1, s20, s1
	s_mul_hi_u32 s5, s20, s0
	s_add_i32 s1, s5, s1
	s_mul_i32 s5, s21, s0
	s_add_i32 s1, s1, s5
	s_mul_i32 s0, s20, s0
	s_add_u32 s42, s42, s0
	s_addc_u32 s43, s43, s1
	s_mul_hi_u32 s0, s18, s3
	s_mul_i32 s1, s18, s4
	s_add_i32 s0, s0, s1
	s_mul_i32 s1, s19, s3
	s_add_i32 s0, s0, s1
	s_mul_i32 s1, s18, s3
	s_add_u32 s1, s40, s1
	s_mul_i32 s9, s9, s15
	s_addc_u32 s0, s41, s0
	s_ashr_i32 s3, s9, 31
	s_add_u32 s38, s1, s9
	v_lshrrev_b32_e32 v17, 3, v80
	s_addc_u32 s39, s0, s3
	s_movk_i32 s0, 0xd00
	v_and_b32_e32 v1, 0x7e, v17
	v_mad_u32_u24 v0, v39, s0, 0
	v_mul_u32_u24_e32 v97, 0xd0, v74
	v_lshlrev_b32_e32 v81, 2, v1
	v_add3_u32 v0, v0, v97, v81
	s_waitcnt lgkmcnt(0)
	s_barrier
	ds_read2_b64 v[8:11], v0 offset1:4
	ds_read2_b64 v[4:7], v0 offset0:8 offset1:12
	ds_read2_b64 v[0:3], v0 offset0:16 offset1:20
	v_add_u32_e32 v119, -1, v12
	v_cmp_lt_i32_e32 vcc, s70, v119
	v_lshlrev_b32_e32 v12, 1, v80
	s_movk_i32 s0, 0xd0
	v_and_b32_e32 v18, 62, v12
	v_mov_b32_e32 v105, 0
	s_waitcnt lgkmcnt(0)
	s_barrier
	s_cbranch_vccnz .LBB14_306
; %bb.304:
	v_add_u32_e32 v12, s2, v41
	v_mul_hi_u32 v13, s16, v12
	v_add_u32_e32 v13, v12, v13
	v_lshrrev_b32_e32 v13, s17, v13
	v_mul_lo_u32 v13, v13, s8
	v_sub_u32_e32 v12, v12, v13
	v_mad_i64_i32 v[50:51], s[4:5], v12, s10, 0
	v_add_u32_e32 v12, s2, v16
	v_mul_hi_u32 v13, s16, v12
	v_add_u32_e32 v13, v12, v13
	v_lshrrev_b32_e32 v13, s17, v13
	v_mul_lo_u32 v13, v13, s8
	v_lshlrev_b32_e32 v14, 2, v80
	v_sub_u32_e32 v12, v12, v13
	v_lshlrev_b32_e32 v82, 4, v39
	v_and_or_b32 v54, v14, 12, 32
	v_lshl_add_u32 v15, v39, 3, v17
	v_and_b32_e32 v58, 28, v14
	v_mov_b32_e32 v14, 0x1a00
	s_movk_i32 s1, 0x90
	v_mov_b32_e32 v13, 0x480
	v_mad_i64_i32 v[52:53], s[4:5], v12, s10, 0
	v_lshrrev_b32_e32 v12, 2, v80
	v_mad_u32_u24 v116, v15, s0, v14
	v_and_or_b32 v14, v80, 12, v82
	v_mad_u32_u24 v103, v41, s1, v13
	v_add_u32_e32 v13, v82, v12
	v_and_b32_e32 v12, 0xfc, v12
	v_lshrrev_b32_e32 v14, 2, v14
	v_mul_u32_u24_e32 v113, 0x90, v14
	v_add_u32_e32 v14, 16, v12
	v_lshrrev_b32_e32 v112, 1, v14
	v_add_u32_e32 v14, 18, v12
	v_lshrrev_b32_e32 v110, 1, v14
	;; [unrolled: 2-line block ×4, first 2 shown]
	v_lshrrev_b32_e32 v108, 1, v14
	v_add_u32_e32 v14, 48, v12
	v_add_u32_e32 v12, 50, v12
	v_lshrrev_b32_e32 v107, 1, v12
	v_mbcnt_lo_u32_b32 v12, -1, 0
	v_mbcnt_hi_u32_b32 v98, -1, v12
	v_and_b32_e32 v12, 64, v98
	v_add_u32_e32 v100, 64, v12
	v_lshlrev_b32_e32 v12, 1, v17
	v_mul_u32_u24_e32 v104, 0xd0, v13
	v_mul_lo_u32 v56, s54, v13
	v_mul_lo_u32 v60, s54, v15
	;; [unrolled: 1-line block ×4, first 2 shown]
	v_and_b32_e32 v13, 0xfc, v12
	s_ashr_i32 s55, s54, 31
	v_mov_b32_e32 v55, 0
	v_lshl_add_u32 v62, s54, 5, v60
	s_ashr_i32 s57, s56, 31
	v_lshl_add_u32 v48, s56, 5, v46
	v_mul_u32_u24_e32 v94, 0xd0, v13
	v_or_b32_e32 v13, 2, v12
	v_or_b32_e32 v12, 3, v12
	v_mul_u32_u24_e32 v99, 0x90, v41
	v_ashrrev_i32_e32 v57, 31, v56
	v_mul_u32_u24_e32 v115, 0xd0, v15
	v_mov_b32_e32 v59, v55
	v_ashrrev_i32_e32 v61, 31, v60
	v_ashrrev_i32_e32 v63, 31, v62
	v_or_b32_e32 v111, 1, v17
	v_lshrrev_b32_e32 v106, 1, v14
	v_xor_b32_e32 v101, 32, v98
	v_xor_b32_e32 v102, 16, v98
	v_ashrrev_i32_e32 v45, 31, v44
	v_ashrrev_i32_e32 v47, 31, v46
	;; [unrolled: 1-line block ×3, first 2 shown]
	v_mul_u32_u24_e32 v95, 0xd0, v13
	v_mul_u32_u24_e32 v96, 0xd0, v12
	v_mov_b64_e32 v[12:13], s[56:57]
	v_mov_b64_e32 v[14:15], s[54:55]
	v_lshlrev_b32_e32 v42, 1, v18
	v_lshlrev_b32_e32 v92, 1, v74
	s_cbranch_execz .LBB14_307
; %bb.305:
	v_mov_b32_e32 v135, 0xfeffffff
	v_mov_b32_e32 v83, 0
	v_mov_b32_e32 v84, 0
	v_mov_b32_e32 v85, 0
	v_mov_b32_e32 v86, 0
	v_mov_b32_e32 v117, 0
	v_mov_b32_e32 v118, 0
	v_mov_b32_e32 v91, 0
	v_mov_b32_e32 v93, 0
	v_mov_b32_e32 v89, 0
	v_mov_b32_e32 v90, 0
	v_mov_b32_e32 v87, 0
	v_mov_b32_e32 v88, 0
	s_branch .LBB14_310
.LBB14_306:
                                        ; implicit-def: $vgpr99
                                        ; implicit-def: $vgpr50_vgpr51
                                        ; implicit-def: $vgpr103
                                        ; implicit-def: $vgpr52_vgpr53
                                        ; implicit-def: $vgpr14_vgpr15
                                        ; implicit-def: $vgpr82
                                        ; implicit-def: $vgpr104
                                        ; implicit-def: $vgpr56_vgpr57
                                        ; implicit-def: $vgpr54
                                        ; implicit-def: $vgpr115
                                        ; implicit-def: $vgpr58
                                        ; implicit-def: $vgpr60_vgpr61
                                        ; implicit-def: $vgpr116
                                        ; implicit-def: $vgpr62_vgpr63
                                        ; implicit-def: $vgpr113
                                        ; implicit-def: $vgpr114
                                        ; implicit-def: $vgpr111
                                        ; implicit-def: $vgpr112
                                        ; implicit-def: $vgpr110
                                        ; implicit-def: $vgpr109
                                        ; implicit-def: $vgpr108
                                        ; implicit-def: $vgpr106
                                        ; implicit-def: $vgpr107
                                        ; implicit-def: $vgpr98
                                        ; implicit-def: $vgpr100
                                        ; implicit-def: $vgpr101
                                        ; implicit-def: $vgpr102
                                        ; implicit-def: $vgpr12_vgpr13
                                        ; implicit-def: $vgpr44_vgpr45
                                        ; implicit-def: $vgpr46_vgpr47
                                        ; implicit-def: $vgpr48_vgpr49
                                        ; implicit-def: $vgpr94
                                        ; implicit-def: $vgpr95
                                        ; implicit-def: $vgpr96
	v_lshlrev_b32_e32 v42, 1, v18
	v_lshlrev_b32_e32 v92, 1, v74
.LBB14_307:
	v_add_u32_e32 v12, s2, v41
	v_mul_hi_u32 v14, s16, v12
	v_add_u32_e32 v14, v12, v14
	v_lshrrev_b32_e32 v14, s17, v14
	v_mul_lo_u32 v14, v14, s8
	v_sub_u32_e32 v12, v12, v14
	v_mad_i64_i32 v[50:51], s[0:1], v12, s10, 0
	v_add_u32_e32 v12, s2, v16
	v_mul_hi_u32 v14, s16, v12
	v_add_u32_e32 v14, v12, v14
	v_lshrrev_b32_e32 v14, s17, v14
	v_mul_lo_u32 v14, v14, s8
	s_movk_i32 s3, 0x90
	v_sub_u32_e32 v12, v12, v14
	v_mov_b32_e32 v14, 0x480
	v_mad_u32_u24 v103, v41, s3, v14
	v_mad_i64_i32 v[52:53], s[0:1], v12, s10, 0
	v_lshlrev_b32_e32 v82, 4, v39
	v_lshrrev_b32_e32 v14, 2, v80
	v_lshlrev_b32_e32 v18, 2, v80
	v_mov_b32_e32 v65, 0
	v_add_u32_e32 v15, v82, v14
	s_movk_i32 s0, 0xd0
	v_and_b32_e32 v12, 12, v18
	v_mov_b32_e32 v43, v65
	v_mad_u32_u24 v16, v15, s0, 0
	v_lshlrev_b32_e32 v19, 2, v12
	s_movk_i32 s1, 0x80
	v_lshl_add_u64 v[66:67], s[42:43], 0, v[42:43]
	v_add3_u32 v43, v16, v19, s1
	v_lshl_add_u32 v16, v39, 3, v17
	v_and_b32_e32 v58, 28, v18
	v_mul_u32_u24_e32 v115, 0xd0, v16
	v_lshlrev_b32_e32 v18, 2, v58
	v_add3_u32 v120, 0, v115, v18
	v_mov_b32_e32 v18, 0x1a00
	v_mad_u32_u24 v116, v16, s0, v18
	v_and_or_b32 v18, v80, 12, v82
	v_and_b32_e32 v14, 0xfc, v14
	v_lshrrev_b32_e32 v18, 2, v18
	v_mul_u32_u24_e32 v113, 0x90, v18
	v_mad_u32_u24 v18, v18, s3, 0
	v_add_u32_e32 v20, 18, v14
	v_add_u32_e32 v21, 34, v14
	v_lshrrev_b32_e32 v114, 1, v14
	v_lshl_add_u32 v123, v14, 1, v18
	v_add_u32_e32 v19, 16, v14
	v_lshrrev_b32_e32 v110, 1, v20
	v_add_u32_e32 v20, 32, v14
	v_lshrrev_b32_e32 v108, 1, v21
	v_add_u32_e32 v21, 48, v14
	v_add_u32_e32 v14, 50, v14
	v_lshrrev_b32_e32 v107, 1, v14
	v_mbcnt_lo_u32_b32 v14, -1, 0
	v_mbcnt_hi_u32_b32 v98, -1, v14
	v_and_b32_e32 v14, 64, v98
	v_add_u32_e32 v100, 64, v14
	v_xor_b32_e32 v101, 32, v98
	v_cmp_lt_i32_e32 vcc, v101, v100
	v_xor_b32_e32 v102, 16, v98
	v_mul_u32_u24_e32 v104, 0xd0, v15
	v_cndmask_b32_e32 v14, v98, v101, vcc
	v_cmp_lt_i32_e32 vcc, v102, v100
	v_lshlrev_b32_e32 v125, 2, v14
	v_mul_lo_u32 v56, s54, v15
	v_cndmask_b32_e32 v14, v98, v102, vcc
	v_lshlrev_b32_e32 v126, 2, v14
	v_lshlrev_b32_e32 v14, 1, v17
	v_mul_lo_u32 v44, s56, v15
	v_and_b32_e32 v15, 0xfc, v14
	v_mul_lo_u32 v60, s54, v16
	v_or_b32_e32 v111, 1, v17
	v_mul_lo_u32 v46, s56, v16
	v_mul_u32_u24_e32 v94, 0xd0, v15
	v_or_b32_e32 v15, 2, v14
	v_or_b32_e32 v14, 3, v14
	v_add_u32_e32 v13, 0, v42
	v_mul_u32_u24_e32 v99, 0x90, v41
	v_lshl_add_u32 v62, s54, 5, v60
	v_lshl_add_u32 v124, v111, 2, v18
	v_lshrrev_b32_e32 v112, 1, v19
	v_lshl_add_u32 v19, v19, 1, v18
	v_lshrrev_b32_e32 v109, 1, v20
	v_lshl_add_u32 v20, v20, 1, v18
	v_lshl_add_u32 v18, v21, 1, v18
	;; [unrolled: 1-line block ×3, first 2 shown]
	v_mul_u32_u24_e32 v95, 0xd0, v15
	v_mul_u32_u24_e32 v96, 0xd0, v14
	s_ashr_i32 s55, s54, 31
	v_ashrrev_i32_e32 v57, 31, v56
	v_or_b32_e32 v54, 32, v12
	v_mov_b32_e32 v55, v65
	v_mov_b32_e32 v59, v65
	v_ashrrev_i32_e32 v61, 31, v60
	v_add_u32_e32 v121, 0x1a00, v120
	v_ashrrev_i32_e32 v63, 31, v62
	v_add3_u32 v122, 0, v97, v81
	v_lshrrev_b32_e32 v106, 1, v21
	s_ashr_i32 s57, s56, 31
	v_ashrrev_i32_e32 v45, 31, v44
	v_ashrrev_i32_e32 v47, 31, v46
	;; [unrolled: 1-line block ×3, first 2 shown]
	v_add3_u32 v127, 0, v94, v92
	v_add3_u32 v128, 0, v95, v92
	;; [unrolled: 1-line block ×3, first 2 shown]
	s_lshl_b32 s40, s70, 6
	v_mov_b32_e32 v135, 0xfeffffff
	v_add_u32_e32 v130, v13, v99
	v_lshlrev_b32_e32 v64, 2, v12
	v_lshlrev_b32_e32 v68, 2, v58
	v_add_u32_e32 v131, 0x3400, v19
	v_add_u32_e32 v132, 0x3400, v20
	;; [unrolled: 1-line block ×3, first 2 shown]
	s_mov_b32 s2, 0x3fb8aa3b
	s_mov_b32 s3, 0xc2ce8ed0
	;; [unrolled: 1-line block ×5, first 2 shown]
	v_mov_b32_e32 v134, 0x7f800000
	v_mov_b32_e32 v105, v65
	;; [unrolled: 1-line block ×14, first 2 shown]
.LBB14_308:                             ; =>This Inner Loop Header: Depth=1
	s_mul_hi_i32 s1, s40, s54
	s_mul_i32 s0, s40, s54
	s_ashr_i32 s41, s40, 31
	s_lshl_b64 s[0:1], s[0:1], 2
	v_lshl_add_u64 v[12:13], s[40:41], 1, v[66:67]
	s_add_u32 s0, s44, s0
	v_lshl_add_u64 v[14:15], v[50:51], 1, v[12:13]
	v_lshl_add_u64 v[12:13], v[52:53], 1, v[12:13]
	s_addc_u32 s1, s45, s1
	v_mov_b32_e32 v69, v65
	global_load_dword v26, v[14:15], off
	global_load_dword v27, v[12:13], off
	v_lshl_add_u64 v[12:13], v[56:57], 2, s[0:1]
	v_lshl_add_u64 v[14:15], v[60:61], 2, s[0:1]
	;; [unrolled: 1-line block ×6, first 2 shown]
	global_load_dwordx4 v[12:15], v[20:21], off offset:128
	global_load_dwordx4 v[16:19], v[22:23], off
                                        ; kill: killed $vgpr22_vgpr23
                                        ; kill: killed $vgpr20_vgpr21
	s_nop 0
	global_load_dwordx4 v[20:23], v[24:25], off
	v_add_u32_e32 v138, 0x800, v122
	v_add_u32_e32 v139, 0x1800, v122
	;; [unrolled: 1-line block ×3, first 2 shown]
	s_mul_hi_i32 s1, s40, s56
	s_mul_i32 s0, s40, s56
	s_lshl_b64 s[0:1], s[0:1], 2
	s_add_u32 s0, s38, s0
	s_addc_u32 s1, s39, s1
	v_lshl_add_u64 v[146:147], v[46:47], 2, s[0:1]
	v_lshl_add_u64 v[148:149], v[48:49], 2, s[0:1]
	;; [unrolled: 1-line block ×3, first 2 shown]
	v_mov_b32_e32 v136, v105
	v_lshl_add_u64 v[158:159], v[148:149], 0, v[68:69]
	v_mov_b32_e32 v137, v135
	s_add_i32 s70, s70, 1
	v_cmp_lt_i32_e32 vcc, s70, v119
	s_add_i32 s40, s40, 64
	s_and_b64 vcc, exec, vcc
	s_waitcnt vmcnt(4)
	ds_write_b32 v130, v26 offset:13312
	s_waitcnt vmcnt(3)
	ds_write_b32 v130, v27 offset:14464
	s_waitcnt vmcnt(2)
	ds_write_b128 v43, v[12:15]
	s_waitcnt vmcnt(1)
	ds_write_b128 v120, v[16:19]
	;; [unrolled: 2-line block ×3, first 2 shown]
	s_waitcnt lgkmcnt(0)
	s_barrier
	ds_read2_b64 v[24:27], v122 offset1:4
	ds_read2_b64 v[28:31], v138 offset0:160 offset1:164
	ds_read2_b64 v[18:21], v139 offset0:64 offset1:68
	;; [unrolled: 1-line block ×3, first 2 shown]
	s_waitcnt lgkmcnt(3)
	v_mfma_f32_16x16x16_f16 v[36:39], v[24:25], v[8:9], 0
	ds_read2_b64 v[142:145], v140 offset0:232 offset1:236
	s_waitcnt lgkmcnt(3)
	v_mfma_f32_16x16x16_f16 v[32:35], v[28:29], v[8:9], 0
	s_waitcnt lgkmcnt(2)
	v_mfma_f32_16x16x16_f16 v[22:25], v[18:19], v[8:9], 0
	;; [unrolled: 2-line block ×3, first 2 shown]
	v_mfma_f32_16x16x16_f16 v[26:29], v[26:27], v[10:11], v[36:39]
	v_mfma_f32_16x16x16_f16 v[30:33], v[30:31], v[10:11], v[32:35]
	s_nop 1
	v_lshl_add_u64 v[38:39], v[44:45], 2, s[0:1]
	v_lshl_add_u64 v[154:155], v[38:39], 0, v[64:65]
	v_mfma_f32_16x16x16_f16 v[12:15], v[14:15], v[10:11], v[16:19]
	ds_read2_b64 v[34:37], v138 offset0:168 offset1:172
	s_nop 1
	ds_read2_b64 v[16:19], v122 offset0:8 offset1:12
	v_mfma_f32_16x16x16_f16 v[20:23], v[20:21], v[10:11], v[22:25]
	s_waitcnt lgkmcnt(0)
	v_mfma_f32_16x16x16_f16 v[24:27], v[16:17], v[4:5], v[26:29]
	v_mfma_f32_16x16x16_f16 v[28:31], v[34:35], v[4:5], v[30:33]
	s_nop 2
	ds_read2_b64 v[32:35], v139 offset0:72 offset1:76
	v_mfma_f32_16x16x16_f16 v[16:19], v[18:19], v[6:7], v[24:27]
	s_nop 2
	ds_read2_b64 v[24:27], v122 offset0:16 offset1:20
	s_waitcnt lgkmcnt(1)
	v_mfma_f32_16x16x16_f16 v[20:23], v[32:33], v[4:5], v[20:23]
	v_mfma_f32_16x16x16_f16 v[12:15], v[142:143], v[4:5], v[12:15]
	;; [unrolled: 1-line block ×3, first 2 shown]
	ds_read2_b64 v[36:39], v138 offset0:176 offset1:180
	ds_read2_b64 v[146:149], v139 offset0:80 offset1:84
	;; [unrolled: 1-line block ×3, first 2 shown]
	s_waitcnt lgkmcnt(0)
	s_barrier
	v_mfma_f32_16x16x16_f16 v[32:35], v[34:35], v[6:7], v[20:23]
	ds_read_b32 v69, v123 offset:13312
	ds_read_b32 v105, v124 offset:13312
	ds_read2_b32 v[160:161], v131 offset1:1
	ds_read2_b32 v[162:163], v132 offset1:1
	;; [unrolled: 1-line block ×3, first 2 shown]
	v_mfma_f32_16x16x16_f16 v[142:145], v[144:145], v[6:7], v[12:15]
	s_waitcnt lgkmcnt(4)
	v_cvt_f32_f16_e32 v135, v69
	v_cvt_f32_f16_sdwa v69, v69 dst_sel:DWORD dst_unused:UNUSED_PAD src0_sel:WORD_1
	v_mfma_f32_16x16x16_f16 v[150:153], v[24:25], v[0:1], v[16:19]
	global_load_dwordx4 v[12:15], v[154:155], off offset:128
	s_nop 1
	global_load_dwordx4 v[16:19], v[156:157], off
	global_load_dwordx4 v[20:23], v[158:159], off
	s_waitcnt lgkmcnt(1)
	v_cvt_f32_f16_sdwa v154, v163 dst_sel:DWORD dst_unused:UNUSED_PAD src0_sel:WORD_1
	v_mfma_f32_16x16x16_f16 v[28:31], v[36:37], v[0:1], v[28:31]
	s_waitcnt lgkmcnt(0)
	v_cvt_f32_f16_e32 v155, v164
	v_cvt_f32_f16_sdwa v156, v165 dst_sel:DWORD dst_unused:UNUSED_PAD src0_sel:WORD_1
	s_waitcnt vmcnt(2)
	ds_write_b128 v43, v[12:15]
	s_waitcnt vmcnt(1)
	ds_write_b128 v120, v[16:19]
	;; [unrolled: 2-line block ×3, first 2 shown]
	v_mfma_f32_16x16x16_f16 v[32:35], v[146:147], v[0:1], v[32:35]
	v_cvt_f32_f16_e32 v146, v105
	v_cvt_f32_f16_sdwa v105, v105 dst_sel:DWORD dst_unused:UNUSED_PAD src0_sel:WORD_1
	v_cvt_f32_f16_e32 v147, v161
	v_mfma_f32_16x16x16_f16 v[24:27], v[26:27], v[2:3], v[150:153]
	s_waitcnt lgkmcnt(0)
	s_barrier
	v_mfma_f32_16x16x16_f16 v[142:145], v[138:139], v[0:1], v[142:145]
	v_cvt_f32_f16_e32 v138, v160
	v_cvt_f32_f16_sdwa v139, v160 dst_sel:DWORD dst_unused:UNUSED_PAD src0_sel:WORD_1
	v_cvt_f32_f16_sdwa v150, v161 dst_sel:DWORD dst_unused:UNUSED_PAD src0_sel:WORD_1
	v_mfma_f32_16x16x16_f16 v[28:31], v[38:39], v[2:3], v[28:31]
	v_cvt_f32_f16_e32 v151, v162
	v_cvt_f32_f16_sdwa v152, v162 dst_sel:DWORD dst_unused:UNUSED_PAD src0_sel:WORD_1
	v_add_f32_e32 v24, v24, v135
	v_mfma_f32_16x16x16_f16 v[32:35], v[148:149], v[2:3], v[32:35]
	v_add_f32_e32 v25, v25, v69
	v_cvt_f32_f16_e32 v153, v163
	v_add_f32_e32 v26, v26, v146
	v_add_f32_e32 v27, v27, v105
	;; [unrolled: 1-line block ×4, first 2 shown]
	v_cvt_f32_f16_sdwa v148, v164 dst_sel:DWORD dst_unused:UNUSED_PAD src0_sel:WORD_1
	v_mfma_f32_16x16x16_f16 v[36:39], v[140:141], v[2:3], v[142:145]
	v_add_f32_e32 v28, v28, v138
	v_add_f32_e32 v29, v29, v139
	v_add_f32_e32 v135, 0x40051340, v26
	v_add_f32_e32 v138, 0x40051340, v27
	v_max3_f32 v69, v137, v69, v105
	v_cvt_f32_f16_e32 v149, v165
	v_add_f32_e32 v30, v30, v147
	v_add_f32_e32 v31, v31, v150
	v_add_f32_e32 v139, 0x40051340, v28
	v_add_f32_e32 v140, 0x40051340, v29
	v_max3_f32 v69, v69, v135, v138
	v_add_f32_e32 v32, v32, v151
	v_add_f32_e32 v33, v33, v152
	v_add_f32_e32 v141, 0x40051340, v30
	v_add_f32_e32 v142, 0x40051340, v31
	v_max3_f32 v69, v69, v139, v140
	;; [unrolled: 5-line block ×5, first 2 shown]
	v_add_f32_e32 v149, 0x40051340, v38
	v_add_f32_e32 v150, 0x40051340, v39
	v_max3_f32 v69, v69, v147, v148
	v_max3_f32 v69, v69, v149, v150
	ds_bpermute_b32 v105, v125, v69
	s_waitcnt lgkmcnt(0)
	v_max_f32_e32 v105, v105, v105
	v_max_f32_e32 v69, v69, v105
	ds_bpermute_b32 v105, v126, v69
	s_waitcnt lgkmcnt(0)
	v_max_f32_e32 v105, v105, v105
	v_max_f32_e32 v135, v69, v105
	v_sub_f32_e32 v24, v24, v135
	v_sub_f32_e32 v25, v25, v135
	;; [unrolled: 1-line block ×17, first 2 shown]
	v_mul_f32_e32 v105, 0x3fb8aa3b, v24
	v_mul_f32_e32 v137, 0x3fb8aa3b, v25
	;; [unrolled: 1-line block ×17, first 2 shown]
	v_fma_f32 v153, v24, s2, -v105
	v_rndne_f32_e32 v154, v105
	v_fma_f32 v155, v25, s2, -v137
	v_rndne_f32_e32 v156, v137
	;; [unrolled: 2-line block ×17, first 2 shown]
	v_fmac_f32_e32 v153, 0x32a5705f, v24
	v_sub_f32_e32 v105, v105, v154
	v_fmac_f32_e32 v155, 0x32a5705f, v25
	v_sub_f32_e32 v137, v137, v156
	;; [unrolled: 2-line block ×17, first 2 shown]
	v_add_f32_e32 v105, v105, v153
	v_add_f32_e32 v137, v137, v155
	v_cvt_i32_f32_e32 v154, v154
	v_cvt_i32_f32_e32 v156, v156
	v_add_f32_e32 v138, v138, v157
	v_add_f32_e32 v139, v139, v159
	;; [unrolled: 1-line block ×15, first 2 shown]
	v_exp_f32_e32 v105, v105
	v_exp_f32_e32 v137, v137
	v_cvt_i32_f32_e32 v158, v158
	v_cvt_i32_f32_e32 v160, v160
	;; [unrolled: 1-line block ×15, first 2 shown]
	v_exp_f32_e32 v138, v138
	v_exp_f32_e32 v139, v139
	;; [unrolled: 1-line block ×15, first 2 shown]
	v_ldexp_f32 v105, v105, v154
	v_ldexp_f32 v137, v137, v156
	v_cmp_ngt_f32_e64 s[0:1], s3, v25
	v_cmp_ngt_f32_e64 s[36:37], s3, v24
	v_ldexp_f32 v138, v138, v158
	v_cmp_ngt_f32_e64 s[4:5], s3, v26
	v_ldexp_f32 v139, v139, v160
	;; [unrolled: 2-line block ×15, first 2 shown]
	v_cmp_ngt_f32_e64 s[34:35], s3, v69
	v_cndmask_b32_e64 v105, 0, v105, s[36:37]
	v_cndmask_b32_e64 v137, 0, v137, s[0:1]
	v_cmp_nlt_f32_e64 s[0:1], s33, v25
	v_cmp_nlt_f32_e64 s[36:37], s33, v24
	v_cndmask_b32_e64 v25, 0, v138, s[4:5]
	v_cmp_nlt_f32_e64 s[4:5], s33, v26
	v_cndmask_b32_e64 v26, 0, v139, s[6:7]
	;; [unrolled: 2-line block ×16, first 2 shown]
	v_cndmask_b32_e64 v105, v134, v137, s[0:1]
	v_cndmask_b32_e64 v137, v134, v25, s[4:5]
	;; [unrolled: 1-line block ×4, first 2 shown]
	v_cmp_le_f32_e64 s[0:1], s46, v69
	v_add_f32_e32 v32, v24, v105
	v_cndmask_b32_e64 v138, v134, v26, s[6:7]
	v_cndmask_b32_e64 v69, 0, v25, s[0:1]
	v_add_f32_e32 v32, v137, v32
	v_cndmask_b32_e64 v139, v134, v27, s[8:9]
	v_cndmask_b32_e64 v147, v134, v33, s[20:21]
	v_cvt_f16_f32_e32 v33, v69
	v_add_f32_e32 v32, v138, v32
	v_cndmask_b32_e64 v140, v134, v28, s[10:11]
	v_add_f32_e32 v32, v139, v32
	v_cndmask_b32_e64 v141, v134, v29, s[12:13]
	;; [unrolled: 2-line block ×4, first 2 shown]
	v_cvt_pk_f16_f32 v29, v141, v30
	v_mul_u32_u24_e32 v33, 0x10001, v33
	v_add_f32_e32 v30, v30, v32
	v_cvt_pk_f16_f32 v39, v137, v138
	v_pk_mul_f16 v83, v83, v33
	v_add_f32_e32 v137, v31, v30
	v_cvt_f32_f16_e32 v144, v83
	v_cvt_f32_f16_sdwa v145, v83 dst_sel:DWORD dst_unused:UNUSED_PAD src0_sel:WORD_1
	v_add_f32_e32 v83, v146, v137
	v_cndmask_b32_e64 v148, v134, v34, s[22:23]
	v_add_f32_e32 v83, v147, v83
	v_cndmask_b32_e64 v149, v134, v35, s[24:25]
	v_add_f32_e32 v83, v148, v83
	v_cndmask_b32_e64 v150, v134, v36, s[26:27]
	v_add_f32_e32 v83, v149, v83
	v_cndmask_b32_e64 v151, v134, v37, s[28:29]
	v_add_f32_e32 v83, v150, v83
	v_cndmask_b32_e64 v152, v134, v38, s[30:31]
	v_cvt_pk_f16_f32 v38, v24, v105
	v_pk_mul_f16 v32, v118, v33
	v_pk_mul_f16 v34, v117, v33
	;; [unrolled: 1-line block ×11, first 2 shown]
	v_add_f32_e32 v83, v151, v83
	v_cvt_pk_f16_f32 v28, v139, v140
	v_cvt_pk_f16_f32 v27, v147, v148
	;; [unrolled: 1-line block ×4, first 2 shown]
	v_cvt_f32_f16_e32 v84, v90
	v_cvt_f32_f16_sdwa v85, v90 dst_sel:DWORD dst_unused:UNUSED_PAD src0_sel:WORD_1
	v_cvt_f32_f16_e32 v86, v89
	v_cvt_f32_f16_sdwa v87, v89 dst_sel:DWORD dst_unused:UNUSED_PAD src0_sel:WORD_1
	;; [unrolled: 2-line block ×7, first 2 shown]
	ds_read_u16 v12, v127 offset:208
	ds_read_u16 v14, v127
	ds_read_u16 v15, v127 offset:32
	ds_read_u16 v16, v127 offset:240
	;; [unrolled: 1-line block ×14, first 2 shown]
	ds_read_u16 v13, v128
	ds_read_u16 v21, v128 offset:32
	ds_read_u16 v137, v128 offset:3328
	;; [unrolled: 1-line block ×7, first 2 shown]
	ds_read_u16 v146, v129
	ds_read_u16 v154, v129 offset:32
	ds_read_u16 v147, v129 offset:3328
	;; [unrolled: 1-line block ×71, first 2 shown]
	v_add_f32_e32 v105, v152, v83
	v_fmac_f32_e32 v105, v136, v69
	s_waitcnt lgkmcnt(14)
	v_perm_b32 v136, v148, v17, s47
	v_perm_b32 v17, v154, v21, s47
	;; [unrolled: 1-line block ×12, first 2 shown]
	v_mfma_f32_16x16x16_f16 v[20:23], v[20:21], v[38:39], v[84:87]
	v_cvt_f32_f16_e32 v30, v32
	v_cvt_f32_f16_sdwa v31, v32 dst_sel:DWORD dst_unused:UNUSED_PAD src0_sel:WORD_1
	v_cvt_f32_f16_e32 v32, v34
	v_perm_b32 v85, v180, v179, s47
	v_perm_b32 v84, v178, v93, s47
	v_cvt_f32_f16_sdwa v33, v34 dst_sel:DWORD dst_unused:UNUSED_PAD src0_sel:WORD_1
	v_cvt_f32_f16_e32 v34, v35
	v_cvt_f32_f16_sdwa v35, v35 dst_sel:DWORD dst_unused:UNUSED_PAD src0_sel:WORD_1
	v_cvt_f32_f16_e32 v36, v37
	v_cvt_f32_f16_sdwa v37, v37 dst_sel:DWORD dst_unused:UNUSED_PAD src0_sel:WORD_1
	v_mfma_f32_16x16x16_f16 v[12:15], v[12:13], v[38:39], v[30:33]
	v_cvt_f16_f32_e32 v20, v20
	v_cvt_f16_f32_e32 v21, v21
	;; [unrolled: 1-line block ×3, first 2 shown]
	v_mfma_f32_16x16x16_f16 v[16:19], v[16:17], v[38:39], v[34:37]
	v_cvt_f16_f32_e32 v23, v23
	s_nop 2
	v_cvt_f16_f32_e32 v12, v12
	v_cvt_f16_f32_e32 v13, v13
	v_mfma_f32_16x16x16_f16 v[30:33], v[162:163], v[38:39], v[88:91]
	v_cvt_f16_f32_e32 v14, v14
	v_cvt_f16_f32_e32 v15, v15
	v_cvt_f16_f32_e32 v16, v16
	v_mfma_f32_16x16x16_f16 v[34:37], v[170:171], v[38:39], v[138:141]
	v_cvt_f16_f32_e32 v17, v17
	;; [unrolled: 4-line block ×3, first 2 shown]
	v_cvt_f16_f32_e32 v31, v31
	v_cvt_f16_f32_e32 v32, v32
	;; [unrolled: 1-line block ×11, first 2 shown]
	v_cvt_pk_f16_f32 v25, v151, v152
	v_perm_b32 v137, v147, v137, s47
	v_perm_b32 v151, v155, v153, s47
	;; [unrolled: 1-line block ×11, first 2 shown]
	v_cvt_f32_f16_e32 v12, v12
	v_cvt_f32_f16_e32 v13, v13
	;; [unrolled: 1-line block ×24, first 2 shown]
	v_mfma_f32_16x16x16_f16 v[12:15], v[136:137], v[28:29], v[12:15]
	v_perm_b32 v147, v169, v149, s47
	v_perm_b32 v146, v190, v189, s47
	;; [unrolled: 1-line block ×3, first 2 shown]
	v_mfma_f32_16x16x16_f16 v[16:19], v[150:151], v[28:29], v[16:19]
	v_perm_b32 v152, v192, v191, s47
	s_nop 2
	v_cvt_f16_f32_e32 v12, v12
	v_cvt_f16_f32_e32 v13, v13
	v_mfma_f32_16x16x16_f16 v[20:23], v[156:157], v[28:29], v[20:23]
	v_cvt_f16_f32_e32 v14, v14
	v_cvt_f16_f32_e32 v15, v15
	v_cvt_f16_f32_e32 v16, v16
	v_mfma_f32_16x16x16_f16 v[30:33], v[164:165], v[28:29], v[30:33]
	v_cvt_f16_f32_e32 v17, v17
	;; [unrolled: 4-line block ×4, first 2 shown]
	v_cvt_f16_f32_e32 v28, v30
	v_cvt_f16_f32_e32 v29, v31
	;; [unrolled: 1-line block ×12, first 2 shown]
	v_perm_b32 v158, v199, v193, s47
	v_perm_b32 v167, v186, v168, s47
	;; [unrolled: 1-line block ×3, first 2 shown]
	s_waitcnt lgkmcnt(11)
	v_perm_b32 v175, v217, v209, s47
	v_perm_b32 v174, v203, v195, s47
	s_waitcnt lgkmcnt(8)
	v_perm_b32 v91, v220, v212, s47
	v_perm_b32 v90, v204, v196, s47
	v_cvt_f32_f16_e32 v12, v12
	v_cvt_f32_f16_e32 v13, v13
	;; [unrolled: 1-line block ×24, first 2 shown]
	v_mfma_f32_16x16x16_f16 v[12:15], v[146:147], v[26:27], v[12:15]
	v_perm_b32 v149, v213, v205, s47
	s_waitcnt lgkmcnt(7)
	v_perm_b32 v148, v221, v197, s47
	v_perm_b32 v155, v214, v206, s47
	v_mfma_f32_16x16x16_f16 v[16:19], v[152:153], v[26:27], v[16:19]
	s_waitcnt lgkmcnt(6)
	v_perm_b32 v154, v222, v198, s47
	s_nop 0
	v_cvt_f16_f32_e32 v12, v12
	v_cvt_f16_f32_e32 v13, v13
	v_mfma_f32_16x16x16_f16 v[20:23], v[158:159], v[26:27], v[20:23]
	v_cvt_f16_f32_e32 v14, v14
	v_cvt_f16_f32_e32 v15, v15
	v_cvt_f16_f32_e32 v16, v16
	v_mfma_f32_16x16x16_f16 v[28:31], v[166:167], v[26:27], v[28:31]
	v_cvt_f16_f32_e32 v17, v17
	;; [unrolled: 4-line block ×4, first 2 shown]
	v_cvt_f16_f32_e32 v26, v28
	v_cvt_f16_f32_e32 v27, v29
	;; [unrolled: 1-line block ×12, first 2 shown]
	v_perm_b32 v161, v215, v207, s47
	s_waitcnt lgkmcnt(5)
	v_perm_b32 v160, v223, v200, s47
	v_perm_b32 v169, v216, v208, s47
	s_waitcnt lgkmcnt(4)
	v_perm_b32 v168, v224, v202, s47
	;; [unrolled: 3-line block ×4, first 2 shown]
	v_cvt_f32_f16_e32 v12, v12
	v_cvt_f32_f16_e32 v13, v13
	;; [unrolled: 1-line block ×24, first 2 shown]
	v_mfma_f32_16x16x16_f16 v[12:15], v[148:149], v[24:25], v[12:15]
	s_barrier
	v_mfma_f32_16x16x16_f16 v[16:19], v[154:155], v[24:25], v[16:19]
	v_mfma_f32_16x16x16_f16 v[20:23], v[160:161], v[24:25], v[20:23]
	s_nop 4
	v_cvt_pk_f16_f32 v118, v12, v13
	s_nop 0
	v_cvt_pk_f16_f32 v93, v16, v17
	v_cvt_pk_f16_f32 v91, v18, v19
	v_mfma_f32_16x16x16_f16 v[26:29], v[168:169], v[24:25], v[26:29]
	v_cvt_pk_f16_f32 v117, v14, v15
	v_cvt_pk_f16_f32 v90, v20, v21
	;; [unrolled: 1-line block ×3, first 2 shown]
	v_mfma_f32_16x16x16_f16 v[30:33], v[176:177], v[24:25], v[30:33]
	v_mfma_f32_16x16x16_f16 v[34:37], v[138:139], v[24:25], v[34:37]
	s_nop 2
	v_cvt_pk_f16_f32 v88, v26, v27
	v_cvt_pk_f16_f32 v87, v28, v29
	s_nop 1
	v_cvt_pk_f16_f32 v86, v30, v31
	v_cvt_pk_f16_f32 v85, v32, v33
	;; [unrolled: 1-line block ×4, first 2 shown]
	s_cbranch_vccnz .LBB14_308
; %bb.309:
	v_mov_b64_e32 v[12:13], s[56:57]
	v_mov_b64_e32 v[14:15], s[54:55]
.LBB14_310:
	s_lshl_b32 s0, s70, 6
	s_ashr_i32 s1, s0, 31
	s_lshl_b64 s[2:3], s[0:1], 1
	s_add_u32 s2, s42, s2
	s_addc_u32 s3, s43, s3
	v_mov_b32_e32 v43, 0
	v_lshl_add_u64 v[16:17], s[2:3], 0, v[42:43]
	v_lshl_add_u64 v[18:19], v[50:51], 1, v[16:17]
	;; [unrolled: 1-line block ×3, first 2 shown]
	global_load_dword v36, v[18:19], off
	global_load_dword v37, v[16:17], off
	v_mul_lo_u32 v16, v14, s1
	v_mul_hi_u32 v17, v14, s0
	v_add_u32_e32 v16, v17, v16
	v_mul_lo_u32 v15, v15, s0
	v_add_u32_e32 v15, v16, v15
	v_mul_lo_u32 v14, v14, s0
	v_lshlrev_b64 v[14:15], 2, v[14:15]
	v_lshl_add_u64 v[18:19], s[44:45], 0, v[14:15]
	v_lshl_add_u64 v[14:15], v[56:57], 2, v[18:19]
	v_lshlrev_b64 v[16:17], 2, v[54:55]
	v_lshl_add_u64 v[20:21], v[14:15], 0, v[16:17]
	v_lshl_add_u64 v[22:23], v[60:61], 2, v[18:19]
	v_lshlrev_b64 v[14:15], 2, v[58:59]
	v_lshl_add_u64 v[18:19], v[62:63], 2, v[18:19]
	v_lshl_add_u64 v[22:23], v[22:23], 0, v[14:15]
	v_lshl_add_u64 v[18:19], v[18:19], 0, v[14:15]
	global_load_dwordx4 v[24:27], v[20:21], off
	global_load_dwordx4 v[28:31], v[22:23], off
	global_load_dwordx4 v[32:35], v[18:19], off
	v_add_u32_e32 v18, 0, v42
	v_lshlrev_b32_e32 v19, 2, v54
	v_lshlrev_b32_e32 v22, 2, v58
	v_add3_u32 v23, 0, v97, v81
	v_add_u32_e32 v38, v18, v99
	v_add_u32_e32 v18, v18, v103
	v_add3_u32 v20, 0, v104, v19
	v_add3_u32 v21, 0, v115, v22
	;; [unrolled: 1-line block ×3, first 2 shown]
	v_add_u32_e32 v19, 0x1800, v23
	v_add_u32_e32 v42, 0x2000, v23
	v_cmp_lt_i32_e32 vcc, v101, v100
	s_mov_b32 s4, 0x3fb8aa3b
	s_mov_b32 s3, 0xc2ce8ed0
	;; [unrolled: 1-line block ×3, first 2 shown]
	s_waitcnt vmcnt(4)
	ds_write_b32 v38, v36 offset:13312
	s_waitcnt vmcnt(3)
	ds_write_b32 v18, v37 offset:13312
	s_waitcnt vmcnt(2)
	ds_write_b128 v20, v[24:27]
	s_waitcnt vmcnt(1)
	ds_write_b128 v21, v[28:31]
	s_waitcnt vmcnt(0)
	ds_write_b128 v22, v[32:35]
	v_add_u32_e32 v18, 0x800, v23
	s_waitcnt lgkmcnt(0)
	s_barrier
	ds_read2_b64 v[24:27], v23 offset1:4
	ds_read2_b64 v[32:35], v18 offset0:160 offset1:164
	ds_read2_b64 v[50:53], v19 offset0:64 offset1:68
	;; [unrolled: 1-line block ×3, first 2 shown]
	s_waitcnt lgkmcnt(3)
	v_mfma_f32_16x16x16_f16 v[28:31], v[24:25], v[8:9], 0
	s_waitcnt lgkmcnt(2)
	v_mfma_f32_16x16x16_f16 v[36:39], v[32:33], v[8:9], 0
	;; [unrolled: 2-line block ×4, first 2 shown]
	v_mfma_f32_16x16x16_f16 v[24:27], v[26:27], v[10:11], v[28:31]
	v_mfma_f32_16x16x16_f16 v[28:31], v[34:35], v[10:11], v[36:39]
	;; [unrolled: 1-line block ×3, first 2 shown]
	s_nop 1
	ds_read2_b64 v[36:39], v23 offset0:8 offset1:12
	ds_read2_b64 v[50:53], v18 offset0:168 offset1:172
	v_mfma_f32_16x16x16_f16 v[8:11], v[60:61], v[10:11], v[62:65]
	ds_read2_b64 v[54:57], v19 offset0:72 offset1:76
	ds_read2_b64 v[58:61], v42 offset0:232 offset1:236
	s_waitcnt lgkmcnt(3)
	v_mfma_f32_16x16x16_f16 v[24:27], v[36:37], v[4:5], v[24:27]
	s_waitcnt lgkmcnt(2)
	v_mfma_f32_16x16x16_f16 v[28:31], v[50:51], v[4:5], v[28:31]
	;; [unrolled: 2-line block ×4, first 2 shown]
	v_mfma_f32_16x16x16_f16 v[24:27], v[38:39], v[6:7], v[24:27]
	ds_read2_b64 v[36:39], v23 offset0:16 offset1:20
	v_add_u32_e32 v23, 0, v113
	v_lshl_add_u32 v58, v114, 2, v23
	v_mfma_f32_16x16x16_f16 v[28:31], v[52:53], v[6:7], v[28:31]
	ds_read2_b64 v[50:53], v18 offset0:176 offset1:180
	v_lshl_add_u32 v18, v111, 2, v23
	v_lshl_add_u32 v59, v112, 2, v23
	v_mfma_f32_16x16x16_f16 v[32:35], v[56:57], v[6:7], v[32:35]
	ds_read2_b64 v[54:57], v42 offset0:240 offset1:244
	v_lshl_add_u32 v42, v106, 2, v23
	v_mfma_f32_16x16x16_f16 v[4:7], v[60:61], v[6:7], v[8:11]
	s_nop 2
	ds_read2_b64 v[8:11], v19 offset0:80 offset1:84
	s_waitcnt lgkmcnt(3)
	v_mfma_f32_16x16x16_f16 v[24:27], v[36:37], v[0:1], v[24:27]
	v_lshl_add_u32 v19, v110, 2, v23
	v_lshl_add_u32 v36, v109, 2, v23
	;; [unrolled: 1-line block ×3, first 2 shown]
	s_waitcnt lgkmcnt(2)
	v_mfma_f32_16x16x16_f16 v[28:31], v[50:51], v[0:1], v[28:31]
	v_lshl_add_u32 v23, v107, 2, v23
	s_waitcnt lgkmcnt(0)
	s_barrier
	v_mfma_f32_16x16x16_f16 v[32:35], v[8:9], v[0:1], v[32:35]
	v_mfma_f32_16x16x16_f16 v[4:7], v[54:55], v[0:1], v[4:7]
	ds_read_b32 v0, v58 offset:13312
	ds_read_b32 v1, v18 offset:13312
	;; [unrolled: 1-line block ×8, first 2 shown]
	s_waitcnt lgkmcnt(6)
	v_cvt_f32_f16_sdwa v50, v1 dst_sel:DWORD dst_unused:UNUSED_PAD src0_sel:WORD_1
	s_waitcnt lgkmcnt(5)
	v_cvt_f32_f16_e32 v51, v8
	v_mfma_f32_16x16x16_f16 v[24:27], v[38:39], v[2:3], v[24:27]
	v_cvt_f32_f16_e32 v38, v0
	v_cvt_f32_f16_sdwa v39, v0 dst_sel:DWORD dst_unused:UNUSED_PAD src0_sel:WORD_1
	v_cvt_f32_f16_e32 v42, v1
	v_mfma_f32_16x16x16_f16 v[28:31], v[52:53], v[2:3], v[28:31]
	v_cvt_f32_f16_sdwa v52, v8 dst_sel:DWORD dst_unused:UNUSED_PAD src0_sel:WORD_1
	v_mfma_f32_16x16x16_f16 v[8:11], v[10:11], v[2:3], v[32:35]
	s_waitcnt lgkmcnt(4)
	s_nop 1
	v_cvt_f32_f16_e32 v32, v18
	v_cvt_f32_f16_sdwa v18, v18 dst_sel:DWORD dst_unused:UNUSED_PAD src0_sel:WORD_1
	s_waitcnt lgkmcnt(3)
	v_cvt_f32_f16_e32 v33, v19
	v_mfma_f32_16x16x16_f16 v[0:3], v[56:57], v[2:3], v[4:7]
	v_add_f32_e32 v8, v8, v33
	s_nop 1
	v_add_f32_e32 v7, v27, v50
	v_add_f32_e32 v27, v29, v52
	v_add_f32_e32 v29, v31, v18
	v_cvt_f32_f16_sdwa v18, v19 dst_sel:DWORD dst_unused:UNUSED_PAD src0_sel:WORD_1
	s_waitcnt lgkmcnt(2)
	v_cvt_f32_f16_e32 v19, v36
	v_add_f32_e32 v4, v24, v38
	v_cvt_f32_f16_sdwa v24, v36 dst_sel:DWORD dst_unused:UNUSED_PAD src0_sel:WORD_1
	v_add_f32_e32 v9, v9, v18
	v_add_f32_e32 v10, v10, v19
	s_waitcnt lgkmcnt(1)
	v_cvt_f32_f16_e32 v18, v37
	v_cvt_f32_f16_sdwa v19, v37 dst_sel:DWORD dst_unused:UNUSED_PAD src0_sel:WORD_1
	v_add_f32_e32 v11, v11, v24
	s_waitcnt lgkmcnt(0)
	v_cvt_f32_f16_e32 v24, v23
	v_add_f32_e32 v5, v25, v39
	v_add_f32_e32 v6, v26, v42
	;; [unrolled: 1-line block ×8, first 2 shown]
	v_max3_f32 v0, v135, v0, v1
	v_add_f32_e32 v1, 0x40051340, v6
	v_add_f32_e32 v2, 0x40051340, v7
	;; [unrolled: 1-line block ×3, first 2 shown]
	v_cvt_f32_f16_sdwa v23, v23 dst_sel:DWORD dst_unused:UNUSED_PAD src0_sel:WORD_1
	v_max3_f32 v0, v0, v1, v2
	v_add_f32_e32 v1, 0x40051340, v26
	v_add_f32_e32 v2, 0x40051340, v27
	v_max3_f32 v0, v0, v1, v2
	v_add_f32_e32 v1, 0x40051340, v28
	v_add_f32_e32 v2, 0x40051340, v29
	v_max3_f32 v0, v0, v1, v2
	v_add_f32_e32 v1, 0x40051340, v8
	v_add_f32_e32 v2, 0x40051340, v9
	v_max3_f32 v0, v0, v1, v2
	v_add_f32_e32 v1, 0x40051340, v10
	v_add_f32_e32 v2, 0x40051340, v11
	v_add_f32_e32 v23, v3, v23
	v_max3_f32 v0, v0, v1, v2
	v_add_f32_e32 v1, 0x40051340, v42
	v_add_f32_e32 v2, 0x40051340, v50
	v_max3_f32 v0, v0, v1, v2
	v_add_f32_e32 v1, 0x40051340, v51
	v_add_f32_e32 v2, 0x40051340, v23
	v_max3_f32 v0, v0, v1, v2
	v_cndmask_b32_e32 v1, v98, v101, vcc
	v_lshlrev_b32_e32 v25, 2, v1
	ds_bpermute_b32 v1, v25, v0
	v_cmp_lt_i32_e32 vcc, v102, v100
	s_waitcnt lgkmcnt(0)
	v_max_f32_e32 v1, v1, v1
	v_max_f32_e32 v0, v0, v1
	v_cndmask_b32_e32 v1, v98, v102, vcc
	v_lshlrev_b32_e32 v30, 2, v1
	ds_bpermute_b32 v1, v30, v0
	s_waitcnt lgkmcnt(0)
	v_max_f32_e32 v1, v1, v1
	v_max_f32_e32 v24, v0, v1
	v_sub_f32_e32 v0, v4, v24
	v_mul_f32_e32 v1, 0x3fb8aa3b, v0
	v_fma_f32 v2, v0, s4, -v1
	v_rndne_f32_e32 v3, v1
	v_fmac_f32_e32 v2, 0x32a5705f, v0
	v_sub_f32_e32 v1, v1, v3
	v_add_f32_e32 v1, v1, v2
	v_exp_f32_e32 v1, v1
	v_cvt_i32_f32_e32 v2, v3
	v_cmp_ngt_f32_e32 vcc, s3, v0
	v_ldexp_f32 v1, v1, v2
	v_sub_f32_e32 v2, v5, v24
	v_mul_f32_e32 v3, 0x3fb8aa3b, v2
	v_fma_f32 v4, v2, s4, -v3
	v_rndne_f32_e32 v5, v3
	v_fmac_f32_e32 v4, 0x32a5705f, v2
	v_sub_f32_e32 v3, v3, v5
	v_add_f32_e32 v3, v3, v4
	v_exp_f32_e32 v3, v3
	v_cvt_i32_f32_e32 v5, v5
	v_cndmask_b32_e32 v1, 0, v1, vcc
	v_mov_b32_e32 v4, 0x7f800000
	v_cmp_nlt_f32_e32 vcc, s2, v0
	v_ldexp_f32 v0, v3, v5
	s_nop 0
	v_cndmask_b32_e32 v18, v4, v1, vcc
	v_sub_f32_e32 v1, v6, v24
	v_mul_f32_e32 v3, 0x3fb8aa3b, v1
	v_fma_f32 v5, v1, s4, -v3
	v_rndne_f32_e32 v6, v3
	v_fmac_f32_e32 v5, 0x32a5705f, v1
	v_sub_f32_e32 v3, v3, v6
	v_add_f32_e32 v3, v3, v5
	v_exp_f32_e32 v3, v3
	v_cvt_i32_f32_e32 v5, v6
	v_cmp_ngt_f32_e32 vcc, s3, v2
	s_nop 1
	v_cndmask_b32_e32 v0, 0, v0, vcc
	v_cmp_nlt_f32_e32 vcc, s2, v2
	v_sub_f32_e32 v2, v7, v24
	s_nop 0
	v_cndmask_b32_e32 v19, v4, v0, vcc
	v_ldexp_f32 v0, v3, v5
	v_mul_f32_e32 v3, 0x3fb8aa3b, v2
	v_fma_f32 v5, v2, s4, -v3
	v_rndne_f32_e32 v6, v3
	v_fmac_f32_e32 v5, 0x32a5705f, v2
	v_sub_f32_e32 v3, v3, v6
	v_add_f32_e32 v3, v3, v5
	v_exp_f32_e32 v3, v3
	v_cvt_i32_f32_e32 v5, v6
	v_cmp_ngt_f32_e32 vcc, s3, v1
	s_nop 1
	v_cndmask_b32_e32 v0, 0, v0, vcc
	v_cmp_nlt_f32_e32 vcc, s2, v1
	v_sub_f32_e32 v1, v26, v24
	s_nop 0
	v_cndmask_b32_e32 v31, v4, v0, vcc
	v_ldexp_f32 v0, v3, v5
	v_mul_f32_e32 v3, 0x3fb8aa3b, v1
	v_fma_f32 v5, v1, s4, -v3
	v_rndne_f32_e32 v6, v3
	v_fmac_f32_e32 v5, 0x32a5705f, v1
	v_sub_f32_e32 v3, v3, v6
	v_add_f32_e32 v3, v3, v5
	v_exp_f32_e32 v3, v3
	v_cvt_i32_f32_e32 v5, v6
	v_cmp_ngt_f32_e32 vcc, s3, v2
	s_nop 1
	v_cndmask_b32_e32 v0, 0, v0, vcc
	v_cmp_nlt_f32_e32 vcc, s2, v2
	v_sub_f32_e32 v2, v27, v24
	s_nop 0
	v_cndmask_b32_e32 v32, v4, v0, vcc
	v_ldexp_f32 v0, v3, v5
	v_mul_f32_e32 v3, 0x3fb8aa3b, v2
	v_fma_f32 v5, v2, s4, -v3
	v_rndne_f32_e32 v6, v3
	v_fmac_f32_e32 v5, 0x32a5705f, v2
	v_sub_f32_e32 v3, v3, v6
	v_add_f32_e32 v3, v3, v5
	v_exp_f32_e32 v3, v3
	v_cvt_i32_f32_e32 v5, v6
	v_cmp_ngt_f32_e32 vcc, s3, v1
	s_nop 1
	v_cndmask_b32_e32 v0, 0, v0, vcc
	v_cmp_nlt_f32_e32 vcc, s2, v1
	v_sub_f32_e32 v1, v28, v24
	s_nop 0
	v_cndmask_b32_e32 v33, v4, v0, vcc
	v_ldexp_f32 v0, v3, v5
	v_mul_f32_e32 v3, 0x3fb8aa3b, v1
	v_fma_f32 v5, v1, s4, -v3
	v_rndne_f32_e32 v6, v3
	v_fmac_f32_e32 v5, 0x32a5705f, v1
	v_sub_f32_e32 v3, v3, v6
	v_add_f32_e32 v3, v3, v5
	v_exp_f32_e32 v3, v3
	v_cvt_i32_f32_e32 v5, v6
	v_cmp_ngt_f32_e32 vcc, s3, v2
	s_nop 1
	v_cndmask_b32_e32 v0, 0, v0, vcc
	v_cmp_nlt_f32_e32 vcc, s2, v2
	v_sub_f32_e32 v2, v29, v24
	s_nop 0
	v_cndmask_b32_e32 v34, v4, v0, vcc
	v_ldexp_f32 v0, v3, v5
	v_mul_f32_e32 v3, 0x3fb8aa3b, v2
	v_fma_f32 v5, v2, s4, -v3
	v_rndne_f32_e32 v6, v3
	v_fmac_f32_e32 v5, 0x32a5705f, v2
	v_sub_f32_e32 v3, v3, v6
	v_add_f32_e32 v3, v3, v5
	v_exp_f32_e32 v3, v3
	v_cvt_i32_f32_e32 v5, v6
	v_cmp_ngt_f32_e32 vcc, s3, v1
	s_nop 1
	v_cndmask_b32_e32 v0, 0, v0, vcc
	v_cmp_nlt_f32_e32 vcc, s2, v1
	v_sub_f32_e32 v1, v8, v24
	s_nop 0
	v_cndmask_b32_e32 v35, v4, v0, vcc
	v_ldexp_f32 v0, v3, v5
	v_mul_f32_e32 v3, 0x3fb8aa3b, v1
	v_fma_f32 v5, v1, s4, -v3
	v_rndne_f32_e32 v6, v3
	v_fmac_f32_e32 v5, 0x32a5705f, v1
	v_sub_f32_e32 v3, v3, v6
	v_add_f32_e32 v3, v3, v5
	v_exp_f32_e32 v3, v3
	v_cvt_i32_f32_e32 v5, v6
	v_cmp_ngt_f32_e32 vcc, s3, v2
	s_nop 1
	v_cndmask_b32_e32 v0, 0, v0, vcc
	v_cmp_nlt_f32_e32 vcc, s2, v2
	v_sub_f32_e32 v2, v9, v24
	s_nop 0
	v_cndmask_b32_e32 v36, v4, v0, vcc
	v_ldexp_f32 v0, v3, v5
	v_mul_f32_e32 v3, 0x3fb8aa3b, v2
	v_fma_f32 v5, v2, s4, -v3
	v_rndne_f32_e32 v6, v3
	v_fmac_f32_e32 v5, 0x32a5705f, v2
	v_sub_f32_e32 v3, v3, v6
	v_add_f32_e32 v3, v3, v5
	v_exp_f32_e32 v3, v3
	v_cvt_i32_f32_e32 v5, v6
	v_cmp_ngt_f32_e32 vcc, s3, v1
	s_nop 1
	v_cndmask_b32_e32 v0, 0, v0, vcc
	v_cmp_nlt_f32_e32 vcc, s2, v1
	v_sub_f32_e32 v1, v10, v24
	s_nop 0
	v_cndmask_b32_e32 v37, v4, v0, vcc
	v_ldexp_f32 v0, v3, v5
	v_mul_f32_e32 v3, 0x3fb8aa3b, v1
	v_fma_f32 v5, v1, s4, -v3
	v_rndne_f32_e32 v6, v3
	v_fmac_f32_e32 v5, 0x32a5705f, v1
	v_sub_f32_e32 v3, v3, v6
	v_add_f32_e32 v3, v3, v5
	v_exp_f32_e32 v3, v3
	v_cvt_i32_f32_e32 v5, v6
	v_cmp_ngt_f32_e32 vcc, s3, v2
	s_nop 1
	v_cndmask_b32_e32 v0, 0, v0, vcc
	v_cmp_nlt_f32_e32 vcc, s2, v2
	s_nop 1
	v_cndmask_b32_e32 v38, v4, v0, vcc
	v_ldexp_f32 v0, v3, v5
	v_sub_f32_e32 v5, v11, v24
	v_cmp_ngt_f32_e32 vcc, s3, v1
	v_mul_f32_e32 v2, 0x3fb8aa3b, v5
	v_fma_f32 v3, v5, s4, -v2
	v_cndmask_b32_e32 v0, 0, v0, vcc
	v_cmp_nlt_f32_e32 vcc, s2, v1
	v_rndne_f32_e32 v6, v2
	v_mul_hi_u32 v1, v12, s0
	v_cndmask_b32_e32 v39, v4, v0, vcc
	v_mul_lo_u32 v0, v12, s1
	v_fmac_f32_e32 v3, 0x32a5705f, v5
	v_sub_f32_e32 v2, v2, v6
	v_add_u32_e32 v0, v1, v0
	v_mul_lo_u32 v1, v13, s0
	v_add_f32_e32 v2, v2, v3
	v_add_u32_e32 v1, v0, v1
	v_mul_lo_u32 v0, v12, s0
	v_exp_f32_e32 v2, v2
	v_cvt_i32_f32_e32 v3, v6
	v_lshlrev_b64 v[0:1], 2, v[0:1]
	v_lshl_add_u64 v[6:7], s[38:39], 0, v[0:1]
	v_lshl_add_u64 v[0:1], v[44:45], 2, v[6:7]
	;; [unrolled: 1-line block ×4, first 2 shown]
	v_ldexp_f32 v26, v2, v3
	v_lshl_add_u64 v[16:17], v[0:1], 0, v[14:15]
	global_load_dwordx4 v[0:3], v[12:13], off
	global_load_dwordx4 v[8:11], v[16:17], off
	v_lshl_add_u64 v[6:7], v[48:49], 2, v[6:7]
	v_lshl_add_u64 v[6:7], v[6:7], 0, v[14:15]
	global_load_dwordx4 v[12:15], v[6:7], off
	v_sub_f32_e32 v6, v42, v24
	v_mul_f32_e32 v7, 0x3fb8aa3b, v6
	v_fma_f32 v16, v6, s4, -v7
	v_rndne_f32_e32 v17, v7
	v_fmac_f32_e32 v16, 0x32a5705f, v6
	v_sub_f32_e32 v7, v7, v17
	v_add_f32_e32 v7, v7, v16
	v_exp_f32_e32 v7, v7
	v_cvt_i32_f32_e32 v16, v17
	v_cmp_ngt_f32_e32 vcc, s3, v5
	s_mov_b32 s0, 0xc1a00000
	v_add3_u32 v48, 0, v95, v92
	v_cndmask_b32_e32 v17, 0, v26, vcc
	v_cmp_nlt_f32_e32 vcc, s2, v5
	v_ldexp_f32 v5, v7, v16
	v_sub_f32_e32 v7, v50, v24
	v_mul_f32_e32 v16, 0x3fb8aa3b, v7
	v_cndmask_b32_e32 v42, v4, v17, vcc
	v_fma_f32 v17, v7, s4, -v16
	v_rndne_f32_e32 v26, v16
	v_fmac_f32_e32 v17, 0x32a5705f, v7
	v_sub_f32_e32 v16, v16, v26
	v_add_f32_e32 v16, v16, v17
	v_exp_f32_e32 v16, v16
	v_cvt_i32_f32_e32 v17, v26
	v_cmp_ngt_f32_e32 vcc, s3, v6
	s_waitcnt vmcnt(2)
	ds_write_b128 v20, v[0:3]
	s_waitcnt vmcnt(1)
	ds_write_b128 v21, v[8:11]
	;; [unrolled: 2-line block ×3, first 2 shown]
	v_cndmask_b32_e32 v5, 0, v5, vcc
	v_cmp_nlt_f32_e32 vcc, s2, v6
	s_waitcnt lgkmcnt(0)
	s_barrier
	v_cndmask_b32_e32 v44, v4, v5, vcc
	v_ldexp_f32 v5, v16, v17
	v_sub_f32_e32 v16, v51, v24
	v_mul_f32_e32 v6, 0x3fb8aa3b, v16
	v_fma_f32 v17, v16, s4, -v6
	v_rndne_f32_e32 v26, v6
	v_fmac_f32_e32 v17, 0x32a5705f, v16
	v_sub_f32_e32 v6, v6, v26
	v_add_f32_e32 v6, v6, v17
	v_cvt_i32_f32_e32 v17, v26
	v_sub_f32_e32 v26, v135, v24
	v_exp_f32_e32 v6, v6
	v_mul_f32_e32 v27, 0x3fb8aa3b, v26
	v_fma_f32 v28, v26, s4, -v27
	v_rndne_f32_e32 v29, v27
	v_cmp_ngt_f32_e32 vcc, s3, v7
	v_fmac_f32_e32 v28, 0x32a5705f, v26
	v_sub_f32_e32 v27, v27, v29
	v_cndmask_b32_e32 v5, 0, v5, vcc
	v_cmp_nlt_f32_e32 vcc, s2, v7
	v_add_f32_e32 v27, v27, v28
	v_exp_f32_e32 v27, v27
	v_cndmask_b32_e32 v45, v4, v5, vcc
	v_ldexp_f32 v5, v6, v17
	v_sub_f32_e32 v6, v23, v24
	v_cvt_i32_f32_e32 v28, v29
	v_mul_f32_e32 v7, 0x3fb8aa3b, v6
	v_fma_f32 v17, v6, s4, -v7
	v_rndne_f32_e32 v23, v7
	v_cmp_ngt_f32_e32 vcc, s3, v16
	v_fmac_f32_e32 v17, 0x32a5705f, v6
	v_sub_f32_e32 v7, v7, v23
	v_cndmask_b32_e32 v5, 0, v5, vcc
	v_add_f32_e32 v7, v7, v17
	v_cvt_i32_f32_e32 v17, v23
	v_ldexp_f32 v23, v27, v28
	v_cmp_ngt_f32_e32 vcc, s3, v26
	v_exp_f32_e32 v7, v7
	s_nop 0
	v_cndmask_b32_e32 v23, 0, v23, vcc
	v_cmp_nlt_f32_e32 vcc, s2, v26
	v_ldexp_f32 v7, v7, v17
	v_add3_u32 v17, 0, v94, v92
	v_cndmask_b32_e32 v23, v4, v23, vcc
	v_cmp_le_f32_e32 vcc, s0, v26
	v_add3_u32 v49, 0, v96, v92
	s_mov_b32 s0, 0x5040100
	v_cndmask_b32_e32 v46, 0, v23, vcc
	v_cvt_f16_f32_e32 v23, v46
	v_cmp_nlt_f32_e32 vcc, s2, v16
	v_cvt_pk_f16_f32 v21, v31, v32
	v_cvt_pk_f16_f32 v27, v39, v42
	v_mul_u32_u24_e32 v16, 0x10001, v23
	v_cndmask_b32_e32 v47, v4, v5, vcc
	v_pk_mul_f16 v5, v118, v16
	v_pk_mul_f16 v23, v117, v16
	v_cvt_f32_f16_e32 v0, v5
	v_cvt_f32_f16_sdwa v1, v5 dst_sel:DWORD dst_unused:UNUSED_PAD src0_sel:WORD_1
	ds_read_u16 v8, v48
	ds_read_u16 v5, v48 offset:32
	ds_read_u16 v10, v48 offset:3328
	;; [unrolled: 1-line block ×7, first 2 shown]
	ds_read_u16 v9, v49
	ds_read_u16 v13, v49 offset:32
	ds_read_u16 v14, v49 offset:3328
	;; [unrolled: 1-line block ×7, first 2 shown]
	s_waitcnt lgkmcnt(7)
	v_perm_b32 v9, v9, v8, s0
	ds_read_u16 v8, v17 offset:208
	ds_read_u16 v20, v17
	ds_read_u16 v55, v17 offset:32
	ds_read_u16 v58, v17 offset:240
	;; [unrolled: 1-line block ×6, first 2 shown]
	s_waitcnt lgkmcnt(6)
	v_perm_b32 v8, v8, v20, s0
	v_cvt_f32_f16_e32 v2, v23
	v_cvt_f32_f16_sdwa v3, v23 dst_sel:DWORD dst_unused:UNUSED_PAD src0_sel:WORD_1
	v_cvt_pk_f16_f32 v20, v18, v19
	v_cvt_pk_f16_f32 v23, v35, v36
	v_cmp_ngt_f32_e32 vcc, s3, v6
	v_mfma_f32_16x16x16_f16 v[0:3], v[8:9], v[20:21], v[0:3]
	v_perm_b32 v9, v14, v10, s0
	ds_read_u16 v8, v17 offset:3328
	ds_read_u16 v10, v17 offset:3360
	;; [unrolled: 1-line block ×12, first 2 shown]
	s_waitcnt lgkmcnt(6)
	v_perm_b32 v8, v22, v8, s0
	v_cvt_f16_f32_e32 v0, v0
	v_cvt_f16_f32_e32 v1, v1
	;; [unrolled: 1-line block ×4, first 2 shown]
	v_cvt_f32_f16_e32 v0, v0
	v_cvt_f32_f16_e32 v1, v1
	;; [unrolled: 1-line block ×4, first 2 shown]
	v_cvt_pk_f16_f32 v22, v33, v34
	v_cndmask_b32_e32 v7, 0, v7, vcc
	v_cmp_nlt_f32_e32 vcc, s2, v6
	v_mfma_f32_16x16x16_f16 v[0:3], v[8:9], v[22:23], v[0:3]
	v_cvt_pk_f16_f32 v26, v37, v38
	v_cndmask_b32_e32 v94, v4, v7, vcc
	ds_read_u16 v4, v48 offset:6656
	ds_read_u16 v95, v48 offset:6688
	;; [unrolled: 1-line block ×10, first 2 shown]
	v_cvt_f16_f32_e32 v0, v0
	v_cvt_f16_f32_e32 v1, v1
	;; [unrolled: 1-line block ×4, first 2 shown]
	s_waitcnt lgkmcnt(4)
	v_perm_b32 v7, v6, v4, s0
	ds_read_u16 v4, v17 offset:6656
	ds_read_u16 v6, v17 offset:6864
	;; [unrolled: 1-line block ×8, first 2 shown]
	s_waitcnt lgkmcnt(6)
	v_perm_b32 v6, v6, v4, s0
	v_cvt_f32_f16_e32 v0, v0
	v_cvt_f32_f16_e32 v1, v1
	;; [unrolled: 1-line block ×4, first 2 shown]
	v_pk_mul_f16 v4, v93, v16
	v_cvt_pk_f16_f32 v29, v47, v94
	v_mfma_f32_16x16x16_f16 v[0:3], v[6:7], v[26:27], v[0:3]
	ds_read_u16 v6, v48 offset:9984
	ds_read_u16 v93, v48 offset:10016
	;; [unrolled: 1-line block ×14, first 2 shown]
	s_waitcnt lgkmcnt(6)
	v_perm_b32 v7, v7, v6, s0
	ds_read_u16 v6, v17 offset:9984
	ds_read_u16 v121, v17 offset:10016
	;; [unrolled: 1-line block ×12, first 2 shown]
	v_cvt_f16_f32_e32 v0, v0
	v_cvt_f16_f32_e32 v1, v1
	;; [unrolled: 1-line block ×4, first 2 shown]
	s_waitcnt lgkmcnt(6)
	v_perm_b32 v6, v8, v6, s0
	v_cvt_f32_f16_e32 v0, v0
	v_cvt_f32_f16_e32 v1, v1
	;; [unrolled: 1-line block ×4, first 2 shown]
	v_cvt_pk_f16_f32 v28, v44, v45
	v_pk_mul_f16 v9, v91, v16
	v_perm_b32 v5, v13, v5, s0
	v_mfma_f32_16x16x16_f16 v[0:3], v[6:7], v[28:29], v[0:3]
	v_cvt_f32_f16_e32 v6, v4
	v_cvt_f32_f16_sdwa v7, v4 dst_sel:DWORD dst_unused:UNUSED_PAD src0_sel:WORD_1
	v_perm_b32 v4, v58, v55, s0
	v_cvt_f32_f16_e32 v8, v9
	v_cvt_f32_f16_sdwa v9, v9 dst_sel:DWORD dst_unused:UNUSED_PAD src0_sel:WORD_1
	v_pk_mul_f16 v89, v89, v16
	v_perm_b32 v13, v51, v12, s0
	v_mfma_f32_16x16x16_f16 v[4:7], v[4:5], v[20:21], v[6:9]
	v_pk_mul_f16 v87, v87, v16
	s_mov_b32 s1, 0
	s_nop 0
	v_perm_b32 v9, v50, v11, s0
	v_perm_b32 v8, v65, v10, s0
	s_nop 2
	v_cvt_f16_f32_e32 v4, v4
	v_cvt_f16_f32_e32 v5, v5
	;; [unrolled: 1-line block ×4, first 2 shown]
	v_cvt_f32_f16_e32 v4, v4
	v_cvt_f32_f16_e32 v5, v5
	;; [unrolled: 1-line block ×4, first 2 shown]
	ds_read_u16 v11, v17 offset:272
	ds_read_u16 v50, v17 offset:304
	;; [unrolled: 1-line block ×3, first 2 shown]
	v_mfma_f32_16x16x16_f16 v[4:7], v[8:9], v[22:23], v[4:7]
	v_perm_b32 v9, v99, v95, s0
	v_perm_b32 v8, v104, v103, s0
	v_pk_mul_f16 v10, v90, v16
	s_nop 4
	v_cvt_f16_f32_e32 v4, v4
	v_cvt_f16_f32_e32 v5, v5
	;; [unrolled: 1-line block ×4, first 2 shown]
	v_cvt_f32_f16_e32 v4, v4
	v_cvt_f32_f16_e32 v5, v5
	;; [unrolled: 1-line block ×4, first 2 shown]
	s_waitcnt lgkmcnt(2)
	v_perm_b32 v12, v11, v59, s0
	v_cvt_f32_f16_sdwa v11, v89 dst_sel:DWORD dst_unused:UNUSED_PAD src0_sel:WORD_1
	v_mfma_f32_16x16x16_f16 v[4:7], v[8:9], v[26:27], v[4:7]
	v_perm_b32 v9, v115, v93, s0
	v_perm_b32 v8, v125, v121, s0
	ds_read_u16 v55, v48 offset:3392
	ds_read_u16 v65, v48 offset:3424
	;; [unrolled: 1-line block ×3, first 2 shown]
	s_nop 2
	v_cvt_f16_f32_e32 v4, v4
	v_cvt_f16_f32_e32 v5, v5
	;; [unrolled: 1-line block ×4, first 2 shown]
	v_cvt_f32_f16_e32 v4, v4
	v_cvt_f32_f16_e32 v5, v5
	;; [unrolled: 1-line block ×4, first 2 shown]
	s_waitcnt lgkmcnt(4)
	v_perm_b32 v50, v50, v60, s0
	v_cmp_gt_u32_e32 vcc, 16, v80
	v_mfma_f32_16x16x16_f16 v[4:7], v[8:9], v[28:29], v[4:7]
	v_cvt_f32_f16_e32 v8, v10
	v_cvt_f32_f16_sdwa v9, v10 dst_sel:DWORD dst_unused:UNUSED_PAD src0_sel:WORD_1
	v_cvt_f32_f16_e32 v10, v89
	ds_read_u16 v51, v49 offset:3392
	ds_read_u16 v59, v49 offset:3424
	;; [unrolled: 1-line block ×3, first 2 shown]
	v_mfma_f32_16x16x16_f16 v[8:11], v[12:13], v[20:21], v[8:11]
	s_waitcnt lgkmcnt(2)
	v_perm_b32 v13, v51, v55, s0
	v_perm_b32 v12, v66, v14, s0
	ds_read_u16 v14, v17 offset:6928
	ds_read_u16 v55, v17 offset:6960
	;; [unrolled: 1-line block ×3, first 2 shown]
	s_nop 1
	v_cvt_f16_f32_e32 v8, v8
	v_cvt_f16_f32_e32 v9, v9
	;; [unrolled: 1-line block ×4, first 2 shown]
	v_cvt_f32_f16_e32 v8, v8
	v_cvt_f32_f16_e32 v9, v9
	;; [unrolled: 1-line block ×4, first 2 shown]
	v_perm_b32 v51, v52, v15, s0
	v_cvt_f32_f16_sdwa v15, v87 dst_sel:DWORD dst_unused:UNUSED_PAD src0_sel:WORD_1
	v_mfma_f32_16x16x16_f16 v[8:11], v[12:13], v[22:23], v[8:11]
	v_perm_b32 v13, v100, v96, s0
	s_waitcnt lgkmcnt(2)
	v_perm_b32 v12, v14, v106, s0
	v_pk_mul_f16 v14, v88, v16
	v_pk_mul_f16 v52, v86, v16
	s_nop 2
	v_cvt_f16_f32_e32 v8, v8
	v_cvt_f16_f32_e32 v9, v9
	;; [unrolled: 1-line block ×4, first 2 shown]
	v_cvt_f32_f16_e32 v8, v8
	v_cvt_f32_f16_e32 v9, v9
	;; [unrolled: 1-line block ×4, first 2 shown]
	s_nop 1
	v_mfma_f32_16x16x16_f16 v[8:11], v[12:13], v[26:27], v[8:11]
	v_perm_b32 v13, v116, v110, s0
	v_perm_b32 v12, v126, v122, s0
	s_nop 5
	v_cvt_f16_f32_e32 v8, v8
	v_cvt_f16_f32_e32 v9, v9
	v_cvt_f16_f32_e32 v10, v10
	v_cvt_f16_f32_e32 v11, v11
	v_cvt_f32_f16_e32 v8, v8
	v_cvt_f32_f16_e32 v9, v9
	v_cvt_f32_f16_e32 v10, v10
	v_cvt_f32_f16_e32 v11, v11
	s_nop 1
	v_mfma_f32_16x16x16_f16 v[8:11], v[12:13], v[28:29], v[8:11]
	v_cvt_f32_f16_e32 v12, v14
	v_cvt_f32_f16_sdwa v13, v14 dst_sel:DWORD dst_unused:UNUSED_PAD src0_sel:WORD_1
	v_cvt_f32_f16_e32 v14, v87
	s_nop 1
	v_mfma_f32_16x16x16_f16 v[12:15], v[50:51], v[20:21], v[12:15]
	v_perm_b32 v51, v59, v65, s0
	v_perm_b32 v50, v67, v63, s0
	v_pk_mul_f16 v59, v85, v16
	s_nop 4
	v_cvt_f16_f32_e32 v12, v12
	v_cvt_f16_f32_e32 v13, v13
	;; [unrolled: 1-line block ×4, first 2 shown]
	v_cvt_f32_f16_e32 v12, v12
	v_cvt_f32_f16_e32 v13, v13
	;; [unrolled: 1-line block ×4, first 2 shown]
	s_nop 1
	v_mfma_f32_16x16x16_f16 v[12:15], v[50:51], v[22:23], v[12:15]
	v_perm_b32 v51, v101, v97, s0
	s_waitcnt lgkmcnt(1)
	v_perm_b32 v50, v55, v107, s0
	v_perm_b32 v55, v54, v53, s0
	;; [unrolled: 1-line block ×3, first 2 shown]
	s_nop 2
	v_cvt_f16_f32_e32 v12, v12
	v_cvt_f16_f32_e32 v13, v13
	;; [unrolled: 1-line block ×4, first 2 shown]
	v_cvt_f32_f16_e32 v12, v12
	v_cvt_f32_f16_e32 v13, v13
	;; [unrolled: 1-line block ×4, first 2 shown]
	v_cvt_f32_f16_sdwa v53, v59 dst_sel:DWORD dst_unused:UNUSED_PAD src0_sel:WORD_1
	s_nop 0
	v_mfma_f32_16x16x16_f16 v[12:15], v[50:51], v[26:27], v[12:15]
	v_perm_b32 v51, v117, v111, s0
	v_perm_b32 v50, v127, v123, s0
	s_nop 5
	v_cvt_f16_f32_e32 v12, v12
	v_cvt_f16_f32_e32 v13, v13
	;; [unrolled: 1-line block ×4, first 2 shown]
	v_cvt_f32_f16_e32 v12, v12
	v_cvt_f32_f16_e32 v13, v13
	;; [unrolled: 1-line block ×4, first 2 shown]
	s_nop 1
	v_mfma_f32_16x16x16_f16 v[12:15], v[50:51], v[28:29], v[12:15]
	v_cvt_f32_f16_e32 v50, v52
	v_cvt_f32_f16_sdwa v51, v52 dst_sel:DWORD dst_unused:UNUSED_PAD src0_sel:WORD_1
	v_cvt_f32_f16_e32 v52, v59
	ds_read_u16 v58, v17 offset:3456
	ds_read_u16 v59, v48 offset:6784
	;; [unrolled: 1-line block ×3, first 2 shown]
	v_mfma_f32_16x16x16_f16 v[48:51], v[54:55], v[20:21], v[50:53]
	v_add_f32_e32 v54, v18, v19
	s_nop 1
	v_perm_b32 v53, v89, v91, s0
	s_waitcnt lgkmcnt(2)
	v_perm_b32 v52, v68, v58, s0
	s_nop 1
	v_cvt_f16_f32_e32 v48, v48
	v_cvt_f16_f32_e32 v49, v49
	;; [unrolled: 1-line block ×4, first 2 shown]
	v_cvt_f32_f16_e32 v48, v48
	v_cvt_f32_f16_e32 v49, v49
	;; [unrolled: 1-line block ×4, first 2 shown]
	ds_read_u16 v17, v17 offset:10112
	v_add_f32_e32 v31, v31, v54
	v_mfma_f32_16x16x16_f16 v[48:51], v[52:53], v[22:23], v[48:51]
	v_add_f32_e32 v31, v32, v31
	v_add_f32_e32 v31, v33, v31
	v_add_f32_e32 v31, v34, v31
	v_pk_mul_f16 v34, v83, v16
	s_nop 3
	v_cvt_f16_f32_e32 v18, v48
	v_cvt_f16_f32_e32 v19, v49
	;; [unrolled: 1-line block ×4, first 2 shown]
	v_cvt_f32_f16_e32 v48, v18
	v_cvt_f32_f16_e32 v49, v19
	s_waitcnt lgkmcnt(1)
	v_perm_b32 v19, v60, v59, s0
	v_perm_b32 v18, v66, v108, s0
	v_cvt_f32_f16_e32 v50, v50
	v_cvt_f32_f16_e32 v51, v51
	v_add_f32_e32 v31, v35, v31
	v_add_f32_e32 v31, v36, v31
	v_mfma_f32_16x16x16_f16 v[48:51], v[18:19], v[26:27], v[48:51]
	v_add_f32_e32 v31, v37, v31
	v_add_f32_e32 v31, v38, v31
	;; [unrolled: 1-line block ×4, first 2 shown]
	s_nop 3
	v_cvt_f16_f32_e32 v18, v48
	v_cvt_f16_f32_e32 v19, v49
	;; [unrolled: 1-line block ×4, first 2 shown]
	v_cvt_f32_f16_e32 v48, v18
	v_cvt_f32_f16_e32 v49, v19
	v_perm_b32 v19, v118, v112, s0
	s_waitcnt lgkmcnt(0)
	v_perm_b32 v18, v128, v17, s0
	v_cvt_f32_f16_e32 v50, v32
	v_cvt_f32_f16_e32 v51, v33
	v_pk_mul_f16 v32, v84, v16
	v_perm_b32 v33, v57, v56, s0
	v_mfma_f32_16x16x16_f16 v[16:19], v[18:19], v[28:29], v[48:51]
	v_add_f32_e32 v31, v44, v31
	v_add_f32_e32 v31, v45, v31
	s_nop 0
	v_cvt_f32_f16_e32 v48, v32
	v_cvt_f32_f16_sdwa v49, v32 dst_sel:DWORD dst_unused:UNUSED_PAD src0_sel:WORD_1
	v_perm_b32 v32, v64, v62, s0
	v_cvt_f32_f16_e32 v50, v34
	v_cvt_f32_f16_sdwa v51, v34 dst_sel:DWORD dst_unused:UNUSED_PAD src0_sel:WORD_1
	v_add_f32_e32 v31, v47, v31
	v_add_f32_e32 v31, v94, v31
	v_mfma_f32_16x16x16_f16 v[32:35], v[32:33], v[20:21], v[48:51]
	v_fmac_f32_e32 v31, v105, v46
	ds_bpermute_b32 v25, v25, v31
	s_waitcnt lgkmcnt(0)
	s_barrier
	s_nop 3
	v_cvt_f16_f32_e32 v20, v32
	v_cvt_f16_f32_e32 v21, v33
	v_cvt_f16_f32_e32 v34, v34
	v_cvt_f16_f32_e32 v35, v35
	v_cvt_f32_f16_e32 v32, v20
	v_cvt_f32_f16_e32 v33, v21
	v_perm_b32 v21, v102, v98, s0
	v_perm_b32 v20, v69, v92, s0
	v_cvt_f32_f16_e32 v34, v34
	v_cvt_f32_f16_e32 v35, v35
	v_add_f32_e32 v25, v31, v25
	s_nop 0
	v_mfma_f32_16x16x16_f16 v[20:23], v[20:21], v[22:23], v[32:35]
	s_barrier
	s_nop 1
	v_perm_b32 v33, v120, v114, s0
	v_perm_b32 v32, v124, v109, s0
	s_nop 2
	v_cvt_f16_f32_e32 v20, v20
	v_cvt_f16_f32_e32 v21, v21
	;; [unrolled: 1-line block ×4, first 2 shown]
	v_cvt_f32_f16_e32 v20, v20
	v_cvt_f32_f16_e32 v21, v21
	;; [unrolled: 1-line block ×4, first 2 shown]
	s_nop 1
	v_mfma_f32_16x16x16_f16 v[20:23], v[32:33], v[26:27], v[20:23]
	v_perm_b32 v27, v119, v113, s0
	v_perm_b32 v26, v129, v130, s0
	s_nop 5
	v_cvt_f16_f32_e32 v20, v20
	v_cvt_f16_f32_e32 v21, v21
	;; [unrolled: 1-line block ×4, first 2 shown]
	v_cvt_f32_f16_e32 v20, v20
	v_cvt_f32_f16_e32 v21, v21
	;; [unrolled: 1-line block ×4, first 2 shown]
	s_nop 1
	v_mfma_f32_16x16x16_f16 v[20:23], v[26:27], v[28:29], v[20:23]
	ds_bpermute_b32 v26, v30, v25
	s_and_saveexec_b64 s[4:5], vcc
	v_readlane_b32 s6, v232, 3
	s_cbranch_execz .LBB14_312
; %bb.311:
	v_readlane_b32 s0, v232, 4
	s_add_i32 s0, s0, s6
	s_lshl_b32 s0, s0, 6
	s_lshl_b64 s[2:3], s[0:1], 3
	s_add_u32 s2, s50, s2
	s_addc_u32 s3, s51, s3
	v_or_b32_e32 v42, v82, v80
	v_lshl_add_u64 v[28:29], v[42:43], 3, s[2:3]
	s_waitcnt lgkmcnt(0)
	v_add_f32_e32 v25, v25, v26
	global_store_dwordx2 v[28:29], v[24:25], off
.LBB14_312:
	s_or_b64 exec, exec, s[4:5]
	v_readlane_b32 s4, v232, 1
	v_readlane_b32 s5, v232, 2
	s_load_dword s0, s[4:5], 0x0
	s_load_dword s2, s[4:5], 0x10
	v_cvt_pk_f16_f32 v0, v0, v1
	v_cvt_pk_f16_f32 v1, v6, v7
	;; [unrolled: 1-line block ×3, first 2 shown]
	v_or_b32_e32 v12, v82, v74
	s_waitcnt lgkmcnt(0)
	s_lshr_b32 s2, s2, 16
	s_cmp_lg_u32 s2, 0
	s_cselect_b64 s[2:3], -1, 0
	s_cmp_lg_u64 s[2:3], 0
	s_addc_u32 s0, s0, 0
	v_mul_i32_i24_e32 v12, 0xd0, v12
	s_lshl_b32 s0, s0, 7
	v_cvt_pk_f16_f32 v2, v2, v3
	s_movk_i32 s4, 0xd0
	v_add3_u32 v12, 0, v12, v81
	s_lshl_b64 s[2:3], s[0:1], 3
	v_cvt_pk_f16_f32 v3, v4, v5
	v_cvt_pk_f16_f32 v4, v10, v11
	;; [unrolled: 1-line block ×8, first 2 shown]
	s_add_u32 s2, s50, s2
	s_mul_i32 s0, s6, 0xc00
	ds_write2_b32 v12, v0, v2 offset1:1
	ds_write2_b32 v12, v3, v1 offset0:8 offset1:9
	ds_write2_b32 v12, v5, v4 offset0:16 offset1:17
	;; [unrolled: 1-line block ×5, first 2 shown]
	v_mad_u32_u24 v2, v41, s4, v70
	s_addc_u32 s3, s51, s3
	s_lshl_b64 s[0:1], s[0:1], 3
	v_add_u32_e32 v6, 0x80, v2
	s_add_u32 s0, s2, s0
	s_waitcnt lgkmcnt(0)
	s_barrier
	ds_read2st64_b32 v[0:1], v6 offset0:6 offset1:19
	v_and_b32_e32 v3, 15, v41
	s_movk_i32 s2, 0x1ff0
	v_and_or_b32 v4, v71, s2, v3
	v_and_or_b32 v5, v72, s2, v3
	;; [unrolled: 1-line block ×3, first 2 shown]
	v_and_b32_e32 v8, 15, v73
	s_movk_i32 s2, 0x3ff0
	v_and_or_b32 v9, v77, s2, v8
	v_and_or_b32 v10, v78, s2, v8
	;; [unrolled: 1-line block ×3, first 2 shown]
	v_mad_u32_u24 v3, v3, s4, v70
	v_mad_u32_u24 v7, v73, s4, v76
	;; [unrolled: 1-line block ×7, first 2 shown]
	ds_read_b32 v11, v2
	ds_read_b32 v12, v4
	;; [unrolled: 1-line block ×4, first 2 shown]
	ds_read_b32 v7, v7 offset:128
	ds_read_b32 v9, v9 offset:128
	;; [unrolled: 1-line block ×4, first 2 shown]
	s_waitcnt lgkmcnt(7)
	v_cvt_f32_f16_e32 v2, v11
	v_cvt_f32_f16_sdwa v3, v11 dst_sel:DWORD dst_unused:UNUSED_PAD src0_sel:WORD_1
	v_cvt_f32_f16_e32 v4, v0
	v_cvt_f32_f16_sdwa v5, v0 dst_sel:DWORD dst_unused:UNUSED_PAD src0_sel:WORD_1
	v_mul_u32_u24_e32 v11, 48, v41
	s_addc_u32 s1, s3, s1
	v_pk_add_f32 v[2:3], v[2:3], 0 op_sel_hi:[1,0]
	v_add_lshl_u32 v11, v11, v40, 3
	global_store_dwordx2 v11, v[2:3], s[0:1]
	v_pk_add_f32 v[2:3], v[4:5], 0 op_sel_hi:[1,0]
	global_store_dwordx2 v11, v[2:3], s[0:1] offset:3072
	s_waitcnt lgkmcnt(6)
	v_cvt_f32_f16_e32 v2, v12
	v_cvt_f32_f16_sdwa v3, v12 dst_sel:DWORD dst_unused:UNUSED_PAD src0_sel:WORD_1
	v_add_u32_e32 v4, 0x1800, v11
	v_cvt_f32_f16_e32 v0, v1
	v_cvt_f32_f16_sdwa v1, v1 dst_sel:DWORD dst_unused:UNUSED_PAD src0_sel:WORD_1
	v_pk_add_f32 v[2:3], v[2:3], 0 op_sel_hi:[1,0]
	global_store_dwordx2 v4, v[2:3], s[0:1]
	ds_read2st64_b32 v[2:3], v6 offset0:32 offset1:45
	v_add_u32_e32 v4, 0x2400, v11
	v_pk_add_f32 v[0:1], v[0:1], 0 op_sel_hi:[1,0]
	global_store_dwordx2 v4, v[0:1], s[0:1]
	s_waitcnt lgkmcnt(6)
	v_cvt_f32_f16_e32 v0, v13
	v_cvt_f32_f16_sdwa v1, v13 dst_sel:DWORD dst_unused:UNUSED_PAD src0_sel:WORD_1
	s_waitcnt lgkmcnt(0)
	v_cvt_f32_f16_e32 v4, v2
	v_cvt_f32_f16_sdwa v5, v2 dst_sel:DWORD dst_unused:UNUSED_PAD src0_sel:WORD_1
	v_add_u32_e32 v6, 0x3000, v11
	v_pk_add_f32 v[0:1], v[0:1], 0 op_sel_hi:[1,0]
	global_store_dwordx2 v6, v[0:1], s[0:1]
	v_add_u32_e32 v2, 0x3c00, v11
	v_pk_add_f32 v[0:1], v[4:5], 0 op_sel_hi:[1,0]
	global_store_dwordx2 v2, v[0:1], s[0:1]
	v_cvt_f32_f16_e32 v0, v14
	v_cvt_f32_f16_sdwa v1, v14 dst_sel:DWORD dst_unused:UNUSED_PAD src0_sel:WORD_1
	v_cvt_f32_f16_e32 v2, v3
	v_cvt_f32_f16_sdwa v3, v3 dst_sel:DWORD dst_unused:UNUSED_PAD src0_sel:WORD_1
	v_add_u32_e32 v4, 0x4800, v11
	v_pk_add_f32 v[0:1], v[0:1], 0 op_sel_hi:[1,0]
	global_store_dwordx2 v4, v[0:1], s[0:1]
	v_add_u32_e32 v4, 0x5400, v11
	v_pk_add_f32 v[0:1], v[2:3], 0 op_sel_hi:[1,0]
	global_store_dwordx2 v4, v[0:1], s[0:1]
	v_cvt_f32_f16_e32 v0, v7
	v_cvt_f32_f16_sdwa v1, v7 dst_sel:DWORD dst_unused:UNUSED_PAD src0_sel:WORD_1
	v_mul_u32_u24_e32 v2, 48, v73
	v_or_b32_e32 v42, v2, v74
	v_lshl_add_u64 v[2:3], v[42:43], 3, s[0:1]
	v_pk_add_f32 v[0:1], v[0:1], 0 op_sel_hi:[1,0]
	global_store_dwordx2 v[2:3], v[0:1], off offset:256
	v_cvt_f32_f16_e32 v0, v9
	v_cvt_f32_f16_sdwa v1, v9 dst_sel:DWORD dst_unused:UNUSED_PAD src0_sel:WORD_1
	v_add_u32_e32 v2, 0x300, v42
	v_mov_b32_e32 v3, v43
	v_lshl_add_u64 v[2:3], v[2:3], 3, s[0:1]
	v_pk_add_f32 v[0:1], v[0:1], 0 op_sel_hi:[1,0]
	global_store_dwordx2 v[2:3], v[0:1], off offset:256
	v_cvt_f32_f16_e32 v0, v10
	v_cvt_f32_f16_sdwa v1, v10 dst_sel:DWORD dst_unused:UNUSED_PAD src0_sel:WORD_1
	v_cvt_f32_f16_e32 v4, v8
	v_cvt_f32_f16_sdwa v5, v8 dst_sel:DWORD dst_unused:UNUSED_PAD src0_sel:WORD_1
	v_add_u32_e32 v2, 0x600, v42
	v_mov_b32_e32 v3, v43
	v_lshl_add_u64 v[2:3], v[2:3], 3, s[0:1]
	v_pk_add_f32 v[0:1], v[0:1], 0 op_sel_hi:[1,0]
	v_add_u32_e32 v42, 0x900, v42
	global_store_dwordx2 v[2:3], v[0:1], off offset:256
	v_lshl_add_u64 v[0:1], v[42:43], 3, s[0:1]
	v_pk_add_f32 v[2:3], v[4:5], 0 op_sel_hi:[1,0]
	global_store_dwordx2 v[0:1], v[2:3], off offset:256
.LBB14_313:
	s_endpgm
	.section	.rodata,"a",@progbits
	.p2align	6, 0x0
	.amdhsa_kernel _ZL18flash_attn_ext_f16ILi96ELi96ELi16ELi4ELb0ELb0EEvPKcS1_S1_S1_S1_PKiPfP15HIP_vector_typeIfLj2EEffffjfiS5_IjLj3EEiiiiiiiiiiiliiliiiiil
		.amdhsa_group_segment_fixed_size 0
		.amdhsa_private_segment_fixed_size 0
		.amdhsa_kernarg_size 464
		.amdhsa_user_sgpr_count 2
		.amdhsa_user_sgpr_dispatch_ptr 0
		.amdhsa_user_sgpr_queue_ptr 0
		.amdhsa_user_sgpr_kernarg_segment_ptr 1
		.amdhsa_user_sgpr_dispatch_id 0
		.amdhsa_user_sgpr_kernarg_preload_length 0
		.amdhsa_user_sgpr_kernarg_preload_offset 0
		.amdhsa_user_sgpr_private_segment_size 0
		.amdhsa_uses_dynamic_stack 0
		.amdhsa_enable_private_segment 0
		.amdhsa_system_sgpr_workgroup_id_x 1
		.amdhsa_system_sgpr_workgroup_id_y 0
		.amdhsa_system_sgpr_workgroup_id_z 0
		.amdhsa_system_sgpr_workgroup_info 0
		.amdhsa_system_vgpr_workitem_id 1
		.amdhsa_next_free_vgpr 233
		.amdhsa_next_free_sgpr 100
		.amdhsa_accum_offset 236
		.amdhsa_reserve_vcc 1
		.amdhsa_float_round_mode_32 0
		.amdhsa_float_round_mode_16_64 0
		.amdhsa_float_denorm_mode_32 3
		.amdhsa_float_denorm_mode_16_64 3
		.amdhsa_dx10_clamp 1
		.amdhsa_ieee_mode 1
		.amdhsa_fp16_overflow 0
		.amdhsa_tg_split 0
		.amdhsa_exception_fp_ieee_invalid_op 0
		.amdhsa_exception_fp_denorm_src 0
		.amdhsa_exception_fp_ieee_div_zero 0
		.amdhsa_exception_fp_ieee_overflow 0
		.amdhsa_exception_fp_ieee_underflow 0
		.amdhsa_exception_fp_ieee_inexact 0
		.amdhsa_exception_int_div_zero 0
	.end_amdhsa_kernel
	.section	.text._ZL18flash_attn_ext_f16ILi96ELi96ELi16ELi4ELb0ELb0EEvPKcS1_S1_S1_S1_PKiPfP15HIP_vector_typeIfLj2EEffffjfiS5_IjLj3EEiiiiiiiiiiiliiliiiiil,"axG",@progbits,_ZL18flash_attn_ext_f16ILi96ELi96ELi16ELi4ELb0ELb0EEvPKcS1_S1_S1_S1_PKiPfP15HIP_vector_typeIfLj2EEffffjfiS5_IjLj3EEiiiiiiiiiiiliiliiiiil,comdat
.Lfunc_end14:
	.size	_ZL18flash_attn_ext_f16ILi96ELi96ELi16ELi4ELb0ELb0EEvPKcS1_S1_S1_S1_PKiPfP15HIP_vector_typeIfLj2EEffffjfiS5_IjLj3EEiiiiiiiiiiiliiliiiiil, .Lfunc_end14-_ZL18flash_attn_ext_f16ILi96ELi96ELi16ELi4ELb0ELb0EEvPKcS1_S1_S1_S1_PKiPfP15HIP_vector_typeIfLj2EEffffjfiS5_IjLj3EEiiiiiiiiiiiliiliiiiil
                                        ; -- End function
	.set _ZL18flash_attn_ext_f16ILi96ELi96ELi16ELi4ELb0ELb0EEvPKcS1_S1_S1_S1_PKiPfP15HIP_vector_typeIfLj2EEffffjfiS5_IjLj3EEiiiiiiiiiiiliiliiiiil.num_vgpr, 233
	.set _ZL18flash_attn_ext_f16ILi96ELi96ELi16ELi4ELb0ELb0EEvPKcS1_S1_S1_S1_PKiPfP15HIP_vector_typeIfLj2EEffffjfiS5_IjLj3EEiiiiiiiiiiiliiliiiiil.num_agpr, 0
	.set _ZL18flash_attn_ext_f16ILi96ELi96ELi16ELi4ELb0ELb0EEvPKcS1_S1_S1_S1_PKiPfP15HIP_vector_typeIfLj2EEffffjfiS5_IjLj3EEiiiiiiiiiiiliiliiiiil.numbered_sgpr, 100
	.set _ZL18flash_attn_ext_f16ILi96ELi96ELi16ELi4ELb0ELb0EEvPKcS1_S1_S1_S1_PKiPfP15HIP_vector_typeIfLj2EEffffjfiS5_IjLj3EEiiiiiiiiiiiliiliiiiil.num_named_barrier, 0
	.set _ZL18flash_attn_ext_f16ILi96ELi96ELi16ELi4ELb0ELb0EEvPKcS1_S1_S1_S1_PKiPfP15HIP_vector_typeIfLj2EEffffjfiS5_IjLj3EEiiiiiiiiiiiliiliiiiil.private_seg_size, 0
	.set _ZL18flash_attn_ext_f16ILi96ELi96ELi16ELi4ELb0ELb0EEvPKcS1_S1_S1_S1_PKiPfP15HIP_vector_typeIfLj2EEffffjfiS5_IjLj3EEiiiiiiiiiiiliiliiiiil.uses_vcc, 1
	.set _ZL18flash_attn_ext_f16ILi96ELi96ELi16ELi4ELb0ELb0EEvPKcS1_S1_S1_S1_PKiPfP15HIP_vector_typeIfLj2EEffffjfiS5_IjLj3EEiiiiiiiiiiiliiliiiiil.uses_flat_scratch, 0
	.set _ZL18flash_attn_ext_f16ILi96ELi96ELi16ELi4ELb0ELb0EEvPKcS1_S1_S1_S1_PKiPfP15HIP_vector_typeIfLj2EEffffjfiS5_IjLj3EEiiiiiiiiiiiliiliiiiil.has_dyn_sized_stack, 0
	.set _ZL18flash_attn_ext_f16ILi96ELi96ELi16ELi4ELb0ELb0EEvPKcS1_S1_S1_S1_PKiPfP15HIP_vector_typeIfLj2EEffffjfiS5_IjLj3EEiiiiiiiiiiiliiliiiiil.has_recursion, 0
	.set _ZL18flash_attn_ext_f16ILi96ELi96ELi16ELi4ELb0ELb0EEvPKcS1_S1_S1_S1_PKiPfP15HIP_vector_typeIfLj2EEffffjfiS5_IjLj3EEiiiiiiiiiiiliiliiiiil.has_indirect_call, 0
	.section	.AMDGPU.csdata,"",@progbits
; Kernel info:
; codeLenInByte = 50568
; TotalNumSgprs: 106
; NumVgprs: 233
; NumAgprs: 0
; TotalNumVgprs: 233
; ScratchSize: 0
; MemoryBound: 0
; FloatMode: 240
; IeeeMode: 1
; LDSByteSize: 0 bytes/workgroup (compile time only)
; SGPRBlocks: 13
; VGPRBlocks: 29
; NumSGPRsForWavesPerEU: 106
; NumVGPRsForWavesPerEU: 233
; AccumOffset: 236
; Occupancy: 2
; WaveLimiterHint : 0
; COMPUTE_PGM_RSRC2:SCRATCH_EN: 0
; COMPUTE_PGM_RSRC2:USER_SGPR: 2
; COMPUTE_PGM_RSRC2:TRAP_HANDLER: 0
; COMPUTE_PGM_RSRC2:TGID_X_EN: 1
; COMPUTE_PGM_RSRC2:TGID_Y_EN: 0
; COMPUTE_PGM_RSRC2:TGID_Z_EN: 0
; COMPUTE_PGM_RSRC2:TIDIG_COMP_CNT: 1
; COMPUTE_PGM_RSRC3_GFX90A:ACCUM_OFFSET: 58
; COMPUTE_PGM_RSRC3_GFX90A:TG_SPLIT: 0
	.section	.text._ZL18flash_attn_ext_f16ILi96ELi96ELi16ELi4ELb1ELb0EEvPKcS1_S1_S1_S1_PKiPfP15HIP_vector_typeIfLj2EEffffjfiS5_IjLj3EEiiiiiiiiiiiliiliiiiil,"axG",@progbits,_ZL18flash_attn_ext_f16ILi96ELi96ELi16ELi4ELb1ELb0EEvPKcS1_S1_S1_S1_PKiPfP15HIP_vector_typeIfLj2EEffffjfiS5_IjLj3EEiiiiiiiiiiiliiliiiiil,comdat
	.globl	_ZL18flash_attn_ext_f16ILi96ELi96ELi16ELi4ELb1ELb0EEvPKcS1_S1_S1_S1_PKiPfP15HIP_vector_typeIfLj2EEffffjfiS5_IjLj3EEiiiiiiiiiiiliiliiiiil ; -- Begin function _ZL18flash_attn_ext_f16ILi96ELi96ELi16ELi4ELb1ELb0EEvPKcS1_S1_S1_S1_PKiPfP15HIP_vector_typeIfLj2EEffffjfiS5_IjLj3EEiiiiiiiiiiiliiliiiiil
	.p2align	8
	.type	_ZL18flash_attn_ext_f16ILi96ELi96ELi16ELi4ELb1ELb0EEvPKcS1_S1_S1_S1_PKiPfP15HIP_vector_typeIfLj2EEffffjfiS5_IjLj3EEiiiiiiiiiiiliiliiiiil,@function
_ZL18flash_attn_ext_f16ILi96ELi96ELi16ELi4ELb1ELb0EEvPKcS1_S1_S1_S1_PKiPfP15HIP_vector_typeIfLj2EEffffjfiS5_IjLj3EEiiiiiiiiiiiliiliiiiil: ; @_ZL18flash_attn_ext_f16ILi96ELi96ELi16ELi4ELb1ELb0EEvPKcS1_S1_S1_S1_PKiPfP15HIP_vector_typeIfLj2EEffffjfiS5_IjLj3EEiiiiiiiiiiiliiliiiiil
; %bb.0:
	s_add_u32 s8, s0, 0xd0
	s_addc_u32 s9, s1, 0
	s_getpc_b64 s[0:1]
	s_add_u32 s0, s0, _ZL14no_device_codePKciS0_iS0_@rel32@lo+4
	s_addc_u32 s1, s1, _ZL14no_device_codePKciS0_iS0_@rel32@hi+12
	v_mov_b32_e32 v0, 0x6cc
	s_mov_b32 s32, 0
	s_swappc_b64 s[30:31], s[0:1]
	.section	.rodata,"a",@progbits
	.p2align	6, 0x0
	.amdhsa_kernel _ZL18flash_attn_ext_f16ILi96ELi96ELi16ELi4ELb1ELb0EEvPKcS1_S1_S1_S1_PKiPfP15HIP_vector_typeIfLj2EEffffjfiS5_IjLj3EEiiiiiiiiiiiliiliiiiil
		.amdhsa_group_segment_fixed_size 0
		.amdhsa_private_segment_fixed_size 16
		.amdhsa_kernarg_size 464
		.amdhsa_user_sgpr_count 2
		.amdhsa_user_sgpr_dispatch_ptr 0
		.amdhsa_user_sgpr_queue_ptr 0
		.amdhsa_user_sgpr_kernarg_segment_ptr 1
		.amdhsa_user_sgpr_dispatch_id 0
		.amdhsa_user_sgpr_kernarg_preload_length 0
		.amdhsa_user_sgpr_kernarg_preload_offset 0
		.amdhsa_user_sgpr_private_segment_size 0
		.amdhsa_uses_dynamic_stack 0
		.amdhsa_enable_private_segment 1
		.amdhsa_system_sgpr_workgroup_id_x 1
		.amdhsa_system_sgpr_workgroup_id_y 0
		.amdhsa_system_sgpr_workgroup_id_z 0
		.amdhsa_system_sgpr_workgroup_info 0
		.amdhsa_system_vgpr_workitem_id 0
		.amdhsa_next_free_vgpr 52
		.amdhsa_next_free_sgpr 34
		.amdhsa_accum_offset 52
		.amdhsa_reserve_vcc 1
		.amdhsa_float_round_mode_32 0
		.amdhsa_float_round_mode_16_64 0
		.amdhsa_float_denorm_mode_32 3
		.amdhsa_float_denorm_mode_16_64 3
		.amdhsa_dx10_clamp 1
		.amdhsa_ieee_mode 1
		.amdhsa_fp16_overflow 0
		.amdhsa_tg_split 0
		.amdhsa_exception_fp_ieee_invalid_op 0
		.amdhsa_exception_fp_denorm_src 0
		.amdhsa_exception_fp_ieee_div_zero 0
		.amdhsa_exception_fp_ieee_overflow 0
		.amdhsa_exception_fp_ieee_underflow 0
		.amdhsa_exception_fp_ieee_inexact 0
		.amdhsa_exception_int_div_zero 0
	.end_amdhsa_kernel
	.section	.text._ZL18flash_attn_ext_f16ILi96ELi96ELi16ELi4ELb1ELb0EEvPKcS1_S1_S1_S1_PKiPfP15HIP_vector_typeIfLj2EEffffjfiS5_IjLj3EEiiiiiiiiiiiliiliiiiil,"axG",@progbits,_ZL18flash_attn_ext_f16ILi96ELi96ELi16ELi4ELb1ELb0EEvPKcS1_S1_S1_S1_PKiPfP15HIP_vector_typeIfLj2EEffffjfiS5_IjLj3EEiiiiiiiiiiiliiliiiiil,comdat
.Lfunc_end15:
	.size	_ZL18flash_attn_ext_f16ILi96ELi96ELi16ELi4ELb1ELb0EEvPKcS1_S1_S1_S1_PKiPfP15HIP_vector_typeIfLj2EEffffjfiS5_IjLj3EEiiiiiiiiiiiliiliiiiil, .Lfunc_end15-_ZL18flash_attn_ext_f16ILi96ELi96ELi16ELi4ELb1ELb0EEvPKcS1_S1_S1_S1_PKiPfP15HIP_vector_typeIfLj2EEffffjfiS5_IjLj3EEiiiiiiiiiiiliiliiiiil
                                        ; -- End function
	.set _ZL18flash_attn_ext_f16ILi96ELi96ELi16ELi4ELb1ELb0EEvPKcS1_S1_S1_S1_PKiPfP15HIP_vector_typeIfLj2EEffffjfiS5_IjLj3EEiiiiiiiiiiiliiliiiiil.num_vgpr, max(1, .L_ZL14no_device_codePKciS0_iS0_.num_vgpr)
	.set _ZL18flash_attn_ext_f16ILi96ELi96ELi16ELi4ELb1ELb0EEvPKcS1_S1_S1_S1_PKiPfP15HIP_vector_typeIfLj2EEffffjfiS5_IjLj3EEiiiiiiiiiiiliiliiiiil.num_agpr, max(0, .L_ZL14no_device_codePKciS0_iS0_.num_agpr)
	.set _ZL18flash_attn_ext_f16ILi96ELi96ELi16ELi4ELb1ELb0EEvPKcS1_S1_S1_S1_PKiPfP15HIP_vector_typeIfLj2EEffffjfiS5_IjLj3EEiiiiiiiiiiiliiliiiiil.numbered_sgpr, max(33, .L_ZL14no_device_codePKciS0_iS0_.numbered_sgpr)
	.set _ZL18flash_attn_ext_f16ILi96ELi96ELi16ELi4ELb1ELb0EEvPKcS1_S1_S1_S1_PKiPfP15HIP_vector_typeIfLj2EEffffjfiS5_IjLj3EEiiiiiiiiiiiliiliiiiil.num_named_barrier, max(0, .L_ZL14no_device_codePKciS0_iS0_.num_named_barrier)
	.set _ZL18flash_attn_ext_f16ILi96ELi96ELi16ELi4ELb1ELb0EEvPKcS1_S1_S1_S1_PKiPfP15HIP_vector_typeIfLj2EEffffjfiS5_IjLj3EEiiiiiiiiiiiliiliiiiil.private_seg_size, 0+max(.L_ZL14no_device_codePKciS0_iS0_.private_seg_size)
	.set _ZL18flash_attn_ext_f16ILi96ELi96ELi16ELi4ELb1ELb0EEvPKcS1_S1_S1_S1_PKiPfP15HIP_vector_typeIfLj2EEffffjfiS5_IjLj3EEiiiiiiiiiiiliiliiiiil.uses_vcc, or(1, .L_ZL14no_device_codePKciS0_iS0_.uses_vcc)
	.set _ZL18flash_attn_ext_f16ILi96ELi96ELi16ELi4ELb1ELb0EEvPKcS1_S1_S1_S1_PKiPfP15HIP_vector_typeIfLj2EEffffjfiS5_IjLj3EEiiiiiiiiiiiliiliiiiil.uses_flat_scratch, or(0, .L_ZL14no_device_codePKciS0_iS0_.uses_flat_scratch)
	.set _ZL18flash_attn_ext_f16ILi96ELi96ELi16ELi4ELb1ELb0EEvPKcS1_S1_S1_S1_PKiPfP15HIP_vector_typeIfLj2EEffffjfiS5_IjLj3EEiiiiiiiiiiiliiliiiiil.has_dyn_sized_stack, or(0, .L_ZL14no_device_codePKciS0_iS0_.has_dyn_sized_stack)
	.set _ZL18flash_attn_ext_f16ILi96ELi96ELi16ELi4ELb1ELb0EEvPKcS1_S1_S1_S1_PKiPfP15HIP_vector_typeIfLj2EEffffjfiS5_IjLj3EEiiiiiiiiiiiliiliiiiil.has_recursion, or(0, .L_ZL14no_device_codePKciS0_iS0_.has_recursion)
	.set _ZL18flash_attn_ext_f16ILi96ELi96ELi16ELi4ELb1ELb0EEvPKcS1_S1_S1_S1_PKiPfP15HIP_vector_typeIfLj2EEffffjfiS5_IjLj3EEiiiiiiiiiiiliiliiiiil.has_indirect_call, or(0, .L_ZL14no_device_codePKciS0_iS0_.has_indirect_call)
	.section	.AMDGPU.csdata,"",@progbits
; Kernel info:
; codeLenInByte = 48
; TotalNumSgprs: 40
; NumVgprs: 52
; NumAgprs: 0
; TotalNumVgprs: 52
; ScratchSize: 16
; MemoryBound: 0
; FloatMode: 240
; IeeeMode: 1
; LDSByteSize: 0 bytes/workgroup (compile time only)
; SGPRBlocks: 4
; VGPRBlocks: 6
; NumSGPRsForWavesPerEU: 40
; NumVGPRsForWavesPerEU: 52
; AccumOffset: 52
; Occupancy: 8
; WaveLimiterHint : 1
; COMPUTE_PGM_RSRC2:SCRATCH_EN: 1
; COMPUTE_PGM_RSRC2:USER_SGPR: 2
; COMPUTE_PGM_RSRC2:TRAP_HANDLER: 0
; COMPUTE_PGM_RSRC2:TGID_X_EN: 1
; COMPUTE_PGM_RSRC2:TGID_Y_EN: 0
; COMPUTE_PGM_RSRC2:TGID_Z_EN: 0
; COMPUTE_PGM_RSRC2:TIDIG_COMP_CNT: 0
; COMPUTE_PGM_RSRC3_GFX90A:ACCUM_OFFSET: 12
; COMPUTE_PGM_RSRC3_GFX90A:TG_SPLIT: 0
	.section	.text._ZL33flash_attn_stream_k_fixup_uniformILi96ELi16ELi4EEvPfPK15HIP_vector_typeIfLj2EEiiiiiiS1_IjLj3EES5_S5_,"axG",@progbits,_ZL33flash_attn_stream_k_fixup_uniformILi96ELi16ELi4EEvPfPK15HIP_vector_typeIfLj2EEiiiiiiS1_IjLj3EES5_S5_,comdat
	.globl	_ZL33flash_attn_stream_k_fixup_uniformILi96ELi16ELi4EEvPfPK15HIP_vector_typeIfLj2EEiiiiiiS1_IjLj3EES5_S5_ ; -- Begin function _ZL33flash_attn_stream_k_fixup_uniformILi96ELi16ELi4EEvPfPK15HIP_vector_typeIfLj2EEiiiiiiS1_IjLj3EES5_S5_
	.p2align	8
	.type	_ZL33flash_attn_stream_k_fixup_uniformILi96ELi16ELi4EEvPfPK15HIP_vector_typeIfLj2EEiiiiiiS1_IjLj3EES5_S5_,@function
_ZL33flash_attn_stream_k_fixup_uniformILi96ELi16ELi4EEvPfPK15HIP_vector_typeIfLj2EEiiiiiiS1_IjLj3EES5_S5_: ; @_ZL33flash_attn_stream_k_fixup_uniformILi96ELi16ELi4EEvPfPK15HIP_vector_typeIfLj2EEiiiiiiS1_IjLj3EES5_S5_
; %bb.0:
	s_load_dwordx8 s[8:15], s[0:1], 0x1c
	s_load_dwordx2 s[6:7], s[0:1], 0x10
	s_load_dwordx4 s[16:19], s[0:1], 0x3c
	s_waitcnt lgkmcnt(0)
	s_mul_hi_u32 s5, s11, s2
	s_add_i32 s5, s2, s5
	s_lshr_b32 s5, s5, s12
	s_mul_i32 s11, s5, s13
	s_sub_i32 s12, s2, s11
	s_mul_hi_u32 s11, s12, s14
	s_add_i32 s11, s12, s11
	s_lshr_b32 s11, s11, s15
	s_mul_i32 s13, s11, s16
	s_sub_i32 s12, s12, s13
	;; [unrolled: 5-line block ×3, first 2 shown]
	s_lshl_b32 s12, s16, 4
	s_lshl_b32 s17, s13, 2
	s_add_i32 s12, s12, s3
	s_cmp_lt_i32 s12, s6
	s_cselect_b64 s[12:13], -1, 0
	s_add_i32 s17, s17, s4
	s_cmp_lt_i32 s17, s9
	s_cselect_b64 s[14:15], -1, 0
	s_and_b64 s[12:13], s[12:13], s[14:15]
	s_andn2_b64 vcc, exec, s[12:13]
	s_cbranch_vccnz .LBB16_6
; %bb.1:
	s_load_dwordx4 s[12:15], s[0:1], 0x0
	s_mul_i32 s0, s5, s6
	s_mul_i32 s11, s11, s9
	s_add_i32 s0, s0, s3
	s_mul_i32 s0, s0, s7
	s_add_i32 s5, s17, s11
	;; [unrolled: 2-line block ×3, first 2 shown]
	s_mulk_i32 s1, 0x600
	s_mulk_i32 s0, 0x60
	s_add_i32 s0, s0, s1
	v_add_u32_e32 v4, s0, v0
	s_waitcnt lgkmcnt(0)
	v_mov_b32_e32 v2, s12
	v_mov_b32_e32 v3, s13
	v_ashrrev_i32_e32 v5, 31, v4
	v_lshl_add_u64 v[2:3], v[4:5], 2, v[2:3]
	global_load_dword v5, v[2:3], off
	s_mul_i32 s5, s10, s2
	s_lshl_b32 s11, s3, 2
	s_add_i32 s9, s5, s10
	s_add_i32 s0, s11, s4
	s_lshl_b32 s1, s9, 6
	s_add_i32 s0, s0, s1
	s_sub_i32 s0, s0, 64
	s_ashr_i32 s1, s0, 31
	s_lshl_b64 s[0:1], s[0:1], 3
	s_add_u32 s0, s14, s0
	s_addc_u32 s1, s15, s1
	s_load_dword s12, s[0:1], 0x4
	s_add_i32 s6, s9, -2
	s_cmp_lt_i32 s6, s5
	s_cbranch_scc1 .LBB16_4
; %bb.2:
	s_lshl_b32 s6, s8, 8
	s_ashr_i32 s7, s6, 31
	s_lshl_b64 s[6:7], s[6:7], 2
	s_add_u32 s6, s14, s6
	s_addc_u32 s7, s15, s7
	s_add_i32 s2, s2, 1
	s_load_dword s0, s[0:1], 0x0
	s_mul_i32 s1, s10, s2
	s_lshl_b32 s2, s1, 6
	s_add_i32 s2, s4, s2
	s_mulk_i32 s3, 0x180
	s_mulk_i32 s4, 0x60
	s_lshl_b32 s8, s8, 6
	s_mulk_i32 s1, 0x1800
	s_add_i32 s3, s4, s3
	s_add_i32 s2, s2, s8
	;; [unrolled: 1-line block ×4, first 2 shown]
	v_add_u32_e32 v0, s3, v0
	s_add_i32 s9, s9, -1
	s_addk_i32 s2, 0xff80
	v_add_u32_e32 v0, 0xffffd000, v0
	s_waitcnt lgkmcnt(0)
	v_mov_b32_e32 v7, s0
	v_mov_b32_e32 v4, s12
	s_mov_b32 s4, 0x3fb8aa3b
	s_mov_b32 s8, 0xc2ce8ed0
	;; [unrolled: 1-line block ×3, first 2 shown]
	v_mov_b32_e32 v6, 0x7f800000
	s_mov_b32 s11, 0xc1a00000
.LBB16_3:                               ; =>This Inner Loop Header: Depth=1
	v_ashrrev_i32_e32 v1, 31, v0
	v_lshl_add_u64 v[8:9], v[0:1], 2, s[6:7]
	global_load_dword v9, v[8:9], off
	s_ashr_i32 s3, s2, 31
	s_lshl_b64 s[0:1], s[2:3], 3
	s_add_u32 s0, s14, s0
	s_addc_u32 s1, s15, s1
	s_load_dwordx2 s[0:1], s[0:1], 0x0
	v_max_f32_e32 v1, v7, v7
	s_add_i32 s9, s9, -1
	s_sub_i32 s2, s2, 64
	v_add_u32_e32 v0, 0xffffe800, v0
	s_waitcnt lgkmcnt(0)
	v_max_f32_e64 v10, s0, s0
	v_max_f32_e32 v1, v1, v10
	v_sub_f32_e32 v11, s0, v1
	v_sub_f32_e32 v10, v7, v1
	v_mul_f32_e32 v12, 0x3fb8aa3b, v11
	v_mov_b32_e32 v7, v1
	v_mul_f32_e32 v1, 0x3fb8aa3b, v10
	v_fma_f32 v15, v11, s4, -v12
	v_rndne_f32_e32 v16, v12
	v_fma_f32 v13, v10, s4, -v1
	v_rndne_f32_e32 v14, v1
	v_fmac_f32_e32 v15, 0x32a5705f, v11
	v_sub_f32_e32 v12, v12, v16
	v_fmac_f32_e32 v13, 0x32a5705f, v10
	v_sub_f32_e32 v1, v1, v14
	v_add_f32_e32 v12, v12, v15
	v_cvt_i32_f32_e32 v16, v16
	v_add_f32_e32 v1, v1, v13
	v_exp_f32_e32 v12, v12
	v_cvt_i32_f32_e32 v14, v14
	v_exp_f32_e32 v1, v1
	v_cmp_ngt_f32_e32 vcc, s8, v11
	v_ldexp_f32 v12, v12, v16
	v_mov_b32_e32 v8, s1
	v_ldexp_f32 v1, v1, v14
	v_cmp_ngt_f32_e64 s[0:1], s8, v10
	v_cndmask_b32_e32 v12, 0, v12, vcc
	v_cmp_nlt_f32_e32 vcc, s10, v11
	v_cndmask_b32_e64 v1, 0, v1, s[0:1]
	v_cmp_nlt_f32_e64 s[0:1], s10, v10
	v_cndmask_b32_e32 v12, v6, v12, vcc
	v_cmp_le_f32_e32 vcc, s11, v11
	v_cndmask_b32_e64 v1, v6, v1, s[0:1]
	v_cmp_le_f32_e64 s[0:1], s11, v10
	v_cndmask_b32_e32 v12, 0, v12, vcc
	s_cmp_le_i32 s9, s5
	v_cndmask_b32_e64 v10, 0, v1, s[0:1]
	s_waitcnt vmcnt(0)
	v_pk_mul_f32 v[8:9], v[8:9], v[12:13] op_sel_hi:[1,0]
	s_nop 0
	v_pk_fma_f32 v[4:5], v[4:5], v[10:11], v[8:9] op_sel_hi:[1,0,1]
	s_cbranch_scc0 .LBB16_3
	s_branch .LBB16_5
.LBB16_4:
	s_waitcnt lgkmcnt(0)
	v_mov_b32_e32 v4, s12
.LBB16_5:
	s_waitcnt vmcnt(0)
	v_div_scale_f32 v0, s[0:1], v4, v4, v5
	v_rcp_f32_e32 v1, v0
	v_div_scale_f32 v6, vcc, v5, v4, v5
	v_fma_f32 v7, -v0, v1, 1.0
	v_fmac_f32_e32 v1, v7, v1
	v_mul_f32_e32 v7, v6, v1
	v_fma_f32 v8, -v0, v7, v6
	v_fmac_f32_e32 v7, v8, v1
	v_fma_f32 v0, -v0, v7, v6
	v_div_fmas_f32 v0, v0, v1, v7
	v_div_fixup_f32 v0, v0, v4, v5
	global_store_dword v[2:3], v0, off
.LBB16_6:
	s_endpgm
	.section	.rodata,"a",@progbits
	.p2align	6, 0x0
	.amdhsa_kernel _ZL33flash_attn_stream_k_fixup_uniformILi96ELi16ELi4EEvPfPK15HIP_vector_typeIfLj2EEiiiiiiS1_IjLj3EES5_S5_
		.amdhsa_group_segment_fixed_size 0
		.amdhsa_private_segment_fixed_size 0
		.amdhsa_kernarg_size 76
		.amdhsa_user_sgpr_count 2
		.amdhsa_user_sgpr_dispatch_ptr 0
		.amdhsa_user_sgpr_queue_ptr 0
		.amdhsa_user_sgpr_kernarg_segment_ptr 1
		.amdhsa_user_sgpr_dispatch_id 0
		.amdhsa_user_sgpr_kernarg_preload_length 0
		.amdhsa_user_sgpr_kernarg_preload_offset 0
		.amdhsa_user_sgpr_private_segment_size 0
		.amdhsa_uses_dynamic_stack 0
		.amdhsa_enable_private_segment 0
		.amdhsa_system_sgpr_workgroup_id_x 1
		.amdhsa_system_sgpr_workgroup_id_y 1
		.amdhsa_system_sgpr_workgroup_id_z 1
		.amdhsa_system_sgpr_workgroup_info 0
		.amdhsa_system_vgpr_workitem_id 0
		.amdhsa_next_free_vgpr 17
		.amdhsa_next_free_sgpr 20
		.amdhsa_accum_offset 20
		.amdhsa_reserve_vcc 1
		.amdhsa_float_round_mode_32 0
		.amdhsa_float_round_mode_16_64 0
		.amdhsa_float_denorm_mode_32 3
		.amdhsa_float_denorm_mode_16_64 3
		.amdhsa_dx10_clamp 1
		.amdhsa_ieee_mode 1
		.amdhsa_fp16_overflow 0
		.amdhsa_tg_split 0
		.amdhsa_exception_fp_ieee_invalid_op 0
		.amdhsa_exception_fp_denorm_src 0
		.amdhsa_exception_fp_ieee_div_zero 0
		.amdhsa_exception_fp_ieee_overflow 0
		.amdhsa_exception_fp_ieee_underflow 0
		.amdhsa_exception_fp_ieee_inexact 0
		.amdhsa_exception_int_div_zero 0
	.end_amdhsa_kernel
	.section	.text._ZL33flash_attn_stream_k_fixup_uniformILi96ELi16ELi4EEvPfPK15HIP_vector_typeIfLj2EEiiiiiiS1_IjLj3EES5_S5_,"axG",@progbits,_ZL33flash_attn_stream_k_fixup_uniformILi96ELi16ELi4EEvPfPK15HIP_vector_typeIfLj2EEiiiiiiS1_IjLj3EES5_S5_,comdat
.Lfunc_end16:
	.size	_ZL33flash_attn_stream_k_fixup_uniformILi96ELi16ELi4EEvPfPK15HIP_vector_typeIfLj2EEiiiiiiS1_IjLj3EES5_S5_, .Lfunc_end16-_ZL33flash_attn_stream_k_fixup_uniformILi96ELi16ELi4EEvPfPK15HIP_vector_typeIfLj2EEiiiiiiS1_IjLj3EES5_S5_
                                        ; -- End function
	.set _ZL33flash_attn_stream_k_fixup_uniformILi96ELi16ELi4EEvPfPK15HIP_vector_typeIfLj2EEiiiiiiS1_IjLj3EES5_S5_.num_vgpr, 17
	.set _ZL33flash_attn_stream_k_fixup_uniformILi96ELi16ELi4EEvPfPK15HIP_vector_typeIfLj2EEiiiiiiS1_IjLj3EES5_S5_.num_agpr, 0
	.set _ZL33flash_attn_stream_k_fixup_uniformILi96ELi16ELi4EEvPfPK15HIP_vector_typeIfLj2EEiiiiiiS1_IjLj3EES5_S5_.numbered_sgpr, 20
	.set _ZL33flash_attn_stream_k_fixup_uniformILi96ELi16ELi4EEvPfPK15HIP_vector_typeIfLj2EEiiiiiiS1_IjLj3EES5_S5_.num_named_barrier, 0
	.set _ZL33flash_attn_stream_k_fixup_uniformILi96ELi16ELi4EEvPfPK15HIP_vector_typeIfLj2EEiiiiiiS1_IjLj3EES5_S5_.private_seg_size, 0
	.set _ZL33flash_attn_stream_k_fixup_uniformILi96ELi16ELi4EEvPfPK15HIP_vector_typeIfLj2EEiiiiiiS1_IjLj3EES5_S5_.uses_vcc, 1
	.set _ZL33flash_attn_stream_k_fixup_uniformILi96ELi16ELi4EEvPfPK15HIP_vector_typeIfLj2EEiiiiiiS1_IjLj3EES5_S5_.uses_flat_scratch, 0
	.set _ZL33flash_attn_stream_k_fixup_uniformILi96ELi16ELi4EEvPfPK15HIP_vector_typeIfLj2EEiiiiiiS1_IjLj3EES5_S5_.has_dyn_sized_stack, 0
	.set _ZL33flash_attn_stream_k_fixup_uniformILi96ELi16ELi4EEvPfPK15HIP_vector_typeIfLj2EEiiiiiiS1_IjLj3EES5_S5_.has_recursion, 0
	.set _ZL33flash_attn_stream_k_fixup_uniformILi96ELi16ELi4EEvPfPK15HIP_vector_typeIfLj2EEiiiiiiS1_IjLj3EES5_S5_.has_indirect_call, 0
	.section	.AMDGPU.csdata,"",@progbits
; Kernel info:
; codeLenInByte = 832
; TotalNumSgprs: 26
; NumVgprs: 17
; NumAgprs: 0
; TotalNumVgprs: 17
; ScratchSize: 0
; MemoryBound: 0
; FloatMode: 240
; IeeeMode: 1
; LDSByteSize: 0 bytes/workgroup (compile time only)
; SGPRBlocks: 3
; VGPRBlocks: 2
; NumSGPRsForWavesPerEU: 26
; NumVGPRsForWavesPerEU: 17
; AccumOffset: 20
; Occupancy: 8
; WaveLimiterHint : 0
; COMPUTE_PGM_RSRC2:SCRATCH_EN: 0
; COMPUTE_PGM_RSRC2:USER_SGPR: 2
; COMPUTE_PGM_RSRC2:TRAP_HANDLER: 0
; COMPUTE_PGM_RSRC2:TGID_X_EN: 1
; COMPUTE_PGM_RSRC2:TGID_Y_EN: 1
; COMPUTE_PGM_RSRC2:TGID_Z_EN: 1
; COMPUTE_PGM_RSRC2:TIDIG_COMP_CNT: 0
; COMPUTE_PGM_RSRC3_GFX90A:ACCUM_OFFSET: 4
; COMPUTE_PGM_RSRC3_GFX90A:TG_SPLIT: 0
	.section	.text._ZL33flash_attn_stream_k_fixup_generalILi96ELi16ELi4EEvPfPK15HIP_vector_typeIfLj2EEiiiiS1_IjLj3EES5_S5_S5_,"axG",@progbits,_ZL33flash_attn_stream_k_fixup_generalILi96ELi16ELi4EEvPfPK15HIP_vector_typeIfLj2EEiiiiS1_IjLj3EES5_S5_S5_,comdat
	.globl	_ZL33flash_attn_stream_k_fixup_generalILi96ELi16ELi4EEvPfPK15HIP_vector_typeIfLj2EEiiiiS1_IjLj3EES5_S5_S5_ ; -- Begin function _ZL33flash_attn_stream_k_fixup_generalILi96ELi16ELi4EEvPfPK15HIP_vector_typeIfLj2EEiiiiS1_IjLj3EES5_S5_S5_
	.p2align	8
	.type	_ZL33flash_attn_stream_k_fixup_generalILi96ELi16ELi4EEvPfPK15HIP_vector_typeIfLj2EEiiiiS1_IjLj3EES5_S5_S5_,@function
_ZL33flash_attn_stream_k_fixup_generalILi96ELi16ELi4EEvPfPK15HIP_vector_typeIfLj2EEiiiiS1_IjLj3EES5_S5_S5_: ; @_ZL33flash_attn_stream_k_fixup_generalILi96ELi16ELi4EEvPfPK15HIP_vector_typeIfLj2EEiiiiS1_IjLj3EES5_S5_S5_
; %bb.0:
	s_load_dwordx4 s[8:11], s[0:1], 0x10
	s_load_dword s22, s[0:1], 0x50
	s_mov_b32 s12, 0
	s_waitcnt lgkmcnt(0)
	s_mul_hi_i32 s13, s11, s2
	s_cmp_lg_u64 s[12:13], 0
	s_mul_i32 s5, s11, s2
	s_cbranch_scc0 .LBB17_20
; %bb.1:
	s_add_u32 s6, s22, 0
	s_addc_u32 s7, 0, 0
	s_xor_b64 s[6:7], s[6:7], 0
	v_cvt_f32_u32_e32 v1, s6
	v_cvt_f32_u32_e32 v2, s7
	s_sub_u32 s12, 0, s6
	s_subb_u32 s18, 0, s7
	v_fmamk_f32 v1, v2, 0x4f800000, v1
	v_rcp_f32_e32 v1, v1
	s_nop 0
	v_mul_f32_e32 v1, 0x5f7ffffc, v1
	v_mul_f32_e32 v2, 0x2f800000, v1
	v_trunc_f32_e32 v2, v2
	v_fmamk_f32 v1, v2, 0xcf800000, v1
	v_cvt_u32_f32_e32 v2, v2
	v_cvt_u32_f32_e32 v1, v1
	v_readfirstlane_b32 s19, v2
	v_readfirstlane_b32 s14, v1
	s_mul_i32 s15, s12, s19
	s_mul_hi_u32 s21, s12, s14
	s_mul_i32 s20, s18, s14
	s_add_i32 s15, s21, s15
	s_add_i32 s15, s15, s20
	s_mul_i32 s23, s12, s14
	s_mul_i32 s21, s14, s15
	s_mul_hi_u32 s24, s14, s23
	s_mul_hi_u32 s20, s14, s15
	s_add_u32 s21, s24, s21
	s_addc_u32 s20, 0, s20
	s_mul_hi_u32 s25, s19, s23
	s_mul_i32 s23, s19, s23
	s_add_u32 s21, s21, s23
	s_mul_hi_u32 s24, s19, s15
	s_addc_u32 s20, s20, s25
	s_addc_u32 s21, s24, 0
	s_mul_i32 s15, s19, s15
	s_add_u32 s15, s20, s15
	s_addc_u32 s20, 0, s21
	s_add_u32 s21, s14, s15
	s_cselect_b64 s[14:15], -1, 0
	s_cmp_lg_u64 s[14:15], 0
	s_addc_u32 s19, s19, s20
	s_mul_i32 s14, s12, s19
	s_mul_hi_u32 s15, s12, s21
	s_add_i32 s14, s15, s14
	s_mul_i32 s18, s18, s21
	s_add_i32 s14, s14, s18
	s_mul_i32 s12, s12, s21
	s_mul_hi_u32 s18, s19, s12
	s_mul_i32 s20, s19, s12
	s_mul_i32 s24, s21, s14
	s_mul_hi_u32 s12, s21, s12
	s_mul_hi_u32 s23, s21, s14
	s_add_u32 s12, s12, s24
	s_addc_u32 s23, 0, s23
	s_add_u32 s12, s12, s20
	s_mul_hi_u32 s15, s19, s14
	s_addc_u32 s12, s23, s18
	s_addc_u32 s15, s15, 0
	s_mul_i32 s14, s19, s14
	s_add_u32 s12, s12, s14
	s_addc_u32 s18, 0, s15
	s_add_u32 s20, s21, s12
	s_cselect_b64 s[14:15], -1, 0
	s_cmp_lg_u64 s[14:15], 0
	s_addc_u32 s18, s19, s18
	s_ashr_i32 s14, s13, 31
	s_add_u32 s12, s5, s14
	s_mov_b32 s15, s14
	s_addc_u32 s13, s13, s14
	s_xor_b64 s[12:13], s[12:13], s[14:15]
	s_mul_i32 s21, s12, s18
	s_mul_hi_u32 s23, s12, s20
	s_mul_hi_u32 s19, s12, s18
	s_add_u32 s21, s23, s21
	s_addc_u32 s19, 0, s19
	s_mul_hi_u32 s24, s13, s20
	s_mul_i32 s20, s13, s20
	s_add_u32 s20, s21, s20
	s_mul_hi_u32 s23, s13, s18
	s_addc_u32 s19, s19, s24
	s_addc_u32 s20, s23, 0
	s_mul_i32 s18, s13, s18
	s_add_u32 s23, s19, s18
	s_addc_u32 s24, 0, s20
	s_mul_i32 s18, s6, s24
	s_mul_hi_u32 s19, s6, s23
	s_add_i32 s18, s19, s18
	s_mul_i32 s19, s7, s23
	s_add_i32 s25, s18, s19
	s_sub_i32 s20, s13, s25
	s_mul_i32 s18, s6, s23
	s_sub_u32 s12, s12, s18
	s_cselect_b64 s[18:19], -1, 0
	s_cmp_lg_u64 s[18:19], 0
	s_subb_u32 s26, s20, s7
	s_sub_u32 s27, s12, s6
	s_cselect_b64 s[20:21], -1, 0
	s_cmp_lg_u64 s[20:21], 0
	s_subb_u32 s20, s26, 0
	s_cmp_ge_u32 s20, s7
	s_cselect_b32 s21, -1, 0
	s_cmp_ge_u32 s27, s6
	s_cselect_b32 s26, -1, 0
	s_cmp_eq_u32 s20, s7
	s_cselect_b32 s20, s26, s21
	s_add_u32 s21, s23, 1
	s_addc_u32 s26, s24, 0
	s_add_u32 s27, s23, 2
	s_addc_u32 s28, s24, 0
	s_cmp_lg_u32 s20, 0
	s_cselect_b32 s20, s27, s21
	s_cselect_b32 s21, s28, s26
	s_cmp_lg_u64 s[18:19], 0
	s_subb_u32 s13, s13, s25
	s_cmp_ge_u32 s13, s7
	s_cselect_b32 s18, -1, 0
	s_cmp_ge_u32 s12, s6
	s_cselect_b32 s6, -1, 0
	s_cmp_eq_u32 s13, s7
	s_cselect_b32 s6, s6, s18
	s_cmp_lg_u32 s6, 0
	s_cselect_b32 s7, s21, s24
	s_cselect_b32 s6, s20, s23
	s_xor_b64 s[12:13], s[14:15], 0
	s_xor_b64 s[6:7], s[6:7], s[12:13]
	s_sub_u32 s6, s6, s12
	s_load_dwordx4 s[12:15], s[0:1], 0x44
	s_cbranch_execnz .LBB17_3
.LBB17_2:
	v_cvt_f32_u32_e32 v1, s22
	s_sub_i32 s6, 0, s22
	v_rcp_iflag_f32_e32 v1, v1
	s_nop 0
	v_mul_f32_e32 v1, 0x4f7ffffe, v1
	v_cvt_u32_f32_e32 v1, v1
	s_nop 0
	v_readfirstlane_b32 s7, v1
	s_mul_i32 s6, s6, s7
	s_mul_hi_u32 s6, s7, s6
	s_add_i32 s7, s7, s6
	s_mul_hi_u32 s6, s5, s7
	s_waitcnt lgkmcnt(0)
	s_mul_i32 s15, s6, s22
	s_sub_i32 s5, s5, s15
	s_add_i32 s7, s6, 1
	s_sub_i32 s15, s5, s22
	s_cmp_ge_u32 s5, s22
	s_cselect_b32 s6, s7, s6
	s_cselect_b32 s5, s15, s5
	s_add_i32 s7, s6, 1
	s_cmp_ge_u32 s5, s22
	s_cselect_b32 s6, s7, s6
.LBB17_3:
	s_add_i32 s5, s2, 1
	s_mul_hi_i32 s21, s11, s5
	s_mov_b32 s20, 0
	s_cmp_lg_u64 s[20:21], 0
	s_mul_i32 s5, s11, s5
	s_cbranch_scc0 .LBB17_21
; %bb.4:
	s_add_u32 s16, s22, 0
	s_addc_u32 s17, 0, 0
	s_xor_b64 s[18:19], s[16:17], 0
	v_cvt_f32_u32_e32 v1, s18
	v_cvt_f32_u32_e32 v2, s19
	s_sub_u32 s7, 0, s18
	s_waitcnt lgkmcnt(0)
	s_subb_u32 s15, 0, s19
	v_fmamk_f32 v1, v2, 0x4f800000, v1
	v_rcp_f32_e32 v1, v1
	s_nop 0
	v_mul_f32_e32 v1, 0x5f7ffffc, v1
	v_mul_f32_e32 v2, 0x2f800000, v1
	v_trunc_f32_e32 v2, v2
	v_fmamk_f32 v1, v2, 0xcf800000, v1
	v_cvt_u32_f32_e32 v2, v2
	v_cvt_u32_f32_e32 v1, v1
	v_readfirstlane_b32 s20, v2
	v_readfirstlane_b32 s23, v1
	s_mul_i32 s24, s7, s20
	s_mul_hi_u32 s26, s7, s23
	s_mul_i32 s25, s15, s23
	s_add_i32 s24, s26, s24
	s_add_i32 s24, s24, s25
	s_mul_i32 s27, s7, s23
	s_mul_i32 s26, s23, s24
	s_mul_hi_u32 s28, s23, s27
	s_mul_hi_u32 s25, s23, s24
	s_add_u32 s26, s28, s26
	s_addc_u32 s25, 0, s25
	s_mul_hi_u32 s29, s20, s27
	s_mul_i32 s27, s20, s27
	s_add_u32 s26, s26, s27
	s_mul_hi_u32 s28, s20, s24
	s_addc_u32 s25, s25, s29
	s_addc_u32 s26, s28, 0
	s_mul_i32 s24, s20, s24
	s_add_u32 s24, s25, s24
	s_addc_u32 s26, 0, s26
	s_add_u32 s23, s23, s24
	s_cselect_b64 s[24:25], -1, 0
	s_cmp_lg_u64 s[24:25], 0
	s_addc_u32 s20, s20, s26
	s_mul_i32 s24, s7, s20
	s_mul_hi_u32 s25, s7, s23
	s_add_i32 s24, s25, s24
	s_mul_i32 s15, s15, s23
	s_add_i32 s24, s24, s15
	s_mul_i32 s7, s7, s23
	s_mul_hi_u32 s25, s20, s7
	s_mul_i32 s26, s20, s7
	s_mul_i32 s28, s23, s24
	s_mul_hi_u32 s7, s23, s7
	s_mul_hi_u32 s27, s23, s24
	s_add_u32 s7, s7, s28
	s_addc_u32 s27, 0, s27
	s_add_u32 s7, s7, s26
	s_mul_hi_u32 s15, s20, s24
	s_addc_u32 s7, s27, s25
	s_addc_u32 s15, s15, 0
	s_mul_i32 s24, s20, s24
	s_add_u32 s7, s7, s24
	s_addc_u32 s15, 0, s15
	s_add_u32 s7, s23, s7
	s_cselect_b64 s[24:25], -1, 0
	s_cmp_lg_u64 s[24:25], 0
	s_addc_u32 s15, s20, s15
	s_ashr_i32 s24, s21, 31
	s_add_u32 s20, s5, s24
	s_mov_b32 s25, s24
	s_addc_u32 s21, s21, s24
	s_xor_b64 s[20:21], s[20:21], s[24:25]
	s_mul_i32 s26, s20, s15
	s_mul_hi_u32 s27, s20, s7
	s_mul_hi_u32 s23, s20, s15
	s_add_u32 s26, s27, s26
	s_addc_u32 s23, 0, s23
	s_mul_hi_u32 s28, s21, s7
	s_mul_i32 s7, s21, s7
	s_add_u32 s7, s26, s7
	s_mul_hi_u32 s27, s21, s15
	s_addc_u32 s7, s23, s28
	s_addc_u32 s23, s27, 0
	s_mul_i32 s15, s21, s15
	s_add_u32 s7, s7, s15
	s_addc_u32 s15, 0, s23
	s_mul_i32 s23, s18, s15
	s_mul_hi_u32 s26, s18, s7
	s_add_i32 s23, s26, s23
	s_mul_i32 s26, s19, s7
	s_add_i32 s23, s23, s26
	s_sub_i32 s28, s21, s23
	s_mul_i32 s26, s18, s7
	s_sub_u32 s20, s20, s26
	s_cselect_b64 s[26:27], -1, 0
	s_cmp_lg_u64 s[26:27], 0
	s_subb_u32 s30, s28, s19
	s_sub_u32 s31, s20, s18
	s_cselect_b64 s[28:29], -1, 0
	s_cmp_lg_u64 s[28:29], 0
	s_subb_u32 s28, s30, 0
	s_cmp_ge_u32 s28, s19
	s_cselect_b32 s29, -1, 0
	s_cmp_ge_u32 s31, s18
	s_cselect_b32 s30, -1, 0
	s_cmp_eq_u32 s28, s19
	s_cselect_b32 s28, s30, s29
	s_add_u32 s29, s7, 1
	s_addc_u32 s30, s15, 0
	s_add_u32 s31, s7, 2
	s_addc_u32 s33, s15, 0
	s_cmp_lg_u32 s28, 0
	s_cselect_b32 s28, s31, s29
	s_cselect_b32 s29, s33, s30
	s_cmp_lg_u64 s[26:27], 0
	s_subb_u32 s21, s21, s23
	s_cmp_ge_u32 s21, s19
	s_cselect_b32 s23, -1, 0
	s_cmp_ge_u32 s20, s18
	s_cselect_b32 s18, -1, 0
	s_cmp_eq_u32 s21, s19
	s_cselect_b32 s18, s18, s23
	s_cmp_lg_u32 s18, 0
	s_cselect_b32 s19, s29, s15
	s_cselect_b32 s18, s28, s7
	s_xor_b64 s[20:21], s[24:25], 0
	s_xor_b64 s[18:19], s[18:19], s[20:21]
	s_sub_u32 s18, s18, s20
	s_cbranch_execnz .LBB17_6
.LBB17_5:
	v_cvt_f32_u32_e32 v1, s22
	s_sub_i32 s7, 0, s22
	v_rcp_iflag_f32_e32 v1, v1
	s_nop 0
	v_mul_f32_e32 v1, 0x4f7ffffe, v1
	v_cvt_u32_f32_e32 v1, v1
	s_waitcnt lgkmcnt(0)
	v_readfirstlane_b32 s15, v1
	s_mul_i32 s7, s7, s15
	s_mul_hi_u32 s7, s15, s7
	s_add_i32 s15, s15, s7
	s_mul_hi_u32 s7, s5, s15
	s_mul_i32 s16, s7, s22
	s_sub_i32 s5, s5, s16
	s_add_i32 s15, s7, 1
	s_sub_i32 s16, s5, s22
	s_cmp_ge_u32 s5, s22
	s_cselect_b32 s7, s15, s7
	s_cselect_b32 s5, s16, s5
	s_add_i32 s15, s7, 1
	s_cmp_ge_u32 s5, s22
	s_cselect_b32 s18, s15, s7
.LBB17_6:
	s_cmp_eq_u32 s6, s18
	s_waitcnt lgkmcnt(0)
	s_mul_hi_u32 s5, s6, s12
	s_cselect_b64 s[16:17], -1, 0
	s_add_i32 s5, s5, s6
	s_lshr_b32 s7, s5, s13
	s_mul_i32 s5, s7, s14
	s_cmp_eq_u32 s5, s6
	s_mul_hi_u32 s5, s18, s12
	s_cselect_b64 s[20:21], -1, 0
	s_add_i32 s5, s5, s18
	s_lshr_b32 s5, s5, s13
	s_cmp_eq_u32 s7, s5
	s_mul_i32 s5, s5, s14
	s_cselect_b64 s[24:25], -1, 0
	s_cmp_lg_u32 s5, s18
	s_cselect_b64 s[18:19], -1, 0
	s_and_b64 s[18:19], s[24:25], s[18:19]
	s_or_b64 s[16:17], s[16:17], s[20:21]
	s_or_b64 s[16:17], s[16:17], s[18:19]
	s_and_b64 vcc, exec, s[16:17]
	s_cbranch_vccnz .LBB17_23
; %bb.7:
	s_load_dwordx8 s[24:31], s[0:1], 0x20
	s_load_dword s5, s[0:1], 0x40
	s_waitcnt lgkmcnt(0)
	s_mul_hi_u32 s15, s6, s24
	s_add_i32 s15, s15, s6
	s_lshr_b32 s20, s15, s25
	s_mul_i32 s15, s20, s26
	s_sub_i32 s15, s6, s15
	s_mul_hi_u32 s16, s15, s27
	s_add_i32 s16, s15, s16
	s_lshr_b32 s21, s16, s28
	s_mul_i32 s16, s21, s29
	s_sub_i32 s15, s15, s16
	;; [unrolled: 5-line block ×3, first 2 shown]
	s_mul_hi_u32 s15, s5, s12
	s_add_i32 s5, s5, s15
	s_lshr_b32 s23, s5, s13
	s_lshl_b32 s5, s23, 4
	s_lshl_b32 s24, s16, 2
	s_add_i32 s5, s5, s3
	s_cmp_lt_i32 s5, s8
	s_cselect_b64 s[16:17], -1, 0
	s_add_i32 s24, s24, s4
	s_cmp_lt_i32 s24, s10
	s_cselect_b64 s[18:19], -1, 0
	s_and_b64 s[16:17], s[16:17], s[18:19]
	s_andn2_b64 vcc, exec, s[16:17]
	s_cbranch_vccnz .LBB17_23
; %bb.8:
	s_load_dwordx4 s[16:19], s[0:1], 0x0
	s_mov_b32 s0, 0
	s_lshl_b32 s15, s3, 2
	s_lshl_b32 s26, s22, 8
	s_mov_b32 s27, s0
	s_add_i32 s15, s15, s4
	s_lshl_b64 s[4:5], s[26:27], 2
	s_waitcnt lgkmcnt(0)
	s_add_u32 s4, s18, s4
	s_mul_i32 s1, s20, s8
	s_addc_u32 s5, s19, s5
	s_mul_i32 s21, s21, s10
	s_add_i32 s1, s1, s3
	s_mul_i32 s1, s1, s9
	s_add_i32 s3, s24, s21
	;; [unrolled: 2-line block ×3, first 2 shown]
	s_mulk_i32 s8, 0x600
	s_mulk_i32 s1, 0x60
	s_add_i32 s8, s8, s1
	v_add_u32_e32 v4, s8, v0
	v_mov_b32_e32 v2, s16
	v_mov_b32_e32 v3, s17
	v_ashrrev_i32_e32 v5, 31, v4
	v_lshl_add_u64 v[2:3], v[4:5], 2, v[2:3]
	global_load_dword v1, v[2:3], off
	v_cvt_f32_u32_e32 v4, s22
	s_lshl_b32 s1, s2, 6
	s_add_i32 s8, s15, s1
	s_ashr_i32 s9, s8, 31
	s_lshl_b64 s[8:9], s[8:9], 3
	v_rcp_iflag_f32_e32 v4, v4
	s_add_u32 s8, s18, s8
	s_addc_u32 s9, s19, s9
	s_load_dwordx2 s[8:9], s[8:9], 0x0
	v_mul_f32_e32 v4, 0x4f7ffffe, v4
	v_cvt_u32_f32_e32 v7, v4
	s_mul_i32 s1, s15, 0x60
	s_add_i32 s21, s2, -1
	v_add_u32_e32 v6, s1, v0
	s_waitcnt lgkmcnt(0)
	v_mov_b32_e32 v0, s9
	v_mov_b32_e32 v9, s8
	s_mov_b32 s10, 0x3fb8aa3b
	s_mov_b32 s20, 0xc2ce8ed0
	;; [unrolled: 1-line block ×4, first 2 shown]
	v_mov_b32_e32 v8, 0x7f800000
	s_mul_hi_i32 s1, s21, s11
	s_cmp_lg_u64 s[0:1], 0
	s_mul_i32 s16, s21, s11
	s_cbranch_scc0 .LBB17_19
.LBB17_9:
	s_add_u32 s2, s22, 0
	s_addc_u32 s3, 0, 0
	s_xor_b64 s[2:3], s[2:3], 0
	v_cvt_f32_u32_e32 v4, s2
	v_cvt_f32_u32_e32 v5, s3
	s_sub_u32 s17, 0, s2
	s_subb_u32 s25, 0, s3
	v_fmac_f32_e32 v4, 0x4f800000, v5
	v_rcp_f32_e32 v4, v4
	s_nop 0
	v_mul_f32_e32 v4, 0x5f7ffffc, v4
	v_mul_f32_e32 v5, 0x2f800000, v4
	v_trunc_f32_e32 v5, v5
	v_fmac_f32_e32 v4, 0xcf800000, v5
	v_cvt_u32_f32_e32 v5, v5
	v_cvt_u32_f32_e32 v4, v4
	v_readfirstlane_b32 s26, v5
	v_readfirstlane_b32 s8, v4
	s_mul_i32 s9, s17, s26
	s_mul_hi_u32 s28, s17, s8
	s_mul_i32 s27, s25, s8
	s_add_i32 s9, s28, s9
	s_mul_i32 s29, s17, s8
	s_add_i32 s9, s9, s27
	s_mul_i32 s28, s8, s9
	s_mul_hi_u32 s30, s8, s29
	s_mul_hi_u32 s27, s8, s9
	s_add_u32 s28, s30, s28
	s_addc_u32 s27, 0, s27
	s_mul_hi_u32 s31, s26, s29
	s_mul_i32 s29, s26, s29
	s_add_u32 s28, s28, s29
	s_mul_hi_u32 s30, s26, s9
	s_addc_u32 s27, s27, s31
	s_addc_u32 s28, s30, 0
	s_mul_i32 s9, s26, s9
	s_add_u32 s9, s27, s9
	s_addc_u32 s27, 0, s28
	s_add_u32 s28, s8, s9
	s_cselect_b64 s[8:9], -1, 0
	s_cmp_lg_u64 s[8:9], 0
	s_addc_u32 s26, s26, s27
	s_mul_i32 s8, s17, s26
	s_mul_hi_u32 s9, s17, s28
	s_add_i32 s8, s9, s8
	s_mul_i32 s25, s25, s28
	s_add_i32 s8, s8, s25
	s_mul_i32 s17, s17, s28
	s_mul_hi_u32 s25, s26, s17
	s_mul_i32 s27, s26, s17
	s_mul_i32 s30, s28, s8
	s_mul_hi_u32 s17, s28, s17
	s_mul_hi_u32 s29, s28, s8
	s_add_u32 s17, s17, s30
	s_addc_u32 s29, 0, s29
	s_add_u32 s17, s17, s27
	s_mul_hi_u32 s9, s26, s8
	s_addc_u32 s17, s29, s25
	s_addc_u32 s9, s9, 0
	s_mul_i32 s8, s26, s8
	s_add_u32 s8, s17, s8
	s_addc_u32 s17, 0, s9
	s_add_u32 s25, s28, s8
	s_cselect_b64 s[8:9], -1, 0
	s_cmp_lg_u64 s[8:9], 0
	s_addc_u32 s17, s26, s17
	s_ashr_i32 s8, s1, 31
	s_add_u32 s26, s16, s8
	s_mov_b32 s9, s8
	s_addc_u32 s27, s1, s8
	s_xor_b64 s[26:27], s[26:27], s[8:9]
	s_mul_i32 s28, s26, s17
	s_mul_hi_u32 s29, s26, s25
	s_mul_hi_u32 s1, s26, s17
	s_add_u32 s28, s29, s28
	s_addc_u32 s1, 0, s1
	s_mul_hi_u32 s30, s27, s25
	s_mul_i32 s25, s27, s25
	s_add_u32 s25, s28, s25
	s_mul_hi_u32 s29, s27, s17
	s_addc_u32 s1, s1, s30
	s_addc_u32 s25, s29, 0
	s_mul_i32 s17, s27, s17
	s_add_u32 s1, s1, s17
	s_addc_u32 s17, 0, s25
	s_mul_i32 s25, s2, s17
	s_mul_hi_u32 s28, s2, s1
	s_add_i32 s25, s28, s25
	s_mul_i32 s28, s3, s1
	s_add_i32 s25, s25, s28
	s_sub_i32 s30, s27, s25
	s_mul_i32 s28, s2, s1
	s_sub_u32 s26, s26, s28
	s_cselect_b64 s[28:29], -1, 0
	s_cmp_lg_u64 s[28:29], 0
	s_subb_u32 s33, s30, s3
	s_sub_u32 s34, s26, s2
	s_cselect_b64 s[30:31], -1, 0
	s_cmp_lg_u64 s[30:31], 0
	s_subb_u32 s30, s33, 0
	s_cmp_ge_u32 s30, s3
	s_cselect_b32 s31, -1, 0
	s_cmp_ge_u32 s34, s2
	s_cselect_b32 s33, -1, 0
	s_cmp_eq_u32 s30, s3
	s_cselect_b32 s30, s33, s31
	s_add_u32 s31, s1, 1
	s_addc_u32 s33, s17, 0
	s_add_u32 s34, s1, 2
	s_addc_u32 s35, s17, 0
	s_cmp_lg_u32 s30, 0
	s_cselect_b32 s30, s34, s31
	s_cselect_b32 s31, s35, s33
	s_cmp_lg_u64 s[28:29], 0
	s_subb_u32 s25, s27, s25
	s_cmp_ge_u32 s25, s3
	s_cselect_b32 s27, -1, 0
	s_cmp_ge_u32 s26, s2
	s_cselect_b32 s2, -1, 0
	s_cmp_eq_u32 s25, s3
	s_cselect_b32 s2, s2, s27
	s_cmp_lg_u32 s2, 0
	s_cselect_b32 s3, s31, s17
	s_cselect_b32 s2, s30, s1
	s_xor_b64 s[8:9], s[8:9], 0
	s_xor_b64 s[2:3], s[2:3], s[8:9]
	s_sub_u32 s8, s2, s8
	s_cbranch_execnz .LBB17_11
.LBB17_10:
	s_sub_i32 s1, 0, s22
	v_readfirstlane_b32 s2, v7
	s_mul_i32 s1, s1, s2
	s_mul_hi_u32 s1, s2, s1
	s_add_i32 s2, s2, s1
	s_mul_hi_u32 s1, s16, s2
	s_mul_i32 s3, s1, s22
	s_sub_i32 s3, s16, s3
	s_add_i32 s2, s1, 1
	s_sub_i32 s8, s3, s22
	s_cmp_ge_u32 s3, s22
	s_cselect_b32 s1, s2, s1
	s_cselect_b32 s3, s8, s3
	s_add_i32 s2, s1, 1
	s_cmp_ge_u32 s3, s22
	s_cselect_b32 s8, s2, s1
.LBB17_11:
	s_cmp_lg_u32 s6, s8
	s_cbranch_scc0 .LBB17_15
; %bb.12:
	s_add_i32 s1, s21, s22
	s_lshl_b32 s1, s1, 6
	s_add_i32 s2, s1, s15
	s_mov_b32 s3, s0
	s_lshl_b64 s[2:3], s[2:3], 3
	s_add_u32 s16, s18, s2
	s_mul_hi_u32 s1, s8, s12
	s_addc_u32 s17, s19, s3
	s_add_i32 s1, s1, s8
	s_lshr_b32 s1, s1, s13
	s_mul_i32 s2, s1, s14
	s_cmp_eq_u32 s2, s8
	s_cselect_b64 s[2:3], -1, 0
	s_cmp_lt_u32 s1, s7
	s_cselect_b64 s[26:27], -1, 0
	s_or_b64 s[26:27], s[26:27], s[2:3]
	s_mov_b64 s[2:3], -1
	s_and_b64 vcc, exec, s[26:27]
	s_mov_b32 s1, s21
	s_mov_b32 s25, s6
	s_cbranch_vccnz .LBB17_14
; %bb.13:
	s_add_i32 s1, s21, -1
	s_mov_b64 s[2:3], 0
	s_mov_b32 s25, s8
.LBB17_14:
	s_mul_i32 s8, s21, 0x1800
	v_add_u32_e32 v4, s8, v6
	v_ashrrev_i32_e32 v5, 31, v4
	v_lshl_add_u64 v[4:5], v[4:5], 2, s[4:5]
	global_load_dword v5, v[4:5], off
	s_load_dwordx2 s[8:9], s[16:17], 0x0
	v_max_f32_e32 v4, v9, v9
	s_waitcnt lgkmcnt(0)
	v_max_f32_e64 v10, s8, s8
	v_max_f32_e32 v10, v4, v10
	v_sub_f32_e32 v11, v9, v10
	v_sub_f32_e32 v13, s8, v10
	v_mul_f32_e32 v4, 0x3fb8aa3b, v11
	v_mul_f32_e32 v12, 0x3fb8aa3b, v13
	v_fma_f32 v14, v11, s10, -v4
	v_rndne_f32_e32 v15, v4
	v_fma_f32 v16, v13, s10, -v12
	v_rndne_f32_e32 v17, v12
	v_fmac_f32_e32 v14, 0x32a5705f, v11
	v_sub_f32_e32 v4, v4, v15
	v_fmac_f32_e32 v16, 0x32a5705f, v13
	v_sub_f32_e32 v12, v12, v17
	v_add_f32_e32 v4, v4, v14
	v_cvt_i32_f32_e32 v15, v15
	v_add_f32_e32 v12, v12, v16
	v_exp_f32_e32 v14, v4
	v_cvt_i32_f32_e32 v17, v17
	v_exp_f32_e32 v12, v12
	v_cmp_ngt_f32_e32 vcc, s20, v11
	v_ldexp_f32 v14, v14, v15
	v_mov_b32_e32 v4, s9
	v_ldexp_f32 v12, v12, v17
	v_cndmask_b32_e32 v14, 0, v14, vcc
	v_cmp_ngt_f32_e32 vcc, s20, v13
	s_nop 1
	v_cndmask_b32_e32 v12, 0, v12, vcc
	v_cmp_nlt_f32_e32 vcc, s23, v11
	s_nop 1
	v_cndmask_b32_e32 v14, v8, v14, vcc
	v_cmp_nlt_f32_e32 vcc, s23, v13
	s_nop 1
	v_cndmask_b32_e32 v15, v8, v12, vcc
	v_cmp_le_f32_e32 vcc, s24, v11
	s_nop 1
	v_cndmask_b32_e32 v12, 0, v14, vcc
	v_cmp_le_f32_e32 vcc, s24, v13
	s_nop 1
	v_cndmask_b32_e32 v14, 0, v15, vcc
	s_waitcnt vmcnt(0)
	v_pk_mul_f32 v[4:5], v[4:5], v[14:15] op_sel_hi:[1,0]
	s_nop 0
	v_pk_fma_f32 v[4:5], v[0:1], v[12:13], v[4:5] op_sel_hi:[1,0,1]
	s_cbranch_execz .LBB17_16
	s_branch .LBB17_17
.LBB17_15:
                                        ; implicit-def: $vgpr4_vgpr5
                                        ; implicit-def: $sgpr2_sgpr3
                                        ; implicit-def: $vgpr10
                                        ; implicit-def: $sgpr1
                                        ; implicit-def: $sgpr25
.LBB17_16:
	s_add_i32 s1, s21, -1
	s_mov_b64 s[2:3], 0
	s_mov_b32 s25, s6
	v_mov_b32_e32 v10, v9
	s_waitcnt vmcnt(0)
	v_mov_b64_e32 v[4:5], v[0:1]
.LBB17_17:
	s_andn2_b64 vcc, exec, s[2:3]
	s_cbranch_vccz .LBB17_22
; %bb.18:
	s_mov_b32 s6, s25
	s_mov_b32 s21, s1
	v_mov_b32_e32 v9, v10
	s_waitcnt vmcnt(0)
	v_mov_b64_e32 v[0:1], v[4:5]
	s_mul_hi_i32 s1, s21, s11
	s_cmp_lg_u64 s[0:1], 0
	s_mul_i32 s16, s21, s11
	s_cbranch_scc1 .LBB17_9
.LBB17_19:
                                        ; implicit-def: $sgpr8_sgpr9
	s_branch .LBB17_10
.LBB17_20:
                                        ; implicit-def: $sgpr6_sgpr7
	s_load_dwordx4 s[12:15], s[0:1], 0x44
	s_branch .LBB17_2
.LBB17_21:
                                        ; implicit-def: $sgpr18_sgpr19
	s_branch .LBB17_5
.LBB17_22:
	v_div_scale_f32 v0, s[0:1], v4, v4, v5
	s_waitcnt vmcnt(0)
	v_rcp_f32_e32 v1, v0
	v_div_scale_f32 v6, vcc, v5, v4, v5
	v_fma_f32 v7, -v0, v1, 1.0
	v_fmac_f32_e32 v1, v7, v1
	v_mul_f32_e32 v7, v6, v1
	v_fma_f32 v8, -v0, v7, v6
	v_fmac_f32_e32 v7, v8, v1
	v_fma_f32 v0, -v0, v7, v6
	v_div_fmas_f32 v0, v0, v1, v7
	v_div_fixup_f32 v0, v0, v4, v5
	global_store_dword v[2:3], v0, off
.LBB17_23:
	s_endpgm
	.section	.rodata,"a",@progbits
	.p2align	6, 0x0
	.amdhsa_kernel _ZL33flash_attn_stream_k_fixup_generalILi96ELi16ELi4EEvPfPK15HIP_vector_typeIfLj2EEiiiiS1_IjLj3EES5_S5_S5_
		.amdhsa_group_segment_fixed_size 0
		.amdhsa_private_segment_fixed_size 0
		.amdhsa_kernarg_size 336
		.amdhsa_user_sgpr_count 2
		.amdhsa_user_sgpr_dispatch_ptr 0
		.amdhsa_user_sgpr_queue_ptr 0
		.amdhsa_user_sgpr_kernarg_segment_ptr 1
		.amdhsa_user_sgpr_dispatch_id 0
		.amdhsa_user_sgpr_kernarg_preload_length 0
		.amdhsa_user_sgpr_kernarg_preload_offset 0
		.amdhsa_user_sgpr_private_segment_size 0
		.amdhsa_uses_dynamic_stack 0
		.amdhsa_enable_private_segment 0
		.amdhsa_system_sgpr_workgroup_id_x 1
		.amdhsa_system_sgpr_workgroup_id_y 1
		.amdhsa_system_sgpr_workgroup_id_z 1
		.amdhsa_system_sgpr_workgroup_info 0
		.amdhsa_system_vgpr_workitem_id 0
		.amdhsa_next_free_vgpr 18
		.amdhsa_next_free_sgpr 36
		.amdhsa_accum_offset 20
		.amdhsa_reserve_vcc 1
		.amdhsa_float_round_mode_32 0
		.amdhsa_float_round_mode_16_64 0
		.amdhsa_float_denorm_mode_32 3
		.amdhsa_float_denorm_mode_16_64 3
		.amdhsa_dx10_clamp 1
		.amdhsa_ieee_mode 1
		.amdhsa_fp16_overflow 0
		.amdhsa_tg_split 0
		.amdhsa_exception_fp_ieee_invalid_op 0
		.amdhsa_exception_fp_denorm_src 0
		.amdhsa_exception_fp_ieee_div_zero 0
		.amdhsa_exception_fp_ieee_overflow 0
		.amdhsa_exception_fp_ieee_underflow 0
		.amdhsa_exception_fp_ieee_inexact 0
		.amdhsa_exception_int_div_zero 0
	.end_amdhsa_kernel
	.section	.text._ZL33flash_attn_stream_k_fixup_generalILi96ELi16ELi4EEvPfPK15HIP_vector_typeIfLj2EEiiiiS1_IjLj3EES5_S5_S5_,"axG",@progbits,_ZL33flash_attn_stream_k_fixup_generalILi96ELi16ELi4EEvPfPK15HIP_vector_typeIfLj2EEiiiiS1_IjLj3EES5_S5_S5_,comdat
.Lfunc_end17:
	.size	_ZL33flash_attn_stream_k_fixup_generalILi96ELi16ELi4EEvPfPK15HIP_vector_typeIfLj2EEiiiiS1_IjLj3EES5_S5_S5_, .Lfunc_end17-_ZL33flash_attn_stream_k_fixup_generalILi96ELi16ELi4EEvPfPK15HIP_vector_typeIfLj2EEiiiiS1_IjLj3EES5_S5_S5_
                                        ; -- End function
	.set _ZL33flash_attn_stream_k_fixup_generalILi96ELi16ELi4EEvPfPK15HIP_vector_typeIfLj2EEiiiiS1_IjLj3EES5_S5_S5_.num_vgpr, 18
	.set _ZL33flash_attn_stream_k_fixup_generalILi96ELi16ELi4EEvPfPK15HIP_vector_typeIfLj2EEiiiiS1_IjLj3EES5_S5_S5_.num_agpr, 0
	.set _ZL33flash_attn_stream_k_fixup_generalILi96ELi16ELi4EEvPfPK15HIP_vector_typeIfLj2EEiiiiS1_IjLj3EES5_S5_S5_.numbered_sgpr, 36
	.set _ZL33flash_attn_stream_k_fixup_generalILi96ELi16ELi4EEvPfPK15HIP_vector_typeIfLj2EEiiiiS1_IjLj3EES5_S5_S5_.num_named_barrier, 0
	.set _ZL33flash_attn_stream_k_fixup_generalILi96ELi16ELi4EEvPfPK15HIP_vector_typeIfLj2EEiiiiS1_IjLj3EES5_S5_S5_.private_seg_size, 0
	.set _ZL33flash_attn_stream_k_fixup_generalILi96ELi16ELi4EEvPfPK15HIP_vector_typeIfLj2EEiiiiS1_IjLj3EES5_S5_S5_.uses_vcc, 1
	.set _ZL33flash_attn_stream_k_fixup_generalILi96ELi16ELi4EEvPfPK15HIP_vector_typeIfLj2EEiiiiS1_IjLj3EES5_S5_S5_.uses_flat_scratch, 0
	.set _ZL33flash_attn_stream_k_fixup_generalILi96ELi16ELi4EEvPfPK15HIP_vector_typeIfLj2EEiiiiS1_IjLj3EES5_S5_S5_.has_dyn_sized_stack, 0
	.set _ZL33flash_attn_stream_k_fixup_generalILi96ELi16ELi4EEvPfPK15HIP_vector_typeIfLj2EEiiiiS1_IjLj3EES5_S5_S5_.has_recursion, 0
	.set _ZL33flash_attn_stream_k_fixup_generalILi96ELi16ELi4EEvPfPK15HIP_vector_typeIfLj2EEiiiiS1_IjLj3EES5_S5_S5_.has_indirect_call, 0
	.section	.AMDGPU.csdata,"",@progbits
; Kernel info:
; codeLenInByte = 2944
; TotalNumSgprs: 42
; NumVgprs: 18
; NumAgprs: 0
; TotalNumVgprs: 18
; ScratchSize: 0
; MemoryBound: 0
; FloatMode: 240
; IeeeMode: 1
; LDSByteSize: 0 bytes/workgroup (compile time only)
; SGPRBlocks: 5
; VGPRBlocks: 2
; NumSGPRsForWavesPerEU: 42
; NumVGPRsForWavesPerEU: 18
; AccumOffset: 20
; Occupancy: 8
; WaveLimiterHint : 0
; COMPUTE_PGM_RSRC2:SCRATCH_EN: 0
; COMPUTE_PGM_RSRC2:USER_SGPR: 2
; COMPUTE_PGM_RSRC2:TRAP_HANDLER: 0
; COMPUTE_PGM_RSRC2:TGID_X_EN: 1
; COMPUTE_PGM_RSRC2:TGID_Y_EN: 1
; COMPUTE_PGM_RSRC2:TGID_Z_EN: 1
; COMPUTE_PGM_RSRC2:TIDIG_COMP_CNT: 0
; COMPUTE_PGM_RSRC3_GFX90A:ACCUM_OFFSET: 4
; COMPUTE_PGM_RSRC3_GFX90A:TG_SPLIT: 0
	.section	.text._ZL26flash_attn_combine_resultsILi96EEvPKfPK15HIP_vector_typeIfLj2EEPfi,"axG",@progbits,_ZL26flash_attn_combine_resultsILi96EEvPKfPK15HIP_vector_typeIfLj2EEPfi,comdat
	.globl	_ZL26flash_attn_combine_resultsILi96EEvPKfPK15HIP_vector_typeIfLj2EEPfi ; -- Begin function _ZL26flash_attn_combine_resultsILi96EEvPKfPK15HIP_vector_typeIfLj2EEPfi
	.p2align	8
	.type	_ZL26flash_attn_combine_resultsILi96EEvPKfPK15HIP_vector_typeIfLj2EEPfi,@function
_ZL26flash_attn_combine_resultsILi96EEvPKfPK15HIP_vector_typeIfLj2EEPfi: ; @_ZL26flash_attn_combine_resultsILi96EEvPKfPK15HIP_vector_typeIfLj2EEPfi
; %bb.0:
	s_load_dwordx2 s[6:7], s[0:1], 0x20
	s_load_dword s25, s[0:1], 0x18
	s_load_dwordx4 s[16:19], s[0:1], 0x0
	s_load_dwordx2 s[14:15], s[0:1], 0x10
	s_waitcnt lgkmcnt(0)
	s_mul_i32 s0, s6, s4
	s_add_i32 s0, s0, s2
	s_mul_i32 s24, s0, s7
	s_add_i32 s24, s24, s3
	s_lshl_b32 s12, s25, 1
	s_mul_i32 s2, s24, s25
	v_cmp_gt_i32_e32 vcc, s12, v0
	s_and_saveexec_b64 s[0:1], vcc
	s_cbranch_execz .LBB18_13
; %bb.1:
	v_xad_u32 v1, v0, -1, s12
	s_movk_i32 s4, 0x5f
	s_ashr_i32 s3, s2, 31
	v_cmp_lt_u32_e32 vcc, s4, v1
	s_mov_b64 s[6:7], -1
	v_mov_b32_e32 v2, v0
	s_and_saveexec_b64 s[4:5], vcc
	s_cbranch_execz .LBB18_10
; %bb.2:
	s_mov_b32 s6, 0xaaaaaaab
	v_mul_hi_u32 v1, v1, s6
	v_lshrrev_b32_e32 v6, 6, v1
	s_lshl_b64 s[6:7], s[2:3], 3
	v_add_u32_e32 v2, -1, v6
	s_add_u32 s6, s18, s6
	v_add_u32_e32 v1, 0x60, v0
	v_lshrrev_b32_e32 v3, 1, v2
	s_addc_u32 s7, s19, s7
	v_add_u32_e32 v7, 1, v3
	v_cmp_lt_u32_e32 vcc, 13, v2
	v_mov_b32_e32 v4, 0
	v_mov_b64_e32 v[2:3], v[0:1]
	s_and_saveexec_b64 s[8:9], vcc
	s_cbranch_execz .LBB18_6
; %bb.3:
	v_and_b32_e32 v8, -8, v7
	s_mov_b32 s13, 0
	v_lshl_add_u32 v9, v0, 2, 0
	s_mov_b64 s[10:11], 0
	v_mov_b32_e32 v5, 0
	v_mov_b64_e32 v[2:3], v[0:1]
.LBB18_4:                               ; =>This Inner Loop Header: Depth=1
	v_mov_b32_e32 v4, v2
	v_lshl_add_u64 v[24:25], v[4:5], 2, s[6:7]
	v_mov_b32_e32 v4, v3
	v_add_u32_e32 v10, 0xc0, v3
	v_mov_b32_e32 v11, v5
	v_lshl_add_u64 v[26:27], v[4:5], 2, s[6:7]
	v_add_u32_e32 v4, 0xc0, v2
	v_lshl_add_u64 v[10:11], v[10:11], 2, s[6:7]
	global_load_dword v1, v[24:25], off
	v_lshl_add_u64 v[24:25], v[4:5], 2, s[6:7]
	v_add_u32_e32 v4, 0x180, v2
	global_load_dword v28, v[26:27], off
	global_load_dword v29, v[24:25], off
	;; [unrolled: 1-line block ×3, first 2 shown]
	v_lshl_add_u64 v[10:11], v[4:5], 2, s[6:7]
	v_add_u32_e32 v4, 0x240, v2
	v_add_u32_e32 v12, 0x180, v3
	v_mov_b32_e32 v13, v5
	v_add_u32_e32 v14, 0x240, v3
	v_mov_b32_e32 v15, v5
	v_lshl_add_u64 v[24:25], v[4:5], 2, s[6:7]
	v_add_u32_e32 v4, 0x300, v2
	v_lshl_add_u64 v[12:13], v[12:13], 2, s[6:7]
	v_lshl_add_u64 v[14:15], v[14:15], 2, s[6:7]
	global_load_dword v26, v[10:11], off
	global_load_dword v27, v[12:13], off
	;; [unrolled: 1-line block ×4, first 2 shown]
	v_lshl_add_u64 v[10:11], v[4:5], 2, s[6:7]
	v_add_u32_e32 v4, 0x3c0, v2
	v_add_u32_e32 v16, 0x300, v3
	v_mov_b32_e32 v17, v5
	v_add_u32_e32 v18, 0x3c0, v3
	v_mov_b32_e32 v19, v5
	v_lshl_add_u64 v[12:13], v[4:5], 2, s[6:7]
	v_add_u32_e32 v4, 0x480, v2
	v_add_u32_e32 v20, 0x480, v3
	v_mov_b32_e32 v21, v5
	v_add_u32_e32 v22, 0x540, v3
	v_mov_b32_e32 v23, v5
	v_lshl_add_u64 v[16:17], v[16:17], 2, s[6:7]
	v_lshl_add_u64 v[18:19], v[18:19], 2, s[6:7]
	global_load_dword v14, v[10:11], off
	global_load_dword v15, v[16:17], off
	;; [unrolled: 1-line block ×4, first 2 shown]
	v_lshl_add_u64 v[10:11], v[4:5], 2, s[6:7]
	v_add_u32_e32 v4, 0x540, v2
	v_lshl_add_u64 v[20:21], v[20:21], 2, s[6:7]
	v_lshl_add_u64 v[22:23], v[22:23], 2, s[6:7]
	;; [unrolled: 1-line block ×3, first 2 shown]
	global_load_dword v16, v[10:11], off
	global_load_dword v17, v[20:21], off
	;; [unrolled: 1-line block ×4, first 2 shown]
	v_add_u32_e32 v8, -8, v8
	s_add_i32 s13, s13, 16
	v_cmp_eq_u32_e32 vcc, 0, v8
	v_add_u32_e32 v10, 0x200, v9
	v_add_u32_e32 v11, 0x400, v9
	;; [unrolled: 1-line block ×8, first 2 shown]
	v_mov_b32_e32 v4, s13
	s_or_b64 s[10:11], vcc, s[10:11]
	v_add_u32_e32 v2, 0x600, v2
	s_waitcnt vmcnt(14)
	ds_write2_b32 v9, v1, v28 offset1:96
	v_add_u32_e32 v9, 0x1800, v9
	s_waitcnt vmcnt(12)
	ds_write2_b32 v10, v29, v30 offset0:64 offset1:160
	s_waitcnt vmcnt(10)
	ds_write2_b32 v11, v26, v27 offset0:128 offset1:224
	;; [unrolled: 2-line block ×3, first 2 shown]
	s_waitcnt vmcnt(6)
	ds_write2_b32 v13, v14, v15 offset1:96
	s_waitcnt vmcnt(4)
	ds_write2_b32 v20, v24, v25 offset0:64 offset1:160
	s_waitcnt vmcnt(2)
	ds_write2_b32 v21, v16, v17 offset0:128 offset1:224
	;; [unrolled: 2-line block ×3, first 2 shown]
	s_andn2_b64 exec, exec, s[10:11]
	s_cbranch_execnz .LBB18_4
; %bb.5:
	s_or_b64 exec, exec, s[10:11]
.LBB18_6:
	s_or_b64 exec, exec, s[8:9]
	v_and_b32_e32 v1, 7, v7
	v_cmp_ne_u32_e32 vcc, 0, v1
	s_and_saveexec_b64 s[8:9], vcc
	s_cbranch_execz .LBB18_9
; %bb.7:
	s_movk_i32 s10, 0x180
	v_mul_lo_u32 v4, v4, s10
	v_lshlrev_b32_e32 v5, 2, v0
	v_add3_u32 v7, v4, v5, 0
	s_mov_b64 s[10:11], 0
	v_mov_b32_e32 v5, 0
.LBB18_8:                               ; =>This Inner Loop Header: Depth=1
	v_mov_b32_e32 v4, v2
	v_lshl_add_u64 v[8:9], v[4:5], 2, s[6:7]
	v_mov_b32_e32 v4, v3
	v_lshl_add_u64 v[10:11], v[4:5], 2, s[6:7]
	global_load_dword v4, v[8:9], off
	global_load_dword v12, v[10:11], off
	v_add_u32_e32 v1, -1, v1
	v_cmp_eq_u32_e32 vcc, 0, v1
	v_add_u32_e32 v2, 0xc0, v2
	v_add_u32_e32 v3, 0xc0, v3
	s_or_b64 s[10:11], vcc, s[10:11]
	s_waitcnt vmcnt(0)
	ds_write2_b32 v7, v4, v12 offset1:96
	v_add_u32_e32 v7, 0x300, v7
	s_andn2_b64 exec, exec, s[10:11]
	s_cbranch_execnz .LBB18_8
.LBB18_9:
	s_or_b64 exec, exec, s[8:9]
	v_add_u32_e32 v1, 1, v6
	v_and_b32_e32 v4, 0x7fffffe, v1
	s_movk_i32 s6, 0x60
	v_mad_u64_u32 v[2:3], s[6:7], v4, s6, v[0:1]
	v_cmp_ne_u32_e32 vcc, v1, v4
	s_orn2_b64 s[6:7], vcc, exec
.LBB18_10:
	s_or_b64 exec, exec, s[4:5]
	s_and_b64 exec, exec, s[6:7]
	s_cbranch_execz .LBB18_13
; %bb.11:
	s_lshl_b64 s[4:5], s[2:3], 3
	s_add_u32 s4, s18, s4
	v_mov_b32_e32 v3, 0
	s_addc_u32 s5, s19, s5
	v_lshl_add_u64 v[4:5], v[2:3], 2, s[4:5]
	v_lshl_add_u32 v1, v2, 2, 0
	s_mov_b64 s[4:5], 0
	s_mov_b64 s[6:7], 0x180
.LBB18_12:                              ; =>This Inner Loop Header: Depth=1
	global_load_dword v3, v[4:5], off
	v_add_u32_e32 v2, 0x60, v2
	v_cmp_le_i32_e32 vcc, s12, v2
	v_lshl_add_u64 v[4:5], v[4:5], 0, s[6:7]
	s_or_b64 s[4:5], vcc, s[4:5]
	s_waitcnt vmcnt(0)
	ds_write_b32 v1, v3
	v_add_u32_e32 v1, 0x180, v1
	s_andn2_b64 exec, exec, s[4:5]
	s_cbranch_execnz .LBB18_12
.LBB18_13:
	s_or_b64 exec, exec, s[0:1]
	v_mov_b32_e32 v1, 0
	s_waitcnt lgkmcnt(0)
	s_barrier
	ds_read_b32 v1, v1
	s_cmp_lt_i32 s25, 2
	s_cbranch_scc1 .LBB18_21
; %bb.14:
	s_cmp_eq_u32 s25, 2
	s_cbranch_scc1 .LBB18_18
; %bb.15:
	s_add_i32 s3, s25, -1
	s_and_b32 s4, s3, -2
	s_add_i32 s6, 0, 8
	s_mov_b32 s5, 2
	s_waitcnt lgkmcnt(0)
	v_mov_b32_e32 v4, v1
.LBB18_16:                              ; =>This Inner Loop Header: Depth=1
	v_mov_b32_e32 v2, v1
	v_mov_b32_e32 v1, s6
	;; [unrolled: 1-line block ×3, first 2 shown]
	ds_read2_b32 v[4:5], v1 offset1:2
	s_cmp_lg_u32 s4, s5
	s_cselect_b64 s[8:9], -1, 0
	v_max_f32_e32 v1, v3, v3
	v_max_f32_e32 v6, v2, v2
	s_waitcnt lgkmcnt(0)
	v_cmp_u_f32_e32 vcc, v5, v5
	v_max_f32_e32 v7, v5, v5
	v_max_f32_e32 v8, v4, v4
	v_cndmask_b32_e64 v5, 0, 1, vcc
	v_cmp_u_f32_e32 vcc, v4, v4
	v_readfirstlane_b32 s0, v5
	s_lshl_b32 s0, s0, 1
	v_cndmask_b32_e64 v9, 0, 1, vcc
	v_max_f32_e32 v4, v1, v7
	v_readfirstlane_b32 s1, v9
	s_or_b32 s0, s1, s0
	s_and_b32 s7, s0, 3
	s_cmp_lg_u32 s7, 0
	s_cselect_b64 s[0:1], -1, 0
	s_cmp_eq_u32 s7, 0
	s_cselect_b64 s[10:11], -1, 0
	s_and_b64 s[8:9], s[10:11], s[8:9]
	v_max_f32_e32 v1, v6, v8
	s_add_i32 s5, s5, 2
	s_add_i32 s6, s6, 16
	s_and_b64 vcc, exec, s[8:9]
	s_cbranch_vccnz .LBB18_16
; %bb.17:
	s_add_i32 s5, s5, -4
	s_and_b64 s[6:7], s[0:1], exec
	s_cselect_b32 s5, s5, s3
	s_or_b32 s5, s5, 1
	v_cndmask_b32_e64 v1, v1, v2, s[0:1]
	v_cndmask_b32_e64 v2, v4, v3, s[0:1]
	s_cmp_lg_u32 s3, s4
	v_max_f32_e32 v2, v2, v2
	v_max_f32_e32 v1, v1, v1
	s_cselect_b64 s[6:7], -1, 0
	v_max_f32_e32 v1, v1, v2
	s_or_b64 s[0:1], s[6:7], s[0:1]
	s_and_b64 vcc, exec, s[0:1]
	s_cbranch_vccnz .LBB18_19
	s_branch .LBB18_21
.LBB18_18:
	s_mov_b32 s5, 1
	s_cbranch_execz .LBB18_21
.LBB18_19:
	s_lshl_b32 s1, s5, 3
	s_sub_i32 s0, s25, s5
	s_add_i32 s1, s1, 0
.LBB18_20:                              ; =>This Inner Loop Header: Depth=1
	v_mov_b32_e32 v2, s1
	ds_read_b32 v2, v2
	s_waitcnt lgkmcnt(1)
	v_max_f32_e32 v1, v1, v1
	s_add_i32 s0, s0, -1
	s_add_i32 s1, s1, 8
	s_cmp_eq_u32 s0, 0
	s_waitcnt lgkmcnt(0)
	v_max_f32_e32 v2, v2, v2
	v_max_f32_e32 v1, v1, v2
	s_cbranch_scc0 .LBB18_20
.LBB18_21:
	s_cmp_lt_i32 s25, 1
	s_cbranch_scc1 .LBB18_26
; %bb.22:
	s_mul_i32 s18, s2, 0x60
	s_ashr_i32 s19, s18, 31
	s_cmp_lt_u32 s25, 8
	s_cbranch_scc1 .LBB18_27
; %bb.23:
	s_lshl_b64 s[0:1], s[18:19], 2
	s_add_u32 s20, s16, s0
	s_addc_u32 s21, s17, s1
	v_lshlrev_b32_e32 v4, 2, v0
	v_mov_b32_e32 v5, 0
	v_lshl_add_u64 v[2:3], s[20:21], 0, v[4:5]
	s_mov_b64 s[0:1], 0x180
	s_and_b32 s26, s25, 0x7ffffff8
	v_lshl_add_u64 v[6:7], v[2:3], 0, s[0:1]
	v_add_u32_e32 v8, 0x2a0, v0
	s_mov_b32 s27, 0
	s_mov_b32 s28, 0x3fb8aa3b
	;; [unrolled: 1-line block ×4, first 2 shown]
	v_mov_b32_e32 v12, 0x7f800000
	s_mov_b64 s[22:23], 0xc00
	s_mov_b32 s31, 0
	v_mov_b32_e32 v2, v5
	v_mov_b32_e32 v3, v5
.LBB18_24:                              ; =>This Inner Loop Header: Depth=1
	v_add_u32_e32 v4, 0xfffffd60, v8
	v_mov_b32_e32 v10, s27
	v_lshl_add_u64 v[30:31], v[4:5], 2, s[20:21]
	v_add_u32_e32 v4, 0xfffffe20, v8
	global_load_dword v11, v[6:7], off
	ds_read2_b64 v[14:17], v10 offset1:1
	ds_read2_b64 v[18:21], v10 offset0:2 offset1:3
	ds_read2_b64 v[22:25], v10 offset0:4 offset1:5
	ds_read2_b64 v[26:29], v10 offset0:6 offset1:7
	v_lshl_add_u64 v[34:35], v[4:5], 2, s[20:21]
	v_add_u32_e32 v4, 0xfffffe80, v8
	global_load_dword v37, v[30:31], off
	global_load_dword v39, v[34:35], off
	v_lshl_add_u64 v[30:31], v[4:5], 2, s[20:21]
	v_add_u32_e32 v4, 0xfffffee0, v8
	v_lshl_add_u64 v[34:35], v[4:5], 2, s[20:21]
	v_add_u32_e32 v4, 0xffffff40, v8
	global_load_dword v41, v[30:31], off
	global_load_dword v43, v[34:35], off
	v_lshl_add_u64 v[30:31], v[4:5], 2, s[20:21]
	v_add_u32_e32 v4, 0xffffffa0, v8
	s_waitcnt lgkmcnt(3)
	v_mov_b32_e32 v36, v15
	global_load_dword v15, v[30:31], off
	v_mov_b32_e32 v9, v5
	v_sub_f32_e32 v13, v16, v1
	v_mov_b32_e32 v10, v17
	v_lshl_add_u64 v[16:17], v[4:5], 2, s[20:21]
	v_lshl_add_u64 v[32:33], v[8:9], 2, s[20:21]
	s_waitcnt lgkmcnt(2)
	v_mov_b32_e32 v38, v19
	v_mov_b32_e32 v40, v21
	global_load_dword v19, v[16:17], off
	global_load_dword v21, v[32:33], off
	v_sub_f32_e32 v9, v14, v1
	v_sub_f32_e32 v34, v18, v1
	;; [unrolled: 1-line block ×3, first 2 shown]
	s_waitcnt lgkmcnt(1)
	v_sub_f32_e32 v22, v22, v1
	v_mov_b32_e32 v42, v23
	v_sub_f32_e32 v23, v24, v1
	v_mov_b32_e32 v14, v25
	s_waitcnt lgkmcnt(0)
	v_sub_f32_e32 v24, v26, v1
	v_sub_f32_e32 v4, v28, v1
	v_mul_f32_e32 v25, 0x3fb8aa3b, v9
	v_mov_b32_e32 v18, v27
	v_mov_b32_e32 v20, v29
	v_mul_f32_e32 v26, 0x3fb8aa3b, v13
	v_mul_f32_e32 v27, 0x3fb8aa3b, v34
	;; [unrolled: 1-line block ×7, first 2 shown]
	v_fma_f32 v16, v9, s28, -v25
	v_rndne_f32_e32 v17, v25
	v_fma_f32 v32, v13, s28, -v26
	v_rndne_f32_e32 v33, v26
	;; [unrolled: 2-line block ×8, first 2 shown]
	v_fmac_f32_e32 v16, 0x32a5705f, v9
	v_sub_f32_e32 v25, v25, v17
	v_fmac_f32_e32 v32, 0x32a5705f, v13
	v_sub_f32_e32 v26, v26, v33
	;; [unrolled: 2-line block ×8, first 2 shown]
	v_add_f32_e32 v16, v25, v16
	v_cvt_i32_f32_e32 v17, v17
	v_add_f32_e32 v25, v26, v32
	v_add_f32_e32 v26, v27, v45
	;; [unrolled: 1-line block ×7, first 2 shown]
	v_exp_f32_e32 v16, v16
	v_cvt_i32_f32_e32 v33, v33
	v_cvt_i32_f32_e32 v46, v46
	;; [unrolled: 1-line block ×7, first 2 shown]
	v_exp_f32_e32 v25, v25
	v_exp_f32_e32 v26, v26
	v_exp_f32_e32 v27, v27
	v_exp_f32_e32 v28, v28
	v_exp_f32_e32 v29, v29
	v_exp_f32_e32 v30, v30
	v_exp_f32_e32 v31, v31
	v_ldexp_f32 v16, v16, v17
	v_cmp_ngt_f32_e64 s[12:13], s29, v9
	v_ldexp_f32 v17, v25, v33
	v_cmp_ngt_f32_e32 vcc, s29, v13
	v_ldexp_f32 v25, v26, v46
	v_cmp_ngt_f32_e64 s[0:1], s29, v34
	v_ldexp_f32 v26, v27, v48
	v_cmp_ngt_f32_e64 s[2:3], s29, v35
	;; [unrolled: 2-line block ×6, first 2 shown]
	v_cndmask_b32_e64 v16, 0, v16, s[12:13]
	v_cmp_nlt_f32_e64 s[12:13], s30, v9
	v_cndmask_b32_e32 v17, 0, v17, vcc
	v_cmp_nlt_f32_e32 vcc, s30, v13
	v_cndmask_b32_e64 v13, 0, v25, s[0:1]
	v_cndmask_b32_e64 v25, 0, v26, s[2:3]
	;; [unrolled: 1-line block ×4, first 2 shown]
	v_cmp_nlt_f32_e64 s[6:7], s30, v23
	v_cndmask_b32_e64 v23, 0, v29, s[8:9]
	v_cndmask_b32_e64 v29, 0, v30, s[10:11]
	v_cmp_nlt_f32_e64 s[10:11], s30, v4
	v_cndmask_b32_e64 v4, v12, v16, s[12:13]
	v_cmp_nlt_f32_e64 s[0:1], s30, v34
	v_cndmask_b32_e32 v16, v12, v17, vcc
	s_waitcnt vmcnt(6)
	v_pk_fma_f32 v[2:3], v[4:5], v[36:37], v[2:3] op_sel_hi:[0,1,1]
	v_cmp_nlt_f32_e64 s[2:3], s30, v35
	v_cmp_nlt_f32_e64 s[4:5], s30, v22
	v_cndmask_b32_e64 v22, v12, v13, s[0:1]
	v_pk_fma_f32 v[2:3], v[16:17], v[10:11], v[2:3] op_sel_hi:[0,1,1]
	v_cmp_nlt_f32_e64 s[8:9], s30, v24
	v_cndmask_b32_e64 v24, v12, v25, s[2:3]
	s_waitcnt vmcnt(5)
	v_pk_fma_f32 v[2:3], v[22:23], v[38:39], v[2:3] op_sel_hi:[0,1,1]
	v_cndmask_b32_e64 v26, v12, v26, s[4:5]
	s_waitcnt vmcnt(4)
	v_pk_fma_f32 v[2:3], v[24:25], v[40:41], v[2:3] op_sel_hi:[0,1,1]
	;; [unrolled: 3-line block ×4, first 2 shown]
	s_add_i32 s31, s31, 8
	s_add_i32 s27, s27, 64
	v_cndmask_b32_e64 v32, v12, v29, s[10:11]
	s_waitcnt vmcnt(1)
	v_pk_fma_f32 v[2:3], v[30:31], v[18:19], v[2:3] op_sel_hi:[0,1,1]
	v_lshl_add_u64 v[6:7], v[6:7], 0, s[22:23]
	s_cmp_eq_u32 s26, s31
	v_add_u32_e32 v8, 0x300, v8
	s_waitcnt vmcnt(0)
	v_pk_fma_f32 v[2:3], v[32:33], v[20:21], v[2:3] op_sel_hi:[0,1,1]
	s_cbranch_scc0 .LBB18_24
; %bb.25:
	s_and_b32 s2, s25, 7
	s_cmp_eq_u32 s2, 0
	s_cbranch_scc0 .LBB18_28
	s_branch .LBB18_30
.LBB18_26:
	s_waitcnt lgkmcnt(0)
	v_mov_b32_e32 v1, 0x7fc00000
	s_branch .LBB18_31
.LBB18_27:
	v_mov_b32_e32 v2, 0
	s_mov_b32 s26, 0
	v_mov_b32_e32 v3, v2
	s_and_b32 s2, s25, 7
	s_cmp_eq_u32 s2, 0
	s_cbranch_scc1 .LBB18_30
.LBB18_28:
	s_lshl_b64 s[0:1], s[18:19], 2
	s_mul_i32 s3, s26, 0x60
	s_add_u32 s0, s16, s0
	v_add_u32_e32 v4, s3, v0
	v_mov_b32_e32 v5, 0
	s_addc_u32 s1, s17, s1
	v_lshl_add_u64 v[4:5], v[4:5], 2, s[0:1]
	s_lshl_b32 s0, s26, 3
	s_add_i32 s3, s0, 0
	s_mov_b32 s4, 0x3fb8aa3b
	s_mov_b32 s5, 0xc2ce8ed0
	;; [unrolled: 1-line block ×3, first 2 shown]
	v_mov_b32_e32 v6, 0x7f800000
	s_mov_b64 s[0:1], 0x180
.LBB18_29:                              ; =>This Inner Loop Header: Depth=1
	global_load_dword v9, v[4:5], off
	v_mov_b32_e32 v7, s3
	ds_read_b64 v[10:11], v7
	s_add_i32 s3, s3, 8
	s_add_i32 s2, s2, -1
	v_lshl_add_u64 v[4:5], v[4:5], 0, s[0:1]
	s_cmp_lg_u32 s2, 0
	s_waitcnt lgkmcnt(0)
	v_sub_f32_e32 v7, v10, v1
	v_mul_f32_e32 v8, 0x3fb8aa3b, v7
	v_fma_f32 v10, v7, s4, -v8
	v_rndne_f32_e32 v12, v8
	v_fmac_f32_e32 v10, 0x32a5705f, v7
	v_sub_f32_e32 v8, v8, v12
	v_add_f32_e32 v8, v8, v10
	v_cvt_i32_f32_e32 v12, v12
	v_exp_f32_e32 v10, v8
	v_cmp_ngt_f32_e32 vcc, s5, v7
	v_mov_b32_e32 v8, v11
	v_ldexp_f32 v10, v10, v12
	v_cndmask_b32_e32 v10, 0, v10, vcc
	v_cmp_nlt_f32_e32 vcc, s6, v7
	s_nop 1
	v_cndmask_b32_e32 v10, v6, v10, vcc
	s_waitcnt vmcnt(0)
	v_pk_fma_f32 v[2:3], v[10:11], v[8:9], v[2:3] op_sel_hi:[0,1,1]
	s_cbranch_scc1 .LBB18_29
.LBB18_30:
	s_waitcnt lgkmcnt(0)
	v_div_scale_f32 v1, s[0:1], v2, v2, v3
	v_rcp_f32_e32 v4, v1
	v_div_scale_f32 v5, vcc, v3, v2, v3
	v_fma_f32 v6, -v1, v4, 1.0
	v_fmac_f32_e32 v4, v6, v4
	v_mul_f32_e32 v6, v5, v4
	v_fma_f32 v7, -v1, v6, v5
	v_fmac_f32_e32 v6, v7, v4
	v_fma_f32 v1, -v1, v6, v5
	v_div_fmas_f32 v1, v1, v4, v6
	v_div_fixup_f32 v1, v1, v2, v3
.LBB18_31:
	s_mul_i32 s0, s24, 0x60
	s_ashr_i32 s1, s0, 31
	s_lshl_b64 s[0:1], s[0:1], 2
	s_add_u32 s0, s14, s0
	s_addc_u32 s1, s15, s1
	v_lshlrev_b32_e32 v0, 2, v0
	global_store_dword v0, v1, s[0:1]
	s_endpgm
	.section	.rodata,"a",@progbits
	.p2align	6, 0x0
	.amdhsa_kernel _ZL26flash_attn_combine_resultsILi96EEvPKfPK15HIP_vector_typeIfLj2EEPfi
		.amdhsa_group_segment_fixed_size 0
		.amdhsa_private_segment_fixed_size 0
		.amdhsa_kernarg_size 288
		.amdhsa_user_sgpr_count 2
		.amdhsa_user_sgpr_dispatch_ptr 0
		.amdhsa_user_sgpr_queue_ptr 0
		.amdhsa_user_sgpr_kernarg_segment_ptr 1
		.amdhsa_user_sgpr_dispatch_id 0
		.amdhsa_user_sgpr_kernarg_preload_length 0
		.amdhsa_user_sgpr_kernarg_preload_offset 0
		.amdhsa_user_sgpr_private_segment_size 0
		.amdhsa_uses_dynamic_stack 0
		.amdhsa_enable_private_segment 0
		.amdhsa_system_sgpr_workgroup_id_x 1
		.amdhsa_system_sgpr_workgroup_id_y 1
		.amdhsa_system_sgpr_workgroup_id_z 1
		.amdhsa_system_sgpr_workgroup_info 0
		.amdhsa_system_vgpr_workitem_id 0
		.amdhsa_next_free_vgpr 57
		.amdhsa_next_free_sgpr 32
		.amdhsa_accum_offset 60
		.amdhsa_reserve_vcc 1
		.amdhsa_float_round_mode_32 0
		.amdhsa_float_round_mode_16_64 0
		.amdhsa_float_denorm_mode_32 3
		.amdhsa_float_denorm_mode_16_64 3
		.amdhsa_dx10_clamp 1
		.amdhsa_ieee_mode 1
		.amdhsa_fp16_overflow 0
		.amdhsa_tg_split 0
		.amdhsa_exception_fp_ieee_invalid_op 0
		.amdhsa_exception_fp_denorm_src 0
		.amdhsa_exception_fp_ieee_div_zero 0
		.amdhsa_exception_fp_ieee_overflow 0
		.amdhsa_exception_fp_ieee_underflow 0
		.amdhsa_exception_fp_ieee_inexact 0
		.amdhsa_exception_int_div_zero 0
	.end_amdhsa_kernel
	.section	.text._ZL26flash_attn_combine_resultsILi96EEvPKfPK15HIP_vector_typeIfLj2EEPfi,"axG",@progbits,_ZL26flash_attn_combine_resultsILi96EEvPKfPK15HIP_vector_typeIfLj2EEPfi,comdat
.Lfunc_end18:
	.size	_ZL26flash_attn_combine_resultsILi96EEvPKfPK15HIP_vector_typeIfLj2EEPfi, .Lfunc_end18-_ZL26flash_attn_combine_resultsILi96EEvPKfPK15HIP_vector_typeIfLj2EEPfi
                                        ; -- End function
	.set _ZL26flash_attn_combine_resultsILi96EEvPKfPK15HIP_vector_typeIfLj2EEPfi.num_vgpr, 57
	.set _ZL26flash_attn_combine_resultsILi96EEvPKfPK15HIP_vector_typeIfLj2EEPfi.num_agpr, 0
	.set _ZL26flash_attn_combine_resultsILi96EEvPKfPK15HIP_vector_typeIfLj2EEPfi.numbered_sgpr, 32
	.set _ZL26flash_attn_combine_resultsILi96EEvPKfPK15HIP_vector_typeIfLj2EEPfi.num_named_barrier, 0
	.set _ZL26flash_attn_combine_resultsILi96EEvPKfPK15HIP_vector_typeIfLj2EEPfi.private_seg_size, 0
	.set _ZL26flash_attn_combine_resultsILi96EEvPKfPK15HIP_vector_typeIfLj2EEPfi.uses_vcc, 1
	.set _ZL26flash_attn_combine_resultsILi96EEvPKfPK15HIP_vector_typeIfLj2EEPfi.uses_flat_scratch, 0
	.set _ZL26flash_attn_combine_resultsILi96EEvPKfPK15HIP_vector_typeIfLj2EEPfi.has_dyn_sized_stack, 0
	.set _ZL26flash_attn_combine_resultsILi96EEvPKfPK15HIP_vector_typeIfLj2EEPfi.has_recursion, 0
	.set _ZL26flash_attn_combine_resultsILi96EEvPKfPK15HIP_vector_typeIfLj2EEPfi.has_indirect_call, 0
	.section	.AMDGPU.csdata,"",@progbits
; Kernel info:
; codeLenInByte = 3064
; TotalNumSgprs: 38
; NumVgprs: 57
; NumAgprs: 0
; TotalNumVgprs: 57
; ScratchSize: 0
; MemoryBound: 0
; FloatMode: 240
; IeeeMode: 1
; LDSByteSize: 0 bytes/workgroup (compile time only)
; SGPRBlocks: 4
; VGPRBlocks: 7
; NumSGPRsForWavesPerEU: 38
; NumVGPRsForWavesPerEU: 57
; AccumOffset: 60
; Occupancy: 8
; WaveLimiterHint : 0
; COMPUTE_PGM_RSRC2:SCRATCH_EN: 0
; COMPUTE_PGM_RSRC2:USER_SGPR: 2
; COMPUTE_PGM_RSRC2:TRAP_HANDLER: 0
; COMPUTE_PGM_RSRC2:TGID_X_EN: 1
; COMPUTE_PGM_RSRC2:TGID_Y_EN: 1
; COMPUTE_PGM_RSRC2:TGID_Z_EN: 1
; COMPUTE_PGM_RSRC2:TIDIG_COMP_CNT: 0
; COMPUTE_PGM_RSRC3_GFX90A:ACCUM_OFFSET: 14
; COMPUTE_PGM_RSRC3_GFX90A:TG_SPLIT: 0
	.section	.text._ZL18flash_attn_ext_f16ILi112ELi112ELi16ELi4ELb0ELb0EEvPKcS1_S1_S1_S1_PKiPfP15HIP_vector_typeIfLj2EEffffjfiS5_IjLj3EEiiiiiiiiiiiliiliiiiil,"axG",@progbits,_ZL18flash_attn_ext_f16ILi112ELi112ELi16ELi4ELb0ELb0EEvPKcS1_S1_S1_S1_PKiPfP15HIP_vector_typeIfLj2EEffffjfiS5_IjLj3EEiiiiiiiiiiiliiliiiiil,comdat
	.globl	_ZL18flash_attn_ext_f16ILi112ELi112ELi16ELi4ELb0ELb0EEvPKcS1_S1_S1_S1_PKiPfP15HIP_vector_typeIfLj2EEffffjfiS5_IjLj3EEiiiiiiiiiiiliiliiiiil ; -- Begin function _ZL18flash_attn_ext_f16ILi112ELi112ELi16ELi4ELb0ELb0EEvPKcS1_S1_S1_S1_PKiPfP15HIP_vector_typeIfLj2EEffffjfiS5_IjLj3EEiiiiiiiiiiiliiliiiiil
	.p2align	8
	.type	_ZL18flash_attn_ext_f16ILi112ELi112ELi16ELi4ELb0ELb0EEvPKcS1_S1_S1_S1_PKiPfP15HIP_vector_typeIfLj2EEffffjfiS5_IjLj3EEiiiiiiiiiiiliiliiiiil,@function
_ZL18flash_attn_ext_f16ILi112ELi112ELi16ELi4ELb0ELb0EEvPKcS1_S1_S1_S1_PKiPfP15HIP_vector_typeIfLj2EEffffjfiS5_IjLj3EEiiiiiiiiiiiliiliiiiil: ; @_ZL18flash_attn_ext_f16ILi112ELi112ELi16ELi4ELb0ELb0EEvPKcS1_S1_S1_S1_PKiPfP15HIP_vector_typeIfLj2EEffffjfiS5_IjLj3EEiiiiiiiiiiiliiliiiiil
; %bb.0:
	s_load_dwordx2 s[4:5], s[0:1], 0x80
	s_load_dwordx4 s[28:31], s[0:1], 0x64
	s_mov_b32 s26, s2
                                        ; implicit-def: $vgpr250 : SGPR spill to VGPR lane
	s_load_dword s27, s[0:1], 0xd0
	s_mov_b32 s6, 0
	s_waitcnt lgkmcnt(0)
	s_abs_i32 s2, s5
	v_cvt_f32_u32_e32 v1, s2
	s_sub_i32 s8, 0, s2
	s_abs_i32 s7, s29
	s_xor_b32 s3, s29, s5
	v_rcp_iflag_f32_e32 v1, v1
	s_ashr_i32 s3, s3, 31
	v_mul_f32_e32 v1, 0x4f7ffffe, v1
	v_cvt_u32_f32_e32 v1, v1
	s_nop 0
	v_readfirstlane_b32 s9, v1
	s_mul_i32 s8, s8, s9
	s_mul_hi_u32 s8, s9, s8
	s_add_i32 s9, s9, s8
	s_mul_hi_u32 s8, s7, s9
	s_mul_i32 s9, s8, s2
	s_sub_i32 s7, s7, s9
	s_add_i32 s10, s8, 1
	s_sub_i32 s9, s7, s2
	s_cmp_ge_u32 s7, s2
	s_cselect_b32 s8, s10, s8
	s_cselect_b32 s7, s9, s7
	s_add_i32 s9, s8, 1
	s_cmp_ge_u32 s7, s2
	s_cselect_b32 s2, s9, s8
	s_add_i32 s4, s4, 63
	s_xor_b32 s2, s2, s3
	s_ashr_i32 s7, s4, 31
	s_sub_i32 s33, s2, s3
	s_lshr_b32 s2, s7, 26
	s_add_i32 s4, s4, s2
	s_add_i32 s2, s28, 15
	s_lshr_b32 s7, s2, 4
	s_add_i32 s2, s33, 3
	s_ashr_i32 s3, s4, 6
	s_ashr_i32 s4, s2, 31
	s_lshr_b32 s4, s4, 30
	s_add_i32 s2, s2, s4
	s_ashr_i32 s2, s2, 2
	s_mul_i32 s55, s7, s3
	s_mul_i32 s10, s55, s2
	;; [unrolled: 1-line block ×4, first 2 shown]
	s_ashr_i32 s12, s2, 31
	s_mul_i32 s4, s12, s26
	s_mul_hi_u32 s5, s2, s26
	v_writelane_b32 v250, s7, 0
	s_add_i32 s7, s5, s4
	s_add_u32 s4, s0, 0xd0
	s_addc_u32 s5, s1, 0
	v_writelane_b32 v250, s4, 1
	s_cmp_lg_u64 s[6:7], 0
	s_mul_i32 s6, s2, s26
	v_writelane_b32 v250, s5, 2
	s_cbranch_scc0 .LBB19_357
; %bb.1:
	s_add_u32 s4, s27, 0
	s_addc_u32 s5, 0, 0
	s_xor_b64 s[8:9], s[4:5], 0
	v_cvt_f32_u32_e32 v1, s8
	v_cvt_f32_u32_e32 v2, s9
	s_sub_u32 s13, 0, s8
	s_subb_u32 s16, 0, s9
	v_fmamk_f32 v1, v2, 0x4f800000, v1
	v_rcp_f32_e32 v1, v1
	s_nop 0
	v_mul_f32_e32 v1, 0x5f7ffffc, v1
	v_mul_f32_e32 v2, 0x2f800000, v1
	v_trunc_f32_e32 v2, v2
	v_fmamk_f32 v1, v2, 0xcf800000, v1
	v_cvt_u32_f32_e32 v2, v2
	v_cvt_u32_f32_e32 v1, v1
	v_readfirstlane_b32 s17, v2
	v_readfirstlane_b32 s14, v1
	s_mul_i32 s15, s13, s17
	s_mul_hi_u32 s19, s13, s14
	s_mul_i32 s18, s16, s14
	s_add_i32 s15, s19, s15
	s_add_i32 s15, s15, s18
	s_mul_i32 s20, s13, s14
	s_mul_i32 s19, s14, s15
	s_mul_hi_u32 s21, s14, s20
	s_mul_hi_u32 s18, s14, s15
	s_add_u32 s19, s21, s19
	s_addc_u32 s18, 0, s18
	s_mul_hi_u32 s22, s17, s20
	s_mul_i32 s20, s17, s20
	s_add_u32 s19, s19, s20
	s_mul_hi_u32 s21, s17, s15
	s_addc_u32 s18, s18, s22
	s_addc_u32 s19, s21, 0
	s_mul_i32 s15, s17, s15
	s_add_u32 s15, s18, s15
	s_addc_u32 s18, 0, s19
	s_add_u32 s19, s14, s15
	s_cselect_b64 s[14:15], -1, 0
	s_cmp_lg_u64 s[14:15], 0
	s_addc_u32 s17, s17, s18
	s_mul_i32 s14, s13, s17
	s_mul_hi_u32 s15, s13, s19
	s_add_i32 s14, s15, s14
	s_mul_i32 s16, s16, s19
	s_add_i32 s14, s14, s16
	s_mul_i32 s13, s13, s19
	s_mul_hi_u32 s16, s17, s13
	s_mul_i32 s18, s17, s13
	s_mul_i32 s21, s19, s14
	s_mul_hi_u32 s13, s19, s13
	s_mul_hi_u32 s20, s19, s14
	s_add_u32 s13, s13, s21
	s_addc_u32 s20, 0, s20
	s_add_u32 s13, s13, s18
	s_mul_hi_u32 s15, s17, s14
	s_addc_u32 s13, s20, s16
	s_addc_u32 s15, s15, 0
	s_mul_i32 s14, s17, s14
	s_add_u32 s13, s13, s14
	s_addc_u32 s16, 0, s15
	s_add_u32 s13, s19, s13
	s_cselect_b64 s[14:15], -1, 0
	s_cmp_lg_u64 s[14:15], 0
	s_addc_u32 s18, s17, s16
	s_ashr_i32 s14, s7, 31
	s_add_u32 s16, s6, s14
	s_mov_b32 s15, s14
	s_addc_u32 s17, s7, s14
	s_xor_b64 s[16:17], s[16:17], s[14:15]
	s_mul_i32 s19, s16, s18
	s_mul_hi_u32 s20, s16, s13
	s_mul_hi_u32 s7, s16, s18
	s_add_u32 s19, s20, s19
	s_addc_u32 s7, 0, s7
	s_mul_hi_u32 s21, s17, s13
	s_mul_i32 s13, s17, s13
	s_add_u32 s13, s19, s13
	s_mul_hi_u32 s20, s17, s18
	s_addc_u32 s7, s7, s21
	s_addc_u32 s13, s20, 0
	s_mul_i32 s18, s17, s18
	s_add_u32 s7, s7, s18
	s_addc_u32 s13, 0, s13
	s_mul_i32 s18, s8, s13
	s_mul_hi_u32 s19, s8, s7
	s_add_i32 s18, s19, s18
	s_mul_i32 s19, s9, s7
	s_add_i32 s22, s18, s19
	s_sub_i32 s20, s17, s22
	s_mul_i32 s18, s8, s7
	s_sub_u32 s16, s16, s18
	s_cselect_b64 s[18:19], -1, 0
	s_cmp_lg_u64 s[18:19], 0
	s_subb_u32 s23, s20, s9
	s_sub_u32 s24, s16, s8
	s_cselect_b64 s[20:21], -1, 0
	s_cmp_lg_u64 s[20:21], 0
	s_subb_u32 s20, s23, 0
	s_cmp_ge_u32 s20, s9
	s_cselect_b32 s21, -1, 0
	s_cmp_ge_u32 s24, s8
	s_cselect_b32 s23, -1, 0
	s_cmp_eq_u32 s20, s9
	s_cselect_b32 s20, s23, s21
	s_add_u32 s21, s7, 1
	s_addc_u32 s23, s13, 0
	s_add_u32 s24, s7, 2
	s_addc_u32 s25, s13, 0
	s_cmp_lg_u32 s20, 0
	s_cselect_b32 s20, s24, s21
	s_cselect_b32 s21, s25, s23
	s_cmp_lg_u64 s[18:19], 0
	s_subb_u32 s17, s17, s22
	s_cmp_ge_u32 s17, s9
	s_cselect_b32 s18, -1, 0
	s_cmp_ge_u32 s16, s8
	s_cselect_b32 s8, -1, 0
	s_cmp_eq_u32 s17, s9
	s_cselect_b32 s8, s8, s18
	s_cmp_lg_u32 s8, 0
	s_cselect_b32 s9, s21, s13
	s_cselect_b32 s8, s20, s7
	s_xor_b64 s[14:15], s[14:15], 0
	s_xor_b64 s[8:9], s[8:9], s[14:15]
	s_sub_u32 s52, s8, s14
	s_load_dwordx2 s[50:51], s[0:1], 0x74
	v_cvt_f32_u32_e32 v1, s27
	s_cbranch_execnz .LBB19_3
.LBB19_2:
	v_rcp_iflag_f32_e32 v2, v1
	s_sub_i32 s4, 0, s27
	v_mul_f32_e32 v2, 0x4f7ffffe, v2
	v_cvt_u32_f32_e32 v2, v2
	s_nop 0
	v_readfirstlane_b32 s5, v2
	s_mul_i32 s4, s4, s5
	s_mul_hi_u32 s4, s5, s4
	s_add_i32 s5, s5, s4
	s_mul_hi_u32 s4, s6, s5
	s_mul_i32 s7, s4, s27
	s_sub_i32 s6, s6, s7
	s_add_i32 s5, s4, 1
	s_sub_i32 s7, s6, s27
	s_cmp_ge_u32 s6, s27
	s_cselect_b32 s4, s5, s4
	s_cselect_b32 s6, s7, s6
	s_add_i32 s5, s4, 1
	s_cmp_ge_u32 s6, s27
	s_cselect_b32 s52, s5, s4
.LBB19_3:
	s_add_i32 s4, s26, 1
	s_mul_i32 s5, s12, s4
	s_mul_hi_u32 s6, s2, s4
	s_add_i32 s9, s6, s5
	s_mov_b32 s8, 0
	s_cmp_lg_u64 s[8:9], 0
	s_mul_i32 s2, s2, s4
	v_writelane_b32 v250, s26, 3
	s_cbranch_scc0 .LBB19_358
; %bb.4:
	s_add_u32 s4, s27, 0
	s_addc_u32 s5, 0, 0
	s_xor_b64 s[6:7], s[4:5], 0
	v_cvt_f32_u32_e32 v2, s6
	v_cvt_f32_u32_e32 v3, s7
	s_sub_u32 s8, 0, s6
	s_subb_u32 s14, 0, s7
	v_fmamk_f32 v2, v3, 0x4f800000, v2
	v_rcp_f32_e32 v2, v2
	s_nop 0
	v_mul_f32_e32 v2, 0x5f7ffffc, v2
	v_mul_f32_e32 v3, 0x2f800000, v2
	v_trunc_f32_e32 v3, v3
	v_fmamk_f32 v2, v3, 0xcf800000, v2
	v_cvt_u32_f32_e32 v3, v3
	v_cvt_u32_f32_e32 v2, v2
	v_readfirstlane_b32 s15, v3
	v_readfirstlane_b32 s12, v2
	s_mul_i32 s13, s8, s15
	s_mul_hi_u32 s17, s8, s12
	s_mul_i32 s16, s14, s12
	s_add_i32 s13, s17, s13
	s_add_i32 s13, s13, s16
	s_mul_i32 s18, s8, s12
	s_mul_i32 s17, s12, s13
	s_mul_hi_u32 s19, s12, s18
	s_mul_hi_u32 s16, s12, s13
	s_add_u32 s17, s19, s17
	s_addc_u32 s16, 0, s16
	s_mul_hi_u32 s20, s15, s18
	s_mul_i32 s18, s15, s18
	s_add_u32 s17, s17, s18
	s_mul_hi_u32 s19, s15, s13
	s_addc_u32 s16, s16, s20
	s_addc_u32 s17, s19, 0
	s_mul_i32 s13, s15, s13
	s_add_u32 s13, s16, s13
	s_addc_u32 s16, 0, s17
	s_add_u32 s17, s12, s13
	s_cselect_b64 s[12:13], -1, 0
	s_cmp_lg_u64 s[12:13], 0
	s_addc_u32 s15, s15, s16
	s_mul_i32 s12, s8, s15
	s_mul_hi_u32 s13, s8, s17
	s_add_i32 s12, s13, s12
	s_mul_i32 s14, s14, s17
	s_add_i32 s12, s12, s14
	s_mul_i32 s8, s8, s17
	s_mul_hi_u32 s14, s15, s8
	s_mul_i32 s16, s15, s8
	s_mul_i32 s19, s17, s12
	s_mul_hi_u32 s8, s17, s8
	s_mul_hi_u32 s18, s17, s12
	s_add_u32 s8, s8, s19
	s_addc_u32 s18, 0, s18
	s_add_u32 s8, s8, s16
	s_mul_hi_u32 s13, s15, s12
	s_addc_u32 s8, s18, s14
	s_addc_u32 s13, s13, 0
	s_mul_i32 s12, s15, s12
	s_add_u32 s8, s8, s12
	s_addc_u32 s14, 0, s13
	s_add_u32 s16, s17, s8
	s_cselect_b64 s[12:13], -1, 0
	s_cmp_lg_u64 s[12:13], 0
	s_addc_u32 s14, s15, s14
	s_ashr_i32 s12, s9, 31
	s_add_u32 s8, s2, s12
	s_mov_b32 s13, s12
	s_addc_u32 s9, s9, s12
	s_xor_b64 s[8:9], s[8:9], s[12:13]
	s_mul_i32 s17, s8, s14
	s_mul_hi_u32 s18, s8, s16
	s_mul_hi_u32 s15, s8, s14
	s_add_u32 s17, s18, s17
	s_addc_u32 s15, 0, s15
	s_mul_hi_u32 s19, s9, s16
	s_mul_i32 s16, s9, s16
	s_add_u32 s16, s17, s16
	s_mul_hi_u32 s18, s9, s14
	s_addc_u32 s15, s15, s19
	s_addc_u32 s16, s18, 0
	s_mul_i32 s14, s9, s14
	s_add_u32 s18, s15, s14
	s_addc_u32 s19, 0, s16
	s_mul_i32 s14, s6, s19
	s_mul_hi_u32 s15, s6, s18
	s_add_i32 s14, s15, s14
	s_mul_i32 s15, s7, s18
	s_add_i32 s20, s14, s15
	s_sub_i32 s16, s9, s20
	s_mul_i32 s14, s6, s18
	s_sub_u32 s8, s8, s14
	s_cselect_b64 s[14:15], -1, 0
	s_cmp_lg_u64 s[14:15], 0
	s_subb_u32 s21, s16, s7
	s_sub_u32 s22, s8, s6
	s_cselect_b64 s[16:17], -1, 0
	s_cmp_lg_u64 s[16:17], 0
	s_subb_u32 s16, s21, 0
	s_cmp_ge_u32 s16, s7
	s_cselect_b32 s17, -1, 0
	s_cmp_ge_u32 s22, s6
	s_cselect_b32 s21, -1, 0
	s_cmp_eq_u32 s16, s7
	s_cselect_b32 s16, s21, s17
	s_add_u32 s17, s18, 1
	s_addc_u32 s21, s19, 0
	s_add_u32 s22, s18, 2
	s_addc_u32 s23, s19, 0
	s_cmp_lg_u32 s16, 0
	s_cselect_b32 s16, s22, s17
	s_cselect_b32 s17, s23, s21
	s_cmp_lg_u64 s[14:15], 0
	s_subb_u32 s9, s9, s20
	s_cmp_ge_u32 s9, s7
	s_cselect_b32 s14, -1, 0
	s_cmp_ge_u32 s8, s6
	s_cselect_b32 s6, -1, 0
	s_cmp_eq_u32 s9, s7
	s_cselect_b32 s6, s6, s14
	s_cmp_lg_u32 s6, 0
	s_cselect_b32 s7, s17, s19
	s_cselect_b32 s6, s16, s18
	s_xor_b64 s[8:9], s[12:13], 0
	s_xor_b64 s[6:7], s[6:7], s[8:9]
	s_sub_u32 s56, s6, s8
	s_load_dwordx2 s[40:41], s[0:1], 0x5c
	s_cbranch_execnz .LBB19_6
.LBB19_5:
	v_rcp_iflag_f32_e32 v1, v1
	s_sub_i32 s4, 0, s27
	v_mul_f32_e32 v1, 0x4f7ffffe, v1
	v_cvt_u32_f32_e32 v1, v1
	s_nop 0
	v_readfirstlane_b32 s5, v1
	s_mul_i32 s4, s4, s5
	s_mul_hi_u32 s4, s5, s4
	s_add_i32 s5, s5, s4
	s_mul_hi_u32 s4, s2, s5
	s_mul_i32 s6, s4, s27
	s_sub_i32 s2, s2, s6
	s_add_i32 s5, s4, 1
	s_sub_i32 s6, s2, s27
	s_cmp_ge_u32 s2, s27
	s_cselect_b32 s4, s5, s4
	s_cselect_b32 s2, s6, s2
	s_add_i32 s5, s4, 1
	s_cmp_ge_u32 s2, s27
	s_cselect_b32 s56, s5, s4
.LBB19_6:
	s_abs_i32 s57, s3
	v_cvt_f32_u32_e32 v1, s57
	v_writelane_b32 v250, s27, 4
	s_load_dwordx16 s[12:27], s[0:1], 0x0
	s_load_dword s2, s[0:1], 0x40
	s_load_dwordx2 s[4:5], s[0:1], 0x8c
	s_load_dwordx4 s[36:39], s[0:1], 0x98
	s_load_dwordx2 s[44:45], s[0:1], 0xa8
	s_load_dwordx2 s[8:9], s[0:1], 0xb8
	;; [unrolled: 1-line block ×3, first 2 shown]
	s_waitcnt lgkmcnt(0)
	s_mov_b32 s1, s5
	v_rcp_iflag_f32_e32 v1, v1
	s_ashr_i32 s34, s4, 2
	s_sub_i32 s4, 0, s57
	v_writelane_b32 v250, s0, 5
	v_mul_f32_e32 v1, 0x4f7ffffe, v1
	v_cvt_u32_f32_e32 v1, v1
	v_writelane_b32 v250, s1, 6
	s_ashr_i32 s1, s3, 31
	v_writelane_b32 v250, s1, 7
	v_readfirstlane_b32 s48, v1
	s_mul_i32 s4, s4, s48
	s_mul_hi_u32 s4, s48, s4
	s_abs_i32 s1, s52
	s_add_i32 s48, s48, s4
	s_mul_hi_u32 s4, s1, s48
	s_mul_i32 s4, s4, s57
	s_sub_i32 s1, s1, s4
	s_ashr_i32 s53, s31, 3
	s_ashr_i32 s49, s50, 3
	;; [unrolled: 1-line block ×5, first 2 shown]
	s_sub_i32 s4, s1, s57
	s_cmp_ge_u32 s1, s57
	s_cselect_b32 s1, s4, s1
	s_sub_i32 s4, s1, s57
	s_cmp_ge_u32 s1, s57
	s_cselect_b32 s1, s4, s1
	s_xor_b32 s1, s1, s0
	s_sub_i32 s72, s1, s0
	s_sub_i32 s0, s56, s52
	s_add_i32 s4, s0, s72
	s_min_i32 s38, s3, s4
	s_cmp_gt_i32 s56, s52
	s_cselect_b64 s[6:7], -1, 0
	s_cmp_le_i32 s56, s52
	s_cselect_b64 s[0:1], -1, 0
	s_cmp_gt_i32 s3, s4
	v_cvt_f16_f32_e32 v1, s2
	s_cselect_b64 s[4:5], -1, 0
	s_or_b64 s[0:1], s[4:5], s[0:1]
	v_bfe_u32 v2, v0, 5, 5
	v_bfe_u32 v49, v0, 10, 10
	s_mov_b32 s59, 0
	s_and_b64 vcc, exec, s[0:1]
	v_lshl_add_u32 v39, v49, 1, v2
	v_and_b32_e32 v38, 31, v0
	v_mbcnt_lo_u32_b32 v47, -1, 0
	v_writelane_b32 v250, s49, 8
	s_cbranch_vccz .LBB19_9
; %bb.7:
	s_andn2_b64 vcc, exec, s[6:7]
	s_cbranch_vccz .LBB19_297
.LBB19_8:
	s_endpgm
.LBB19_9:
	s_cmp_eq_u64 s[20:21], 0
	s_cselect_b64 s[60:61], -1, 0
	s_cmp_lg_u64 s[22:23], 0
	s_cselect_b64 s[0:1], -1, 0
	v_writelane_b32 v250, s0, 9
	v_bfe_u32 v3, v0, 3, 7
	v_and_b32_e32 v40, 15, v0
	v_writelane_b32 v250, s1, 10
	v_and_b32_e32 v8, 0x3ff, v0
	s_movk_i32 s0, 0xf00
	v_lshlrev_b32_e32 v7, 2, v3
	v_writelane_b32 v250, s8, 11
	v_mad_u32_u24 v5, v49, s0, 0
	v_mul_u32_u24_e32 v6, 0xf0, v40
	v_and_b32_e32 v9, 0x78, v7
	v_lshlrev_b32_e32 v10, 4, v49
	v_bfe_u32 v11, v0, 2, 8
	v_lshlrev_b32_e32 v12, 2, v8
	v_writelane_b32 v250, s9, 12
	s_movk_i32 s8, 0xf0
	v_add3_u32 v55, v5, v6, v9
	v_bfe_u32 v5, v0, 1, 9
	v_add_u32_e32 v11, v10, v11
	v_and_b32_e32 v46, 12, v12
	v_lshl_add_u32 v6, v49, 5, v5
	v_mad_u32_u24 v14, v11, s8, 0
	v_lshlrev_b32_e32 v15, 2, v46
	s_movk_i32 s4, 0x80
	v_and_b32_e32 v54, 4, v12
	v_and_b32_e32 v48, 28, v12
	v_add3_u32 v69, v14, v15, s4
	v_add_u32_e32 v97, 0, v9
	v_mad_u32_u24 v9, v6, s8, 0
	v_lshlrev_b32_e32 v12, 2, v54
	s_movk_i32 s4, 0xc0
	v_add3_u32 v99, v9, v12, s4
	v_cmp_gt_u32_e64 s[4:5], 16, v8
	v_and_or_b32 v9, v0, 12, v10
	s_movk_i32 s2, 0x90
	v_writelane_b32 v250, s4, 13
	v_lshrrev_b32_e32 v9, 2, v9
	v_mad_u32_u24 v9, v9, s2, 0
	v_writelane_b32 v250, s5, 14
	v_and_b32_e32 v5, 0x78, v5
	v_readlane_b32 s2, v250, 3
	s_lshl_b32 s58, s2, 6
	v_lshl_add_u32 v4, v49, 3, v3
	s_ashr_i32 s43, s42, 31
	s_ashr_i32 s35, s34, 31
	v_add_u32_e32 v101, v9, v5
	v_or_b32_e32 v5, 4, v7
	s_ashr_i32 s31, s30, 31
	v_lshlrev_b32_e32 v3, 1, v3
	s_lshl_b64 s[6:7], s[58:59], 3
	v_cmp_gt_u32_e64 s[0:1], 64, v6
	v_mul_lo_u32 v56, s34, v6
	v_add_u32_e32 v150, v9, v5
	v_mul_lo_u32 v58, s30, v6
	v_or_b32_e32 v5, 3, v3
	v_or_b32_e32 v6, 2, v3
	v_and_b32_e32 v3, 60, v3
	s_add_u32 s6, s26, s6
	v_mul_u32_u24_e32 v3, 0xf0, v3
	v_lshlrev_b32_e32 v7, 1, v40
	s_addc_u32 s7, s27, s7
	s_abs_i32 s2, s11
	v_add3_u32 v151, 0, v3, v7
	v_cvt_f32_u32_e32 v3, s2
	v_mul_u32_u24_e32 v5, 0xf0, v5
	v_mul_u32_u24_e32 v6, 0xf0, v6
	s_abs_i32 s64, s10
	v_add3_u32 v152, 0, v6, v7
	v_add3_u32 v153, 0, v5, v7
	v_cvt_f32_u32_e32 v7, s64
	v_rcp_iflag_f32_e32 v3, v3
	s_mov_b32 s5, s59
	v_writelane_b32 v250, s4, 15
	v_rcp_iflag_f32_e32 v7, v7
	v_mul_f32_e32 v3, 0x4f7ffffe, v3
	v_cvt_u32_f32_e32 v3, v3
	v_writelane_b32 v250, s5, 16
	v_mul_f32_e32 v7, 0x4f7ffffe, v7
	v_cvt_u32_f32_e32 v7, v7
	s_sub_i32 s4, 0, s2
	s_abs_i32 s65, s55
	v_mul_lo_u32 v44, s34, v11
	v_mul_lo_u32 v64, s30, v11
	;; [unrolled: 1-line block ×3, first 2 shown]
	v_cvt_f32_u32_e32 v11, s65
	v_mul_hi_u32 v9, v3, v9
	s_sub_i32 s4, 0, s64
	v_add_u32_e32 v155, v3, v9
	v_mul_lo_u32 v3, s4, v7
	v_readlane_b32 s4, v250, 11
	s_abs_i32 s54, s4
	v_rcp_iflag_f32_e32 v9, v11
	v_cvt_f32_u32_e32 v11, s54
	v_mul_hi_u32 v3, v7, v3
	v_add_u32_e32 v156, v7, v3
	v_mul_f32_e32 v9, 0x4f7ffffe, v9
	v_rcp_iflag_f32_e32 v11, v11
	v_cvt_u32_f32_e32 v9, v9
	s_sub_i32 s4, 0, s65
	v_add_u32_e32 v6, 24, v39
	v_mul_f32_e32 v7, 0x4f7ffffe, v11
	v_mul_lo_u32 v3, s4, v9
	v_cvt_u32_f32_e32 v7, v7
	v_lshrrev_b32_e32 v154, 2, v6
	v_or_b32_e32 v6, v10, v8
	v_mul_hi_u32 v3, v9, v3
	v_mov_b32_e32 v43, 0
	v_lshlrev_b32_e32 v42, 3, v6
	v_add_u32_e32 v157, v9, v3
	v_and_b32_e32 v3, 1, v0
	v_readlane_b32 s5, v250, 12
	v_lshl_add_u64 v[66:67], s[6:7], 0, v[42:43]
	v_lshlrev_b32_e32 v42, 4, v3
	v_add_u32_e32 v3, 40, v39
	v_bfe_u32 v2, v0, 4, 6
	v_add_u32_e32 v5, 16, v39
	v_readfirstlane_b32 s4, v7
	v_lshrrev_b32_e32 v158, 2, v3
	s_movk_i32 s5, 0x7f0
	v_and_b32_e32 v3, 15, v39
	v_add_u32_e32 v7, 32, v39
	v_add_u32_e32 v9, 48, v39
	v_lshl_add_u32 v2, v49, 2, v2
	v_lshrrev_b32_e32 v159, 2, v5
	v_and_or_b32 v5, v5, s5, v3
	v_lshrrev_b32_e32 v160, 2, v7
	v_and_or_b32 v7, v7, s5, v3
	v_and_or_b32 v3, v9, s5, v3
	v_lshrrev_b32_e32 v161, 2, v9
	v_add_u32_e32 v9, 56, v39
	v_lshrrev_b32_e32 v162, 2, v9
	v_lshrrev_b32_e32 v163, 2, v2
	v_mul_u32_u24_e32 v164, 0xf0, v2
	v_mad_u32_u24 v165, v2, s8, 0
	v_add_u32_e32 v9, 16, v2
	v_add_u32_e32 v11, 32, v2
	v_add_u32_e32 v12, 48, v2
	v_and_b32_e32 v2, 15, v2
	s_movk_i32 s5, 0xff0
	v_mad_u32_u24 v75, v4, s8, 0
	v_lshrrev_b32_e32 v166, 2, v9
	v_and_or_b32 v9, v9, s5, v2
	v_lshrrev_b32_e32 v167, 2, v11
	v_and_or_b32 v11, v11, s5, v2
	v_and_or_b32 v2, v12, s5, v2
	v_lshlrev_b32_e32 v14, 2, v48
	v_add_u32_e32 v93, 0x1e00, v75
	v_ashrrev_i32_e32 v59, 31, v58
	v_mul_u32_u24_e32 v15, 0xf0, v9
	v_mad_u32_u24 v179, v9, s8, 0
	v_mul_u32_u24_e32 v9, 0xf0, v11
	v_mad_u32_u24 v180, v11, s8, 0
	;; [unrolled: 2-line block ×3, first 2 shown]
	v_lshlrev_b32_e32 v2, 2, v40
	v_add_u32_e32 v91, v75, v14
	v_add_u32_e32 v95, v93, v14
	v_and_b32_e32 v68, 7, v0
	v_mul_u32_u24_e32 v14, 0xf0, v3
	v_mad_u32_u24 v178, v3, s8, 0
	v_add_u32_e32 v182, 0, v2
	v_add_u32_e32 v183, v165, v2
	;; [unrolled: 1-line block ×5, first 2 shown]
	v_lshl_add_u64 v[2:3], v[58:59], 2, v[42:43]
	v_mul_lo_u32 v50, s34, v4
	v_add_u32_e32 v13, 32, v4
	v_mul_lo_u32 v62, s30, v4
	v_mul_u32_u24_e32 v169, 0xf0, v4
	v_lshrrev_b32_e32 v170, 2, v4
	v_lshlrev_b32_e32 v4, 2, v68
	v_lshl_add_u64 v[2:3], s[16:17], 0, v[2:3]
	s_mov_b64 s[6:7], 0xc0
	v_and_b32_e32 v74, 3, v0
	v_ashrrev_i32_e32 v65, 31, v64
	v_add_u32_e32 v172, 0, v4
	v_add_u32_e32 v173, v75, v4
	;; [unrolled: 1-line block ×3, first 2 shown]
	v_or_b32_e32 v4, v10, v40
	v_writelane_b32 v250, s55, 17
	s_ashr_i32 s5, s10, 31
	v_lshl_add_u64 v[72:73], v[2:3], 0, s[6:7]
	v_lshlrev_b32_e32 v2, 4, v74
	v_mov_b32_e32 v3, v43
	v_ashrrev_i32_e32 v45, 31, v44
	v_lshrrev_b32_e32 v168, 2, v12
	v_mul_u32_u24_e32 v175, 0xf0, v4
	v_mul_u32_u24_e32 v12, 0xf0, v5
	v_mad_u32_u24 v176, v5, s8, 0
	v_writelane_b32 v250, s5, 18
	v_lshl_add_u64 v[4:5], v[64:65], 2, v[2:3]
	v_readlane_b32 s5, v250, 17
	v_lshl_add_u64 v[4:5], s[16:17], 0, v[4:5]
	s_mov_b64 s[68:69], 0x80
	v_lshl_add_u64 v[2:3], v[44:45], 2, v[2:3]
	v_ashrrev_i32_e32 v51, 31, v50
	v_lshl_add_u32 v52, s34, 5, v50
	s_ashr_i32 s5, s5, 31
	v_lshl_add_u64 v[76:77], v[4:5], 0, s[68:69]
	v_lshlrev_b32_e32 v4, 4, v68
	v_mov_b32_e32 v5, v43
	v_lshl_add_u64 v[2:3], s[14:15], 0, v[2:3]
	v_ashrrev_i32_e32 v53, 31, v52
	v_writelane_b32 v250, s5, 19
	s_sub_i32 s5, 0, s54
	v_lshl_add_u64 v[82:83], v[2:3], 0, s[68:69]
	v_lshl_add_u64 v[2:3], v[50:51], 2, v[4:5]
	v_ashrrev_i32_e32 v57, 31, v56
	s_mul_i32 s5, s5, s4
	v_lshl_add_u64 v[84:85], s[14:15], 0, v[2:3]
	v_lshl_add_u64 v[2:3], v[52:53], 2, v[4:5]
	s_mul_hi_u32 s5, s4, s5
	v_lshl_add_u64 v[86:87], s[14:15], 0, v[2:3]
	v_lshl_add_u64 v[2:3], v[56:57], 2, v[42:43]
	s_add_i32 s4, s4, s5
	v_lshl_add_u64 v[2:3], s[14:15], 0, v[2:3]
	v_bfe_u32 v90, v8, 3, 2
	v_mul_lo_u32 v60, s30, v13
	v_ashrrev_i32_e32 v63, 31, v62
	v_writelane_b32 v250, s4, 20
	s_lshl_b64 s[4:5], s[42:43], 1
	v_lshl_add_u64 v[88:89], v[2:3], 0, s[6:7]
	v_mul_lo_u32 v2, s49, v90
	v_ashrrev_i32_e32 v61, 31, v60
	v_lshrrev_b32_e32 v171, 2, v13
	v_mul_u32_u24_e32 v10, 0xf0, v6
	v_mul_u32_u24_e32 v13, 0xf0, v7
	v_mad_u32_u24 v177, v7, s8, 0
	v_lshlrev_b32_e32 v70, 2, v38
	v_writelane_b32 v250, s4, 21
	v_lshl_add_u64 v[6:7], v[62:63], 2, v[4:5]
	v_add3_u32 v92, v2, v68, 48
	v_lshlrev_b32_e32 v2, 1, v8
	v_bfe_u32 v96, v8, 4, 2
	v_mad_u32_u24 v209, v39, s8, 0
	s_mov_b32 s9, 0x10001
	s_ashr_i32 s55, s11, 31
	v_writelane_b32 v250, s5, 22
	v_lshl_add_u64 v[78:79], s[16:17], 0, v[6:7]
	v_lshl_add_u64 v[6:7], v[60:61], 2, v[4:5]
	v_add_u32_e32 v187, 0, v70
	v_and_b32_e32 v94, 62, v2
	v_add_u32_e32 v197, 8, v39
	v_mul_lo_u32 v2, v96, s49
	v_add_u32_e32 v211, 0x780, v209
	v_add_u32_e32 v214, 0x1680, v209
	;; [unrolled: 1-line block ×4, first 2 shown]
	v_and_b32_e32 v100, 3, v39
	v_mov_b32_e32 v41, v43
	v_mov_b32_e32 v71, v43
	s_lshl_b64 s[66:67], s[30:31], 8
	v_lshl_add_u64 v[80:81], s[16:17], 0, v[6:7]
	s_lshl_b64 s[70:71], s[34:35], 8
	s_mov_b32 s43, 0x3fb8aa3b
	s_mov_b32 s58, 0xc2ce8ed0
	;; [unrolled: 1-line block ×5, first 2 shown]
	v_add_u32_e32 v188, v187, v12
	v_add_u32_e32 v189, v187, v13
	;; [unrolled: 1-line block ×7, first 2 shown]
	v_mul_lo_u32 v195, v1, s9
	v_mul_u32_u24_e32 v196, 0x90, v39
	v_lshl_add_u32 v198, v94, 1, 0
	v_mad_u32_u24 v199, v40, s8, v97
	v_add_u32_e32 v200, 32, v101
	v_add_u32_e32 v201, 64, v101
	;; [unrolled: 1-line block ×3, first 2 shown]
	v_lshrrev_b32_e32 v203, 2, v39
	v_mul_u32_u24_e32 v204, 0xf0, v39
	v_lshrrev_b32_e32 v205, 2, v197
	v_add3_u32 v98, v2, v40, 32
	v_add_u32_e32 v206, 0xf00, v183
	v_add_u32_e32 v207, 0x1e00, v183
	;; [unrolled: 1-line block ×11, first 2 shown]
	v_mbcnt_hi_u32_b32 v222, -1, v47
	v_mov_b32_e32 v223, 0x7f800000
	v_mad_u64_u32 v[102:103], s[6:7], v100, s49, v[38:39]
	s_mov_b32 s49, s55
	v_readlane_b32 s55, v250, 17
	s_branch .LBB19_11
.LBB19_10:                              ;   in Loop: Header=BB19_11 Depth=1
	s_or_b64 exec, exec, s[6:7]
	s_add_i32 s4, s52, s3
	s_abs_i32 s6, s4
	s_mul_hi_u32 s7, s6, s48
	s_mul_i32 s7, s7, s57
	s_sub_i32 s6, s6, s7
	s_ashr_i32 s5, s4, 31
	s_sub_i32 s7, s6, s57
	s_cmp_ge_u32 s6, s57
	s_cselect_b32 s6, s7, s6
	s_sub_i32 s7, s6, s57
	s_cmp_ge_u32 s6, s57
	s_cselect_b32 s6, s7, s6
	s_xor_b32 s6, s6, s5
	s_sub_i32 s5, s5, s6
	s_add_i32 s52, s4, s5
	s_sub_i32 s4, s56, s52
	s_min_i32 s38, s3, s4
	s_cmp_gt_i32 s56, s52
	s_cselect_b64 s[6:7], -1, 0
	s_cmp_le_i32 s3, s4
	s_cselect_b64 s[4:5], -1, 0
	s_and_b64 s[4:5], s[4:5], s[6:7]
	s_mov_b32 s72, 0
	s_and_b64 vcc, exec, s[4:5]
	s_cbranch_vccz .LBB19_296
.LBB19_11:                              ; =>This Loop Header: Depth=1
                                        ;     Child Loop BB19_74 Depth 2
                                        ;     Child Loop BB19_214 Depth 2
	s_abs_i32 s5, s52
	v_mul_hi_u32 v2, s5, v155
	v_mul_lo_u32 v3, v2, s2
	v_sub_u32_e32 v3, s5, v3
	v_add_u32_e32 v4, 1, v2
	v_subrev_u32_e32 v5, s2, v3
	v_cmp_le_u32_e32 vcc, s2, v3
	s_ashr_i32 s4, s52, 31
	s_xor_b32 s4, s4, s49
	v_cndmask_b32_e32 v2, v2, v4, vcc
	v_cndmask_b32_e32 v3, v3, v5, vcc
	v_add_u32_e32 v4, 1, v2
	v_cmp_le_u32_e32 vcc, s2, v3
	s_nop 1
	v_cndmask_b32_e32 v2, v2, v4, vcc
	v_xor_b32_e32 v2, s4, v2
	v_subrev_u32_e32 v2, s4, v2
	v_mul_lo_u32 v3, v2, s11
	v_sub_u32_e32 v4, s52, v3
	v_sub_u32_e32 v5, 0, v4
	v_max_i32_e32 v5, v4, v5
	v_mul_hi_u32 v6, v5, v156
	v_mul_lo_u32 v7, v6, s64
	v_sub_u32_e32 v5, v5, v7
	v_add_u32_e32 v7, 1, v6
	v_subrev_u32_e32 v8, s64, v5
	v_cmp_le_u32_e32 vcc, s64, v5
	v_ashrrev_i32_e32 v3, 31, v4
	v_readlane_b32 s4, v250, 18
	v_cndmask_b32_e32 v6, v6, v7, vcc
	v_cndmask_b32_e32 v5, v5, v8, vcc
	v_add_u32_e32 v7, 1, v6
	v_cmp_le_u32_e32 vcc, s64, v5
	v_xor_b32_e32 v3, s4, v3
	v_readlane_b32 s4, v250, 19
	v_cndmask_b32_e32 v5, v6, v7, vcc
	v_xor_b32_e32 v5, v5, v3
	v_sub_u32_e32 v3, v5, v3
	v_mul_lo_u32 v5, v3, s10
	v_sub_u32_e32 v4, v4, v5
	v_sub_u32_e32 v6, 0, v4
	v_max_i32_e32 v6, v4, v6
	v_mul_hi_u32 v7, v6, v157
	v_mul_lo_u32 v8, v7, s65
	v_sub_u32_e32 v6, v6, v8
	v_add_u32_e32 v8, 1, v7
	v_subrev_u32_e32 v9, s65, v6
	v_cmp_le_u32_e32 vcc, s65, v6
	v_ashrrev_i32_e32 v5, 31, v4
	v_xor_b32_e32 v5, s4, v5
	v_cndmask_b32_e32 v7, v7, v8, vcc
	v_cndmask_b32_e32 v6, v6, v9, vcc
	v_add_u32_e32 v8, 1, v7
	v_cmp_le_u32_e32 vcc, s65, v6
	v_readlane_b32 s4, v250, 7
	s_nop 0
	v_cndmask_b32_e32 v6, v7, v8, vcc
	v_xor_b32_e32 v6, v6, v5
	v_sub_u32_e32 v5, v6, v5
	v_mul_lo_u32 v6, v5, s55
	v_sub_u32_e32 v4, v4, v6
	v_sub_u32_e32 v7, 0, v4
	v_ashrrev_i32_e32 v6, 31, v4
	v_max_i32_e32 v4, v4, v7
	v_mul_hi_u32 v7, v4, s48
	v_mul_lo_u32 v8, v7, s57
	v_sub_u32_e32 v4, v4, v8
	v_add_u32_e32 v8, 1, v7
	v_subrev_u32_e32 v9, s57, v4
	v_cmp_le_u32_e32 vcc, s57, v4
	v_xor_b32_e32 v6, s4, v6
	v_readlane_b32 s4, v250, 9
	v_cndmask_b32_e32 v7, v7, v8, vcc
	v_cndmask_b32_e32 v4, v4, v9, vcc
	v_add_u32_e32 v8, 1, v7
	v_cmp_le_u32_e32 vcc, s57, v4
	v_readlane_b32 s5, v250, 10
	s_nop 0
	v_cndmask_b32_e32 v4, v7, v8, vcc
	v_xor_b32_e32 v4, v4, v6
	s_andn2_b64 vcc, exec, s[4:5]
	v_sub_u32_e32 v4, v4, v6
	s_cbranch_vccnz .LBB19_13
; %bb.12:                               ;   in Loop: Header=BB19_11 Depth=1
	v_readlane_b32 s4, v250, 0
	s_nop 1
	v_mul_lo_u32 v6, v2, s4
	v_add_u32_e32 v6, v4, v6
	v_ashrrev_i32_e32 v7, 31, v6
	v_lshlrev_b64 v[6:7], 2, v[6:7]
	v_lshl_add_u64 v[6:7], s[22:23], 0, v[6:7]
	global_load_dword v6, v[6:7], off
	s_waitcnt vmcnt(0)
	v_readfirstlane_b32 s4, v6
	s_ashr_i32 s5, s4, 31
	s_lshr_b32 s5, s5, 26
	s_add_i32 s4, s4, s5
	s_ashr_i32 s4, s4, 6
	s_min_i32 s38, s38, s4
.LBB19_13:                              ;   in Loop: Header=BB19_11 Depth=1
	v_mul_lo_u32 v6, v3, s33
	v_lshlrev_b32_e32 v141, 2, v5
	v_add_u32_e32 v6, v141, v6
	v_mul_lo_u32 v8, v2, s51
	v_ashrrev_i32_e32 v9, 31, v8
	v_mul_lo_u32 v10, v6, s50
	v_lshl_add_u64 v[8:9], s[12:13], 0, v[8:9]
	v_ashrrev_i32_e32 v11, 31, v10
	v_ashrrev_i32_e32 v5, 31, v2
	v_lshl_add_u64 v[122:123], v[8:9], 0, v[10:11]
	v_mul_hi_u32 v7, s36, v2
	v_mul_lo_u32 v8, s36, v5
	v_readlane_b32 s4, v250, 5
	v_add_u32_e32 v7, v7, v8
	v_mul_lo_u32 v8, s37, v2
	v_readlane_b32 s5, v250, 6
	v_add_u32_e32 v119, v7, v8
	v_mul_lo_u32 v118, s36, v2
	v_mul_lo_u32 v114, v3, s5
	v_sub_u32_e32 v7, 0, v2
	v_lshl_add_u64 v[8:9], s[14:15], 0, v[118:119]
	v_ashrrev_i32_e32 v115, 31, v114
	v_max_i32_e32 v7, v2, v7
	v_readlane_b32 s4, v250, 20
	v_lshl_add_u64 v[110:111], v[8:9], 0, v[114:115]
	v_mul_lo_u32 v120, s44, v2
	v_mul_hi_u32 v8, v7, s4
	v_mul_lo_u32 v8, v8, s54
	v_sub_u32_e32 v7, v7, v8
	v_subrev_u32_e32 v8, s54, v7
	v_cmp_le_u32_e32 vcc, s54, v7
	s_mul_i32 s4, s28, s29
	v_mul_lo_u32 v116, v3, s39
	v_cndmask_b32_e32 v7, v7, v8, vcc
	v_subrev_u32_e32 v8, s54, v7
	v_cmp_le_u32_e32 vcc, s54, v7
	v_ashrrev_i32_e32 v117, 31, v116
	v_lshlrev_b32_e32 v140, 4, v4
	v_cndmask_b32_e32 v7, v7, v8, vcc
	v_xor_b32_e32 v7, v7, v5
	v_sub_u32_e32 v7, v7, v5
	v_ashrrev_i32_e32 v8, 31, v7
	v_mul_lo_u32 v8, s46, v8
	v_mul_hi_u32 v9, s46, v7
	v_add_u32_e32 v8, v9, v8
	v_mul_lo_u32 v9, s47, v7
	v_add_u32_e32 v9, v8, v9
	v_mul_lo_u32 v8, s46, v7
	v_mul_lo_u32 v7, s4, v2
	v_add_u32_e32 v7, v6, v7
	v_mul_lo_u32 v42, v7, 56
	v_mul_hi_u32 v7, s44, v2
	v_mul_lo_u32 v5, s44, v5
	v_add_u32_e32 v5, v7, v5
	v_mul_lo_u32 v7, s45, v2
	v_add_u32_e32 v121, v5, v7
	v_ashrrev_i32_e32 v7, 31, v6
	v_lshl_add_u64 v[112:113], s[18:19], 0, v[8:9]
	v_lshlrev_b64 v[8:9], 3, v[42:43]
	v_lshlrev_b64 v[2:3], 2, v[6:7]
	v_lshl_add_u64 v[104:105], s[24:25], 0, v[8:9]
	v_lshl_add_u64 v[8:9], s[16:17], 0, v[120:121]
	;; [unrolled: 1-line block ×4, first 2 shown]
	v_cndmask_b32_e64 v107, v3, 0, s[60:61]
	v_cndmask_b32_e64 v106, v2, 0, s[60:61]
	s_cmp_lg_u32 s72, 0
	v_add_u32_e32 v224, v203, v140
	v_or_b32_e32 v142, v100, v141
	s_cbranch_scc0 .LBB19_80
; %bb.14:                               ;   in Loop: Header=BB19_11 Depth=1
	v_cmp_le_i32_e64 s[6:7], s28, v224
	v_cmp_le_i32_e64 s[8:9], s33, v142
	v_cmp_gt_i32_e32 vcc, s33, v142
	s_or_b64 s[4:5], s[6:7], s[8:9]
	s_and_saveexec_b64 s[6:7], s[4:5]
	s_xor_b64 s[6:7], exec, s[6:7]
; %bb.15:                               ;   in Loop: Header=BB19_11 Depth=1
	v_add_u32_e32 v2, v187, v204
	ds_write_b32 v2, v43
; %bb.16:                               ;   in Loop: Header=BB19_11 Depth=1
	s_andn2_saveexec_b64 s[6:7], s[6:7]
	s_cbranch_execz .LBB19_18
; %bb.17:                               ;   in Loop: Header=BB19_11 Depth=1
	v_mad_u64_u32 v[2:3], s[4:5], v224, s53, v[102:103]
	v_ashrrev_i32_e32 v3, 31, v2
	v_lshl_add_u64 v[2:3], v[2:3], 3, v[122:123]
	global_load_dwordx2 v[2:3], v[2:3], off
	s_waitcnt vmcnt(0)
	v_cvt_pk_f16_f32 v2, v2, v3
	v_pk_mul_f16 v2, v2, v195
	v_add_u32_e32 v3, v187, v204
	ds_write_b32 v3, v2
.LBB19_18:                              ;   in Loop: Header=BB19_11 Depth=1
	s_or_b64 exec, exec, s[6:7]
	v_add_u32_e32 v231, v205, v140
	v_cmp_le_i32_e64 s[6:7], s28, v231
	s_xor_b64 s[8:9], vcc, -1
	s_or_b64 s[4:5], s[6:7], s[8:9]
	s_and_saveexec_b64 s[6:7], s[4:5]
	s_xor_b64 s[6:7], exec, s[6:7]
; %bb.19:                               ;   in Loop: Header=BB19_11 Depth=1
	v_add_u32_e32 v2, v187, v204
	ds_write_b32 v2, v43 offset:1920
; %bb.20:                               ;   in Loop: Header=BB19_11 Depth=1
	s_andn2_saveexec_b64 s[6:7], s[6:7]
	s_cbranch_execz .LBB19_22
; %bb.21:                               ;   in Loop: Header=BB19_11 Depth=1
	v_mad_u64_u32 v[2:3], s[4:5], v231, s53, v[102:103]
	v_ashrrev_i32_e32 v3, 31, v2
	v_lshl_add_u64 v[2:3], v[2:3], 3, v[122:123]
	global_load_dwordx2 v[2:3], v[2:3], off
	s_waitcnt vmcnt(0)
	v_cvt_pk_f16_f32 v2, v2, v3
	v_pk_mul_f16 v2, v2, v195
	v_add_u32_e32 v3, v187, v204
	ds_write_b32 v3, v2 offset:1920
.LBB19_22:                              ;   in Loop: Header=BB19_11 Depth=1
	s_or_b64 exec, exec, s[6:7]
	v_add_u32_e32 v230, v159, v140
	v_cmp_le_i32_e32 vcc, s28, v230
	s_or_b64 s[4:5], vcc, s[8:9]
	s_and_saveexec_b64 s[6:7], s[4:5]
	s_xor_b64 s[6:7], exec, s[6:7]
; %bb.23:                               ;   in Loop: Header=BB19_11 Depth=1
	v_add_u32_e32 v2, v187, v204
	ds_write_b32 v2, v43 offset:3840
; %bb.24:                               ;   in Loop: Header=BB19_11 Depth=1
	s_andn2_saveexec_b64 s[6:7], s[6:7]
	s_cbranch_execz .LBB19_26
; %bb.25:                               ;   in Loop: Header=BB19_11 Depth=1
	v_mad_u64_u32 v[2:3], s[4:5], v230, s53, v[102:103]
	v_ashrrev_i32_e32 v3, 31, v2
	v_lshl_add_u64 v[2:3], v[2:3], 3, v[122:123]
	global_load_dwordx2 v[2:3], v[2:3], off
	s_waitcnt vmcnt(0)
	v_cvt_pk_f16_f32 v2, v2, v3
	v_pk_mul_f16 v2, v2, v195
	v_add_u32_e32 v3, v187, v204
	ds_write_b32 v3, v2 offset:3840
.LBB19_26:                              ;   in Loop: Header=BB19_11 Depth=1
	s_or_b64 exec, exec, s[6:7]
	v_add_u32_e32 v229, v154, v140
	v_cmp_le_i32_e32 vcc, s28, v229
	s_or_b64 s[4:5], vcc, s[8:9]
	;; [unrolled: 23-line block ×6, first 2 shown]
	s_and_saveexec_b64 s[6:7], s[4:5]
	s_xor_b64 s[6:7], exec, s[6:7]
; %bb.43:                               ;   in Loop: Header=BB19_11 Depth=1
	v_add_u32_e32 v2, v187, v204
	ds_write_b32 v2, v43 offset:13440
; %bb.44:                               ;   in Loop: Header=BB19_11 Depth=1
	s_andn2_saveexec_b64 s[6:7], s[6:7]
	s_cbranch_execz .LBB19_46
; %bb.45:                               ;   in Loop: Header=BB19_11 Depth=1
	v_mad_u64_u32 v[2:3], s[4:5], v149, s53, v[102:103]
	v_ashrrev_i32_e32 v3, 31, v2
	v_lshl_add_u64 v[2:3], v[2:3], 3, v[122:123]
	global_load_dwordx2 v[2:3], v[2:3], off
	s_waitcnt vmcnt(0)
	v_cvt_pk_f16_f32 v2, v2, v3
	v_pk_mul_f16 v2, v2, v195
	v_add_u32_e32 v3, v187, v204
	ds_write_b32 v3, v2 offset:13440
.LBB19_46:                              ;   in Loop: Header=BB19_11 Depth=1
	s_or_b64 exec, exec, s[6:7]
	v_add_u32_e32 v148, v163, v140
	v_or_b32_e32 v225, v96, v141
	v_cmp_le_i32_e64 s[6:7], s28, v148
	v_cmp_le_i32_e64 s[8:9], s33, v225
	v_cmp_gt_i32_e32 vcc, s33, v225
	s_or_b64 s[4:5], s[6:7], s[8:9]
	s_and_saveexec_b64 s[6:7], s[4:5]
	s_xor_b64 s[6:7], exec, s[6:7]
; %bb.47:                               ;   in Loop: Header=BB19_11 Depth=1
	ds_write_b32 v183, v43 offset:128
; %bb.48:                               ;   in Loop: Header=BB19_11 Depth=1
	s_andn2_saveexec_b64 s[6:7], s[6:7]
	s_cbranch_execz .LBB19_50
; %bb.49:                               ;   in Loop: Header=BB19_11 Depth=1
	v_mad_u64_u32 v[2:3], s[4:5], v148, s53, v[98:99]
	v_ashrrev_i32_e32 v3, 31, v2
	v_lshl_add_u64 v[2:3], v[2:3], 3, v[122:123]
	global_load_dwordx2 v[2:3], v[2:3], off
	s_waitcnt vmcnt(0)
	v_cvt_pk_f16_f32 v2, v2, v3
	v_pk_mul_f16 v2, v2, v195
	v_add_u32_e32 v3, v182, v164
	ds_write_b32 v3, v2 offset:128
.LBB19_50:                              ;   in Loop: Header=BB19_11 Depth=1
	s_or_b64 exec, exec, s[6:7]
	v_add_u32_e32 v147, v166, v140
	v_cmp_le_i32_e64 s[6:7], s28, v147
	s_xor_b64 s[8:9], vcc, -1
	s_or_b64 s[4:5], s[6:7], s[8:9]
	s_and_saveexec_b64 s[6:7], s[4:5]
	s_xor_b64 s[6:7], exec, s[6:7]
; %bb.51:                               ;   in Loop: Header=BB19_11 Depth=1
	ds_write_b32 v206, v43 offset:128
; %bb.52:                               ;   in Loop: Header=BB19_11 Depth=1
	s_andn2_saveexec_b64 s[6:7], s[6:7]
	s_cbranch_execz .LBB19_54
; %bb.53:                               ;   in Loop: Header=BB19_11 Depth=1
	v_mad_u64_u32 v[2:3], s[4:5], v147, s53, v[98:99]
	v_ashrrev_i32_e32 v3, 31, v2
	v_lshl_add_u64 v[2:3], v[2:3], 3, v[122:123]
	global_load_dwordx2 v[2:3], v[2:3], off
	s_waitcnt vmcnt(0)
	v_cvt_pk_f16_f32 v2, v2, v3
	v_pk_mul_f16 v2, v2, v195
	v_add_u32_e32 v3, v182, v164
	ds_write_b32 v3, v2 offset:3968
.LBB19_54:                              ;   in Loop: Header=BB19_11 Depth=1
	s_or_b64 exec, exec, s[6:7]
	v_add_u32_e32 v146, v167, v140
	v_cmp_le_i32_e32 vcc, s28, v146
	s_or_b64 s[4:5], vcc, s[8:9]
	s_and_saveexec_b64 s[6:7], s[4:5]
	s_xor_b64 s[6:7], exec, s[6:7]
; %bb.55:                               ;   in Loop: Header=BB19_11 Depth=1
	ds_write_b32 v207, v43 offset:128
; %bb.56:                               ;   in Loop: Header=BB19_11 Depth=1
	s_andn2_saveexec_b64 s[6:7], s[6:7]
	s_cbranch_execz .LBB19_58
; %bb.57:                               ;   in Loop: Header=BB19_11 Depth=1
	v_mad_u64_u32 v[2:3], s[4:5], v146, s53, v[98:99]
	v_ashrrev_i32_e32 v3, 31, v2
	v_lshl_add_u64 v[2:3], v[2:3], 3, v[122:123]
	global_load_dwordx2 v[2:3], v[2:3], off
	s_waitcnt vmcnt(0)
	v_cvt_pk_f16_f32 v2, v2, v3
	v_pk_mul_f16 v2, v2, v195
	v_add_u32_e32 v3, v182, v164
	ds_write_b32 v3, v2 offset:7808
.LBB19_58:                              ;   in Loop: Header=BB19_11 Depth=1
	s_or_b64 exec, exec, s[6:7]
	v_add_u32_e32 v144, v168, v140
	v_cmp_le_i32_e32 vcc, s28, v144
	s_or_b64 s[4:5], vcc, s[8:9]
	s_and_saveexec_b64 s[6:7], s[4:5]
	s_xor_b64 s[6:7], exec, s[6:7]
; %bb.59:                               ;   in Loop: Header=BB19_11 Depth=1
	ds_write_b32 v208, v43 offset:128
; %bb.60:                               ;   in Loop: Header=BB19_11 Depth=1
	s_andn2_saveexec_b64 s[6:7], s[6:7]
	s_cbranch_execz .LBB19_62
; %bb.61:                               ;   in Loop: Header=BB19_11 Depth=1
	v_mad_u64_u32 v[2:3], s[4:5], v144, s53, v[98:99]
	v_ashrrev_i32_e32 v3, 31, v2
	v_lshl_add_u64 v[2:3], v[2:3], 3, v[122:123]
	global_load_dwordx2 v[2:3], v[2:3], off
	s_waitcnt vmcnt(0)
	v_cvt_pk_f16_f32 v2, v2, v3
	v_pk_mul_f16 v2, v2, v195
	v_add_u32_e32 v3, v182, v164
	ds_write_b32 v3, v2 offset:11648
.LBB19_62:                              ;   in Loop: Header=BB19_11 Depth=1
	s_or_b64 exec, exec, s[6:7]
	v_or_b32_e32 v145, v141, v90
	v_add_u32_e32 v143, v170, v140
	v_cmp_le_i32_e64 s[6:7], s33, v145
	v_cmp_le_i32_e64 s[8:9], s28, v143
	v_cmp_gt_i32_e32 vcc, s33, v145
	s_or_b64 s[4:5], s[8:9], s[6:7]
	s_and_saveexec_b64 s[6:7], s[4:5]
	s_xor_b64 s[6:7], exec, s[6:7]
; %bb.63:                               ;   in Loop: Header=BB19_11 Depth=1
	ds_write_b32 v173, v43 offset:192
; %bb.64:                               ;   in Loop: Header=BB19_11 Depth=1
	s_andn2_saveexec_b64 s[6:7], s[6:7]
	s_cbranch_execz .LBB19_66
; %bb.65:                               ;   in Loop: Header=BB19_11 Depth=1
	v_mad_u64_u32 v[2:3], s[4:5], v143, s53, v[92:93]
	v_ashrrev_i32_e32 v3, 31, v2
	v_lshl_add_u64 v[2:3], v[2:3], 3, v[122:123]
	global_load_dwordx2 v[2:3], v[2:3], off
	s_waitcnt vmcnt(0)
	v_cvt_pk_f16_f32 v2, v2, v3
	v_pk_mul_f16 v2, v2, v195
	v_add_u32_e32 v3, v172, v169
	ds_write_b32 v3, v2 offset:192
.LBB19_66:                              ;   in Loop: Header=BB19_11 Depth=1
	s_or_b64 exec, exec, s[6:7]
	v_add_u32_e32 v103, v171, v140
	v_cmp_le_i32_e64 s[6:7], s28, v103
	s_xor_b64 s[4:5], vcc, -1
	s_or_b64 s[4:5], s[6:7], s[4:5]
	s_and_saveexec_b64 s[6:7], s[4:5]
	s_xor_b64 s[6:7], exec, s[6:7]
; %bb.67:                               ;   in Loop: Header=BB19_11 Depth=1
	ds_write_b32 v174, v43 offset:192
; %bb.68:                               ;   in Loop: Header=BB19_11 Depth=1
	s_andn2_saveexec_b64 s[6:7], s[6:7]
	s_cbranch_execz .LBB19_70
; %bb.69:                               ;   in Loop: Header=BB19_11 Depth=1
	v_mad_u64_u32 v[2:3], s[4:5], v103, s53, v[92:93]
	v_ashrrev_i32_e32 v3, 31, v2
	v_lshl_add_u64 v[2:3], v[2:3], 3, v[122:123]
	global_load_dwordx2 v[2:3], v[2:3], off
	s_waitcnt vmcnt(0)
	v_cvt_pk_f16_f32 v2, v2, v3
	v_pk_mul_f16 v2, v2, v195
	v_add_u32_e32 v3, v172, v169
	ds_write_b32 v3, v2 offset:7872
.LBB19_70:                              ;   in Loop: Header=BB19_11 Depth=1
	s_or_b64 exec, exec, s[6:7]
	s_waitcnt lgkmcnt(0)
	s_barrier
	ds_read2_b64 v[10:13], v55 offset1:4
	ds_read2_b64 v[6:9], v55 offset0:8 offset1:12
	ds_read2_b64 v[2:5], v55 offset0:16 offset1:20
	ds_read_b64 v[124:125], v55 offset:192
	s_add_i32 s73, s38, -1
	v_add_u32_e32 v16, v140, v39
	v_add_u32_e32 v14, v140, v197
	s_mov_b64 s[6:7], -1
	s_cmp_lt_i32 s72, s73
	v_mul_hi_u32 v17, s40, v16
	v_mul_hi_u32 v15, s40, v14
	s_waitcnt lgkmcnt(0)
	s_barrier
                                        ; implicit-def: $vgpr126_vgpr127
                                        ; implicit-def: $vgpr128_vgpr129
	s_cbranch_scc1 .LBB19_72
; %bb.71:                               ;   in Loop: Header=BB19_11 Depth=1
	v_add_u32_e32 v18, v16, v17
	v_lshrrev_b32_e32 v18, s41, v18
	v_mul_lo_u32 v18, v18, s28
	v_sub_u32_e32 v18, v16, v18
	v_mad_i64_i32 v[126:127], s[4:5], v18, s42, 0
	v_add_u32_e32 v18, v14, v15
	v_lshrrev_b32_e32 v18, s41, v18
	v_mul_lo_u32 v18, v18, s28
	v_sub_u32_e32 v18, v14, v18
	v_mad_i64_i32 v[128:129], s[4:5], v18, s42, 0
	s_mov_b64 s[6:7], 0
.LBB19_72:                              ;   in Loop: Header=BB19_11 Depth=1
	s_andn2_b64 vcc, exec, s[6:7]
	s_cbranch_vccnz .LBB19_81
; %bb.73:                               ;   in Loop: Header=BB19_11 Depth=1
	v_add_u32_e32 v15, v14, v15
	v_lshrrev_b32_e32 v15, s41, v15
	v_mul_lo_u32 v15, v15, s28
	v_sub_u32_e32 v14, v14, v15
	v_mad_i64_i32 v[128:129], s[4:5], v14, s42, 0
	v_and_b32_e32 v14, 64, v222
	v_add_u32_e32 v14, 64, v14
	v_xor_b32_e32 v15, 32, v222
	v_cmp_lt_i32_e32 vcc, v15, v14
	v_add_u32_e32 v17, v16, v17
	v_lshrrev_b32_e32 v17, s41, v17
	v_cndmask_b32_e32 v15, v222, v15, vcc
	v_lshlrev_b32_e32 v234, 2, v15
	v_xor_b32_e32 v15, 16, v222
	v_mul_lo_u32 v17, v17, s28
	v_cmp_lt_i32_e32 vcc, v15, v14
	v_lshlrev_b32_e32 v42, 1, v94
	v_sub_u32_e32 v16, v16, v17
	v_cndmask_b32_e32 v14, v222, v15, vcc
	v_lshl_add_u64 v[130:131], v[112:113], 0, v[42:43]
	v_mad_i64_i32 v[126:127], s[4:5], v16, s42, 0
	v_lshlrev_b32_e32 v235, 2, v14
	s_lshl_b32 s6, s72, 6
	v_mov_b32_e32 v132, 0
	v_mov_b32_e32 v34, 0xfeffffff
	;; [unrolled: 1-line block ×16, first 2 shown]
.LBB19_74:                              ;   Parent Loop BB19_11 Depth=1
                                        ; =>  This Inner Loop Header: Depth=2
	s_ashr_i32 s7, s6, 31
	v_lshl_add_u64 v[14:15], s[6:7], 1, v[130:131]
	v_lshl_add_u64 v[16:17], v[126:127], 1, v[14:15]
	;; [unrolled: 1-line block ×3, first 2 shown]
	global_load_dword v16, v[16:17], off
	s_nop 0
	global_load_dword v14, v[14:15], off
	s_mul_hi_i32 s5, s6, s34
	s_mul_i32 s4, s6, s34
	v_add_u32_e32 v15, v198, v196
	s_lshl_b64 s[4:5], s[4:5], 2
	s_waitcnt vmcnt(1)
	ds_write_b32 v15, v16 offset:15360
	s_waitcnt vmcnt(0)
	ds_write_b32 v15, v14 offset:16512
	v_lshl_add_u64 v[14:15], v[110:111], 0, s[4:5]
	s_and_saveexec_b64 s[8:9], s[0:1]
	s_cbranch_execz .LBB19_76
; %bb.75:                               ;   in Loop: Header=BB19_74 Depth=2
	v_lshl_add_u64 v[16:17], v[56:57], 2, v[14:15]
	v_lshlrev_b32_e32 v42, 2, v54
	v_lshl_add_u64 v[16:17], v[16:17], 0, v[42:43]
	global_load_dwordx4 v[16:19], v[16:17], off offset:192
	s_waitcnt vmcnt(0)
	ds_write_b128 v99, v[16:19]
.LBB19_76:                              ;   in Loop: Header=BB19_74 Depth=2
	s_or_b64 exec, exec, s[8:9]
	v_lshl_add_u64 v[16:17], v[44:45], 2, v[14:15]
	v_lshlrev_b32_e32 v42, 2, v46
	v_lshl_add_u64 v[16:17], v[16:17], 0, v[42:43]
	v_lshl_add_u64 v[18:19], v[50:51], 2, v[14:15]
	v_lshlrev_b32_e32 v26, 2, v48
	v_mov_b32_e32 v27, v43
	v_lshl_add_u64 v[14:15], v[52:53], 2, v[14:15]
	v_lshl_add_u64 v[20:21], v[14:15], 0, v[26:27]
	global_load_dwordx4 v[14:17], v[16:17], off offset:128
	v_lshl_add_u64 v[18:19], v[18:19], 0, v[26:27]
	v_add_u32_e32 v22, 0x800, v199
	v_add_u32_e32 v35, 0x1800, v199
	s_mul_hi_i32 s5, s6, s30
	s_mul_i32 s4, s6, s30
	s_lshl_b64 s[4:5], s[4:5], 2
	s_waitcnt vmcnt(0)
	ds_write_b128 v69, v[14:17]
	global_load_dwordx4 v[14:17], v[18:19], off
	s_waitcnt vmcnt(0)
	ds_write_b128 v91, v[14:17]
	global_load_dwordx4 v[14:17], v[20:21], off
	s_waitcnt vmcnt(0)
	ds_write_b128 v95, v[14:17]
	s_waitcnt lgkmcnt(0)
	s_barrier
	ds_read2_b64 v[14:17], v199 offset1:4
	s_waitcnt lgkmcnt(0)
	v_mfma_f32_16x16x16_f16 v[18:21], v[14:15], v[10:11], 0
	ds_read_b64 v[232:233], v199 offset:11712
	v_mfma_f32_16x16x16_f16 v[14:17], v[16:17], v[12:13], v[18:21]
	s_nop 5
	ds_read2_b64 v[18:21], v199 offset0:8 offset1:12
	s_waitcnt lgkmcnt(0)
	v_mfma_f32_16x16x16_f16 v[14:17], v[18:19], v[6:7], v[14:17]
	v_mfma_f32_16x16x16_f16 v[14:17], v[20:21], v[8:9], v[14:17]
	ds_read2_b64 v[18:21], v199 offset0:16 offset1:20
	s_waitcnt lgkmcnt(0)
	v_mfma_f32_16x16x16_f16 v[14:17], v[18:19], v[2:3], v[14:17]
	ds_read_b64 v[18:19], v199 offset:192
	v_mfma_f32_16x16x16_f16 v[14:17], v[20:21], v[4:5], v[14:17]
	s_waitcnt lgkmcnt(0)
	v_mfma_f32_16x16x16_f16 v[236:239], v[18:19], v[124:125], v[14:17]
	s_nop 5
	ds_read2_b64 v[14:17], v22 offset0:224 offset1:228
	s_waitcnt lgkmcnt(0)
	v_mfma_f32_16x16x16_f16 v[18:21], v[14:15], v[10:11], 0
	v_mfma_f32_16x16x16_f16 v[14:17], v[16:17], v[12:13], v[18:21]
	s_nop 6
	ds_read2_b64 v[18:21], v22 offset0:232 offset1:236
	s_waitcnt lgkmcnt(0)
	v_mfma_f32_16x16x16_f16 v[14:17], v[18:19], v[6:7], v[14:17]
	v_mfma_f32_16x16x16_f16 v[14:17], v[20:21], v[8:9], v[14:17]
	ds_read2_b64 v[18:21], v22 offset0:240 offset1:244
	s_waitcnt lgkmcnt(0)
	v_mfma_f32_16x16x16_f16 v[14:17], v[18:19], v[2:3], v[14:17]
	ds_read_b64 v[18:19], v199 offset:4032
	v_mfma_f32_16x16x16_f16 v[14:17], v[20:21], v[4:5], v[14:17]
	s_waitcnt lgkmcnt(0)
	v_mfma_f32_16x16x16_f16 v[18:21], v[18:19], v[124:125], v[14:17]
	s_nop 5
	ds_read2_b64 v[14:17], v35 offset0:192 offset1:196
	s_waitcnt lgkmcnt(0)
	v_mfma_f32_16x16x16_f16 v[22:25], v[14:15], v[10:11], 0
	v_mfma_f32_16x16x16_f16 v[14:17], v[16:17], v[12:13], v[22:25]
	s_nop 6
	ds_read2_b64 v[22:25], v35 offset0:200 offset1:204
	s_waitcnt lgkmcnt(0)
	v_mfma_f32_16x16x16_f16 v[14:17], v[22:23], v[6:7], v[14:17]
	v_mfma_f32_16x16x16_f16 v[14:17], v[24:25], v[8:9], v[14:17]
	ds_read2_b64 v[22:25], v35 offset0:208 offset1:212
	v_add_u32_e32 v35, 0x2800, v199
	s_waitcnt lgkmcnt(0)
	v_mfma_f32_16x16x16_f16 v[14:17], v[22:23], v[2:3], v[14:17]
	ds_read_b64 v[22:23], v199 offset:7872
	v_mfma_f32_16x16x16_f16 v[14:17], v[24:25], v[4:5], v[14:17]
	s_waitcnt lgkmcnt(0)
	v_mfma_f32_16x16x16_f16 v[22:25], v[22:23], v[124:125], v[14:17]
	s_nop 5
	ds_read2_b64 v[14:17], v35 offset0:160 offset1:164
	s_waitcnt lgkmcnt(0)
	v_mfma_f32_16x16x16_f16 v[240:243], v[14:15], v[10:11], 0
	v_mfma_f32_16x16x16_f16 v[14:17], v[16:17], v[12:13], v[240:243]
	s_nop 6
	ds_read2_b64 v[240:243], v35 offset0:168 offset1:172
	s_waitcnt lgkmcnt(0)
	v_mfma_f32_16x16x16_f16 v[14:17], v[240:241], v[6:7], v[14:17]
	v_mfma_f32_16x16x16_f16 v[14:17], v[242:243], v[8:9], v[14:17]
	ds_read2_b64 v[240:243], v35 offset0:176 offset1:180
	s_waitcnt lgkmcnt(0)
	s_barrier
	ds_read_b32 v35, v101 offset:15360
	v_mfma_f32_16x16x16_f16 v[14:17], v[240:241], v[2:3], v[14:17]
	s_waitcnt lgkmcnt(0)
	v_cvt_f32_f16_e32 v37, v35
	v_cvt_f32_f16_sdwa v35, v35 dst_sel:DWORD dst_unused:UNUSED_PAD src0_sel:WORD_1
	v_add_f32_e32 v244, v236, v37
	v_mfma_f32_16x16x16_f16 v[14:17], v[242:243], v[4:5], v[14:17]
	v_add_f32_e32 v243, v237, v35
	ds_read_b32 v35, v150 offset:15360
	s_waitcnt lgkmcnt(0)
	v_cvt_f32_f16_e32 v37, v35
	v_cvt_f32_f16_sdwa v35, v35 dst_sel:DWORD dst_unused:UNUSED_PAD src0_sel:WORD_1
	v_mfma_f32_16x16x16_f16 v[14:17], v[232:233], v[124:125], v[14:17]
	v_add_f32_e32 v241, v238, v37
	v_add_f32_e32 v239, v239, v35
	v_add_u32_e32 v35, 0x3c00, v200
	ds_read2_b32 v[232:233], v35 offset1:1
	s_waitcnt lgkmcnt(0)
	v_cvt_f32_f16_e32 v35, v232
	v_cvt_f32_f16_sdwa v37, v232 dst_sel:DWORD dst_unused:UNUSED_PAD src0_sel:WORD_1
	v_add_f32_e32 v240, v18, v35
	v_cvt_f32_f16_e32 v18, v233
	v_add_f32_e32 v238, v19, v37
	v_cvt_f32_f16_sdwa v19, v233 dst_sel:DWORD dst_unused:UNUSED_PAD src0_sel:WORD_1
	v_add_f32_e32 v37, v20, v18
	v_add_u32_e32 v18, 0x3c00, v201
	v_add_f32_e32 v237, v21, v19
	ds_read2_b32 v[18:19], v18 offset1:1
	s_waitcnt lgkmcnt(0)
	v_cvt_f32_f16_e32 v20, v18
	v_cvt_f32_f16_sdwa v18, v18 dst_sel:DWORD dst_unused:UNUSED_PAD src0_sel:WORD_1
	v_add_f32_e32 v232, v22, v20
	v_add_f32_e32 v35, v23, v18
	v_cvt_f32_f16_e32 v18, v19
	v_cvt_f32_f16_sdwa v19, v19 dst_sel:DWORD dst_unused:UNUSED_PAD src0_sel:WORD_1
	v_add_f32_e32 v23, v24, v18
	v_add_u32_e32 v18, 0x3c00, v202
	v_add_f32_e32 v22, v25, v19
	ds_read2_b32 v[18:19], v18 offset1:1
	s_waitcnt lgkmcnt(0)
	v_cvt_f32_f16_e32 v20, v18
	v_cvt_f32_f16_sdwa v18, v18 dst_sel:DWORD dst_unused:UNUSED_PAD src0_sel:WORD_1
	v_add_f32_e32 v242, v14, v20
	v_add_f32_e32 v236, v15, v18
	v_cvt_f32_f16_e32 v14, v19
	v_cvt_f32_f16_sdwa v15, v19 dst_sel:DWORD dst_unused:UNUSED_PAD src0_sel:WORD_1
	v_add_f32_e32 v245, v16, v14
	v_add_f32_e32 v16, v17, v15
	;; [unrolled: 1-line block ×4, first 2 shown]
	v_max3_f32 v14, v34, v14, v15
	v_add_f32_e32 v15, 0x40051340, v241
	v_add_f32_e32 v17, 0x40051340, v239
	v_max3_f32 v14, v14, v15, v17
	v_add_f32_e32 v15, 0x40051340, v240
	v_add_f32_e32 v17, 0x40051340, v238
	;; [unrolled: 3-line block ×7, first 2 shown]
	v_max3_f32 v14, v14, v15, v17
	ds_bpermute_b32 v15, v234, v14
	s_waitcnt lgkmcnt(0)
	v_max_f32_e32 v15, v15, v15
	v_max_f32_e32 v17, v14, v15
	ds_bpermute_b32 v18, v235, v17
	v_lshl_add_u64 v[14:15], v[108:109], 0, s[4:5]
	s_and_saveexec_b64 s[8:9], s[0:1]
	s_cbranch_execz .LBB19_78
; %bb.77:                               ;   in Loop: Header=BB19_74 Depth=2
	v_lshl_add_u64 v[20:21], v[58:59], 2, v[14:15]
	v_lshlrev_b32_e32 v24, 2, v54
	v_mov_b32_e32 v25, v43
	v_lshl_add_u64 v[20:21], v[20:21], 0, v[24:25]
	global_load_dwordx4 v[246:249], v[20:21], off offset:192
	s_waitcnt vmcnt(0)
	ds_write_b128 v99, v[246:249]
.LBB19_78:                              ;   in Loop: Header=BB19_74 Depth=2
	s_or_b64 exec, exec, s[8:9]
	s_waitcnt lgkmcnt(0)
	v_max_f32_e32 v18, v18, v18
	v_max_f32_e32 v17, v17, v17
	;; [unrolled: 1-line block ×3, first 2 shown]
	v_sub_f32_e32 v17, v244, v233
	v_mul_f32_e32 v18, 0x3fb8aa3b, v17
	v_fma_f32 v19, v17, s43, -v18
	v_rndne_f32_e32 v20, v18
	v_fmac_f32_e32 v19, 0x32a5705f, v17
	v_sub_f32_e32 v18, v18, v20
	v_add_f32_e32 v18, v18, v19
	v_exp_f32_e32 v18, v18
	v_cvt_i32_f32_e32 v19, v20
	v_cmp_ngt_f32_e32 vcc, s58, v17
	v_sub_f32_e32 v37, v37, v233
	v_sub_f32_e32 v237, v237, v233
	v_ldexp_f32 v18, v18, v19
	v_cndmask_b32_e32 v18, 0, v18, vcc
	v_cmp_nlt_f32_e32 vcc, s59, v17
	v_sub_f32_e32 v17, v243, v233
	v_mul_f32_e32 v19, 0x3fb8aa3b, v17
	v_fma_f32 v20, v17, s43, -v19
	v_rndne_f32_e32 v21, v19
	v_fmac_f32_e32 v20, 0x32a5705f, v17
	v_sub_f32_e32 v19, v19, v21
	v_add_f32_e32 v19, v19, v20
	v_exp_f32_e32 v19, v19
	v_cvt_i32_f32_e32 v20, v21
	v_cndmask_b32_e32 v18, v223, v18, vcc
	v_cmp_ngt_f32_e32 vcc, s58, v17
	v_sub_f32_e32 v232, v232, v233
	v_ldexp_f32 v19, v19, v20
	v_sub_f32_e32 v20, v241, v233
	v_mul_f32_e32 v21, 0x3fb8aa3b, v20
	v_fma_f32 v24, v20, s43, -v21
	v_rndne_f32_e32 v25, v21
	v_fmac_f32_e32 v24, 0x32a5705f, v20
	v_sub_f32_e32 v21, v21, v25
	v_add_f32_e32 v21, v21, v24
	v_exp_f32_e32 v21, v21
	v_cvt_i32_f32_e32 v24, v25
	v_cndmask_b32_e32 v19, 0, v19, vcc
	v_cmp_nlt_f32_e32 vcc, s59, v17
	v_sub_f32_e32 v35, v35, v233
	v_ldexp_f32 v21, v21, v24
	v_cndmask_b32_e32 v19, v223, v19, vcc
	v_cmp_ngt_f32_e32 vcc, s58, v20
	v_sub_f32_e32 v23, v23, v233
	v_sub_f32_e32 v22, v22, v233
	v_cndmask_b32_e32 v21, 0, v21, vcc
	v_cmp_nlt_f32_e32 vcc, s59, v20
	v_add_f32_e32 v17, v18, v19
	v_sub_f32_e32 v16, v16, v233
	v_cndmask_b32_e32 v20, v223, v21, vcc
	v_sub_f32_e32 v21, v239, v233
	v_mul_f32_e32 v24, 0x3fb8aa3b, v21
	v_fma_f32 v25, v21, s43, -v24
	v_rndne_f32_e32 v239, v24
	v_fmac_f32_e32 v25, 0x32a5705f, v21
	v_sub_f32_e32 v24, v24, v239
	v_add_f32_e32 v24, v24, v25
	v_exp_f32_e32 v24, v24
	v_cvt_i32_f32_e32 v25, v239
	v_cmp_ngt_f32_e32 vcc, s58, v21
	v_add_f32_e32 v17, v20, v17
	s_add_i32 s72, s72, 1
	v_ldexp_f32 v24, v24, v25
	v_cndmask_b32_e32 v24, 0, v24, vcc
	v_cmp_nlt_f32_e32 vcc, s59, v21
	v_sub_f32_e32 v21, v240, v233
	v_mul_f32_e32 v25, 0x3fb8aa3b, v21
	v_fma_f32 v239, v21, s43, -v25
	v_rndne_f32_e32 v240, v25
	v_fmac_f32_e32 v239, 0x32a5705f, v21
	v_sub_f32_e32 v25, v25, v240
	v_add_f32_e32 v25, v25, v239
	v_exp_f32_e32 v25, v25
	v_cvt_i32_f32_e32 v239, v240
	v_cndmask_b32_e32 v24, v223, v24, vcc
	v_cmp_ngt_f32_e32 vcc, s58, v21
	v_add_f32_e32 v17, v24, v17
	v_ldexp_f32 v25, v25, v239
	v_cndmask_b32_e32 v25, 0, v25, vcc
	v_cmp_nlt_f32_e32 vcc, s59, v21
	s_add_i32 s6, s6, 64
	s_cmp_lt_i32 s72, s73
	v_cndmask_b32_e32 v21, v223, v25, vcc
	v_sub_f32_e32 v25, v238, v233
	v_mul_f32_e32 v238, 0x3fb8aa3b, v25
	v_fma_f32 v239, v25, s43, -v238
	v_rndne_f32_e32 v240, v238
	v_fmac_f32_e32 v239, 0x32a5705f, v25
	v_sub_f32_e32 v238, v238, v240
	v_add_f32_e32 v238, v238, v239
	v_exp_f32_e32 v238, v238
	v_cvt_i32_f32_e32 v239, v240
	v_cmp_ngt_f32_e32 vcc, s58, v25
	v_add_f32_e32 v17, v21, v17
	v_ldexp_f32 v238, v238, v239
	v_cndmask_b32_e32 v238, 0, v238, vcc
	v_cmp_nlt_f32_e32 vcc, s59, v25
	s_nop 1
	v_cndmask_b32_e32 v25, v223, v238, vcc
	v_mul_f32_e32 v238, 0x3fb8aa3b, v37
	v_fma_f32 v239, v37, s43, -v238
	v_rndne_f32_e32 v240, v238
	v_fmac_f32_e32 v239, 0x32a5705f, v37
	v_sub_f32_e32 v238, v238, v240
	v_add_f32_e32 v238, v238, v239
	v_exp_f32_e32 v238, v238
	v_cvt_i32_f32_e32 v239, v240
	v_cmp_ngt_f32_e32 vcc, s58, v37
	v_add_f32_e32 v17, v25, v17
	v_ldexp_f32 v238, v238, v239
	v_cndmask_b32_e32 v238, 0, v238, vcc
	v_cmp_nlt_f32_e32 vcc, s59, v37
	s_nop 1
	v_cndmask_b32_e32 v37, v223, v238, vcc
	v_mul_f32_e32 v238, 0x3fb8aa3b, v237
	v_fma_f32 v239, v237, s43, -v238
	v_rndne_f32_e32 v240, v238
	v_fmac_f32_e32 v239, 0x32a5705f, v237
	v_sub_f32_e32 v238, v238, v240
	v_add_f32_e32 v238, v238, v239
	v_exp_f32_e32 v238, v238
	v_cvt_i32_f32_e32 v239, v240
	v_cmp_ngt_f32_e32 vcc, s58, v237
	v_add_f32_e32 v17, v37, v17
	v_ldexp_f32 v238, v238, v239
	v_cndmask_b32_e32 v238, 0, v238, vcc
	v_cmp_nlt_f32_e32 vcc, s59, v237
	v_mul_f32_e32 v237, 0x3fb8aa3b, v232
	v_fma_f32 v239, v232, s43, -v237
	v_rndne_f32_e32 v240, v237
	v_fmac_f32_e32 v239, 0x32a5705f, v232
	v_sub_f32_e32 v237, v237, v240
	v_add_f32_e32 v237, v237, v239
	v_exp_f32_e32 v237, v237
	v_cvt_i32_f32_e32 v239, v240
	v_cndmask_b32_e32 v238, v223, v238, vcc
	v_cmp_ngt_f32_e32 vcc, s58, v232
	v_add_f32_e32 v17, v238, v17
	v_ldexp_f32 v237, v237, v239
	v_cndmask_b32_e32 v237, 0, v237, vcc
	v_cmp_nlt_f32_e32 vcc, s59, v232
	v_mul_f32_e32 v232, 0x3fb8aa3b, v35
	v_rndne_f32_e32 v240, v232
	v_cndmask_b32_e32 v239, v223, v237, vcc
	v_fma_f32 v237, v35, s43, -v232
	v_fmac_f32_e32 v237, 0x32a5705f, v35
	v_sub_f32_e32 v232, v232, v240
	v_add_f32_e32 v232, v232, v237
	v_exp_f32_e32 v232, v232
	v_cvt_i32_f32_e32 v237, v240
	v_cmp_ngt_f32_e32 vcc, s58, v35
	v_add_f32_e32 v17, v239, v17
	v_ldexp_f32 v232, v232, v237
	v_cndmask_b32_e32 v232, 0, v232, vcc
	v_cmp_nlt_f32_e32 vcc, s59, v35
	v_mul_f32_e32 v35, 0x3fb8aa3b, v23
	v_rndne_f32_e32 v237, v35
	v_cndmask_b32_e32 v240, v223, v232, vcc
	v_fma_f32 v232, v23, s43, -v35
	v_fmac_f32_e32 v232, 0x32a5705f, v23
	v_sub_f32_e32 v35, v35, v237
	v_add_f32_e32 v35, v35, v232
	v_exp_f32_e32 v35, v35
	v_cvt_i32_f32_e32 v232, v237
	;; [unrolled: 14-line block ×3, first 2 shown]
	v_cmp_ngt_f32_e32 vcc, s58, v22
	v_add_f32_e32 v17, v241, v17
	v_ldexp_f32 v23, v23, v35
	v_cndmask_b32_e32 v23, 0, v23, vcc
	v_cmp_nlt_f32_e32 vcc, s59, v22
	v_sub_f32_e32 v22, v242, v233
	s_nop 0
	v_cndmask_b32_e32 v243, v223, v23, vcc
	v_mul_f32_e32 v23, 0x3fb8aa3b, v22
	v_fma_f32 v35, v22, s43, -v23
	v_rndne_f32_e32 v232, v23
	v_fmac_f32_e32 v35, 0x32a5705f, v22
	v_sub_f32_e32 v23, v23, v232
	v_add_f32_e32 v23, v23, v35
	v_exp_f32_e32 v23, v23
	v_cvt_i32_f32_e32 v35, v232
	v_cmp_ngt_f32_e32 vcc, s58, v22
	v_add_f32_e32 v17, v243, v17
	v_ldexp_f32 v23, v23, v35
	v_cndmask_b32_e32 v23, 0, v23, vcc
	v_cmp_nlt_f32_e32 vcc, s59, v22
	v_sub_f32_e32 v22, v236, v233
	s_nop 0
	v_cndmask_b32_e32 v242, v223, v23, vcc
	v_mul_f32_e32 v23, 0x3fb8aa3b, v22
	v_fma_f32 v35, v22, s43, -v23
	v_rndne_f32_e32 v232, v23
	v_fmac_f32_e32 v35, 0x32a5705f, v22
	v_sub_f32_e32 v23, v23, v232
	v_add_f32_e32 v23, v23, v35
	v_exp_f32_e32 v23, v23
	v_cvt_i32_f32_e32 v35, v232
	;; [unrolled: 16-line block ×3, first 2 shown]
	v_cmp_ngt_f32_e32 vcc, s58, v22
	v_add_f32_e32 v17, v244, v17
	v_ldexp_f32 v23, v23, v35
	v_cndmask_b32_e32 v23, 0, v23, vcc
	v_cmp_nlt_f32_e32 vcc, s59, v22
	v_mul_f32_e32 v22, 0x3fb8aa3b, v16
	v_rndne_f32_e32 v35, v22
	v_cndmask_b32_e32 v245, v223, v23, vcc
	v_fma_f32 v23, v16, s43, -v22
	v_fmac_f32_e32 v23, 0x32a5705f, v16
	v_sub_f32_e32 v22, v22, v35
	v_add_f32_e32 v22, v22, v23
	v_exp_f32_e32 v22, v22
	v_cvt_i32_f32_e32 v23, v35
	v_cmp_ngt_f32_e32 vcc, s58, v16
	v_add_f32_e32 v17, v245, v17
	v_ldexp_f32 v22, v22, v23
	v_cndmask_b32_e32 v22, 0, v22, vcc
	v_cmp_nlt_f32_e32 vcc, s59, v16
	v_sub_f32_e32 v16, v34, v233
	s_nop 0
	v_cndmask_b32_e32 v246, v223, v22, vcc
	v_add_f32_e32 v232, v246, v17
	v_mul_f32_e32 v17, 0x3fb8aa3b, v16
	v_fma_f32 v22, v16, s43, -v17
	v_rndne_f32_e32 v23, v17
	v_fmac_f32_e32 v22, 0x32a5705f, v16
	v_sub_f32_e32 v17, v17, v23
	v_add_f32_e32 v17, v17, v22
	v_exp_f32_e32 v17, v17
	v_cvt_i32_f32_e32 v22, v23
	v_cmp_ngt_f32_e32 vcc, s58, v16
	v_ldexp_f32 v17, v17, v22
	s_nop 0
	v_cndmask_b32_e32 v17, 0, v17, vcc
	v_cmp_nlt_f32_e32 vcc, s59, v16
	s_nop 1
	v_cndmask_b32_e32 v17, v223, v17, vcc
	v_cmp_le_f32_e32 vcc, s62, v16
	s_nop 1
	v_cndmask_b32_e32 v16, 0, v17, vcc
	v_fmac_f32_e32 v232, v28, v16
	v_cvt_f16_f32_e32 v16, v16
	v_mul_u32_u24_e32 v16, 0x10001, v16
	v_pk_mul_f16 v249, v33, v16
	v_pk_mul_f16 v248, v32, v16
	;; [unrolled: 1-line block ×14, first 2 shown]
	v_lshl_add_u64 v[16:17], v[64:65], 2, v[14:15]
	v_lshl_add_u64 v[16:17], v[16:17], 0, v[42:43]
	global_load_dwordx4 v[132:135], v[16:17], off offset:128
	v_lshl_add_u64 v[16:17], v[62:63], 2, v[14:15]
	v_lshl_add_u64 v[14:15], v[60:61], 2, v[14:15]
	v_lshl_add_u64 v[16:17], v[16:17], 0, v[26:27]
	v_lshl_add_u64 v[14:15], v[14:15], 0, v[26:27]
	v_cvt_pk_f16_f32 v137, v37, v238
	v_cvt_pk_f16_f32 v136, v21, v25
	;; [unrolled: 1-line block ×4, first 2 shown]
	v_cvt_f32_f16_e32 v238, v32
	v_cvt_f32_f16_sdwa v239, v32 dst_sel:DWORD dst_unused:UNUSED_PAD src0_sel:WORD_1
	v_cvt_f32_f16_e32 v240, v28
	v_cvt_f32_f16_sdwa v241, v28 dst_sel:DWORD dst_unused:UNUSED_PAD src0_sel:WORD_1
	s_waitcnt vmcnt(0)
	ds_write_b128 v69, v[132:135]
	global_load_dwordx4 v[132:135], v[16:17], off
	s_waitcnt vmcnt(0)
	ds_write_b128 v91, v[132:135]
	global_load_dwordx4 v[14:17], v[14:15], off
	v_cvt_pk_f16_f32 v135, v20, v24
	v_cvt_pk_f16_f32 v134, v18, v19
	;; [unrolled: 1-line block ×4, first 2 shown]
	s_waitcnt vmcnt(0)
	ds_write_b128 v95, v[14:17]
	s_waitcnt lgkmcnt(0)
	s_barrier
	ds_read_u16 v26, v151 offset:240
	ds_read_u16 v27, v152
	ds_read_u16 v29, v152 offset:32
	ds_read_u16 v36, v153
	ds_read_u16 v42, v153 offset:32
	v_cvt_f32_f16_e32 v16, v248
	v_cvt_f32_f16_sdwa v17, v248 dst_sel:DWORD dst_unused:UNUSED_PAD src0_sel:WORD_1
	v_cvt_f32_f16_e32 v14, v249
	s_waitcnt lgkmcnt(1)
	v_perm_b32 v27, v36, v27, s63
	ds_read_u16 v36, v151
	ds_read_u16 v248, v151 offset:32
	v_cvt_f32_f16_sdwa v15, v249 dst_sel:DWORD dst_unused:UNUSED_PAD src0_sel:WORD_1
	ds_read_u16 v18, v151 offset:3840
	ds_read_u16 v20, v151 offset:4080
	;; [unrolled: 1-line block ×4, first 2 shown]
	s_waitcnt lgkmcnt(6)
	v_perm_b32 v25, v42, v29, s63
	s_waitcnt lgkmcnt(5)
	v_perm_b32 v26, v26, v36, s63
	;; [unrolled: 2-line block ×4, first 2 shown]
	v_mfma_f32_16x16x16_f16 v[14:17], v[26:27], v[134:135], v[14:17]
	s_nop 7
	v_cvt_f16_f32_e32 v14, v14
	v_cvt_f16_f32_e32 v15, v15
	;; [unrolled: 1-line block ×4, first 2 shown]
	v_cvt_f32_f16_e32 v14, v14
	v_cvt_f32_f16_e32 v15, v15
	;; [unrolled: 1-line block ×4, first 2 shown]
	s_nop 1
	v_mfma_f32_16x16x16_f16 v[14:17], v[18:19], v[136:137], v[14:17]
	ds_read_u16 v18, v151 offset:7680
	ds_read_u16 v20, v151 offset:7920
	;; [unrolled: 1-line block ×4, first 2 shown]
	s_nop 3
	v_cvt_f16_f32_e32 v14, v14
	v_cvt_f16_f32_e32 v15, v15
	;; [unrolled: 1-line block ×4, first 2 shown]
	s_waitcnt lgkmcnt(0)
	v_perm_b32 v19, v21, v19, s63
	v_perm_b32 v18, v20, v18, s63
	v_cvt_f32_f16_e32 v14, v14
	v_cvt_f32_f16_e32 v15, v15
	;; [unrolled: 1-line block ×4, first 2 shown]
	s_nop 1
	v_mfma_f32_16x16x16_f16 v[14:17], v[18:19], v[138:139], v[14:17]
	ds_read_u16 v18, v151 offset:11520
	ds_read_u16 v20, v151 offset:11760
	;; [unrolled: 1-line block ×5, first 2 shown]
	s_nop 2
	v_cvt_f16_f32_e32 v14, v14
	v_cvt_f16_f32_e32 v15, v15
	;; [unrolled: 1-line block ×4, first 2 shown]
	s_waitcnt lgkmcnt(1)
	v_perm_b32 v19, v21, v19, s63
	v_perm_b32 v18, v20, v18, s63
	v_cvt_f32_f16_e32 v14, v14
	v_cvt_f32_f16_e32 v15, v15
	;; [unrolled: 1-line block ×4, first 2 shown]
	s_waitcnt lgkmcnt(0)
	v_perm_b32 v24, v24, v248, s63
	v_cvt_f32_f16_e32 v20, v33
	v_mfma_f32_16x16x16_f16 v[14:17], v[18:19], v[132:133], v[14:17]
	v_cvt_f32_f16_e32 v18, v247
	v_cvt_f32_f16_sdwa v19, v247 dst_sel:DWORD dst_unused:UNUSED_PAD src0_sel:WORD_1
	v_cvt_f32_f16_sdwa v21, v33 dst_sel:DWORD dst_unused:UNUSED_PAD src0_sel:WORD_1
	s_nop 1
	v_mfma_f32_16x16x16_f16 v[18:21], v[24:25], v[134:135], v[18:21]
	ds_read_u16 v24, v151 offset:3872
	ds_read_u16 v26, v151 offset:4112
	;; [unrolled: 1-line block ×4, first 2 shown]
	s_nop 3
	v_cvt_f16_f32_e32 v18, v18
	v_cvt_f16_f32_e32 v19, v19
	;; [unrolled: 1-line block ×4, first 2 shown]
	s_waitcnt lgkmcnt(0)
	v_perm_b32 v25, v27, v25, s63
	v_perm_b32 v24, v26, v24, s63
	v_cvt_f32_f16_e32 v18, v18
	v_cvt_f32_f16_e32 v19, v19
	;; [unrolled: 1-line block ×4, first 2 shown]
	s_nop 1
	v_mfma_f32_16x16x16_f16 v[18:21], v[24:25], v[136:137], v[18:21]
	ds_read_u16 v24, v151 offset:7712
	ds_read_u16 v26, v151 offset:7952
	ds_read_u16 v25, v152 offset:7712
	ds_read_u16 v27, v153 offset:7712
	s_nop 3
	v_cvt_f16_f32_e32 v18, v18
	v_cvt_f16_f32_e32 v19, v19
	;; [unrolled: 1-line block ×4, first 2 shown]
	s_waitcnt lgkmcnt(0)
	v_perm_b32 v25, v27, v25, s63
	v_perm_b32 v24, v26, v24, s63
	v_cvt_f32_f16_e32 v18, v18
	v_cvt_f32_f16_e32 v19, v19
	;; [unrolled: 1-line block ×4, first 2 shown]
	s_nop 1
	v_mfma_f32_16x16x16_f16 v[18:21], v[24:25], v[138:139], v[18:21]
	ds_read_u16 v24, v151 offset:11552
	ds_read_u16 v26, v151 offset:11792
	;; [unrolled: 1-line block ×8, first 2 shown]
	v_cvt_f16_f32_e32 v18, v18
	v_cvt_f16_f32_e32 v19, v19
	;; [unrolled: 1-line block ×4, first 2 shown]
	s_waitcnt lgkmcnt(4)
	v_perm_b32 v25, v27, v25, s63
	v_perm_b32 v24, v26, v24, s63
	v_cvt_f32_f16_e32 v18, v18
	v_cvt_f32_f16_e32 v19, v19
	;; [unrolled: 1-line block ×5, first 2 shown]
	v_cvt_f32_f16_sdwa v27, v22 dst_sel:DWORD dst_unused:UNUSED_PAD src0_sel:WORD_1
	v_mfma_f32_16x16x16_f16 v[18:21], v[24:25], v[132:133], v[18:21]
	v_cvt_f32_f16_e32 v24, v23
	v_cvt_f32_f16_sdwa v25, v23 dst_sel:DWORD dst_unused:UNUSED_PAD src0_sel:WORD_1
	s_waitcnt lgkmcnt(0)
	v_perm_b32 v23, v37, v36, s63
	v_perm_b32 v22, v33, v29, s63
	s_nop 1
	v_mfma_f32_16x16x16_f16 v[22:25], v[22:23], v[134:135], v[24:27]
	s_nop 2
	ds_read_u16 v26, v151 offset:3904
	ds_read_u16 v29, v151 offset:4144
	ds_read_u16 v27, v152 offset:3904
	ds_read_u16 v33, v153 offset:3904
	s_nop 0
	v_cvt_f16_f32_e32 v22, v22
	v_cvt_f16_f32_e32 v23, v23
	v_cvt_f16_f32_e32 v24, v24
	v_cvt_f16_f32_e32 v25, v25
	s_waitcnt lgkmcnt(0)
	v_perm_b32 v27, v33, v27, s63
	v_perm_b32 v26, v29, v26, s63
	v_cvt_f32_f16_e32 v22, v22
	v_cvt_f32_f16_e32 v23, v23
	v_cvt_f32_f16_e32 v24, v24
	v_cvt_f32_f16_e32 v25, v25
	s_nop 1
	v_mfma_f32_16x16x16_f16 v[22:25], v[26:27], v[136:137], v[22:25]
	ds_read_u16 v26, v151 offset:7744
	ds_read_u16 v29, v151 offset:7984
	ds_read_u16 v27, v152 offset:7744
	ds_read_u16 v33, v153 offset:7744
	s_nop 3
	v_cvt_f16_f32_e32 v22, v22
	v_cvt_f16_f32_e32 v23, v23
	v_cvt_f16_f32_e32 v24, v24
	v_cvt_f16_f32_e32 v25, v25
	s_waitcnt lgkmcnt(0)
	v_perm_b32 v27, v33, v27, s63
	v_perm_b32 v26, v29, v26, s63
	v_cvt_f32_f16_e32 v22, v22
	v_cvt_f32_f16_e32 v23, v23
	v_cvt_f32_f16_e32 v24, v24
	v_cvt_f32_f16_e32 v25, v25
	s_nop 1
	v_mfma_f32_16x16x16_f16 v[22:25], v[26:27], v[138:139], v[22:25]
	;; [unrolled: 18-line block ×3, first 2 shown]
	ds_read_u16 v26, v151 offset:96
	ds_read_u16 v29, v151 offset:336
	;; [unrolled: 1-line block ×4, first 2 shown]
	s_waitcnt lgkmcnt(2)
	v_perm_b32 v26, v29, v26, s63
	s_waitcnt lgkmcnt(0)
	v_perm_b32 v27, v33, v27, s63
	ds_read_u16 v32, v151 offset:3936
	ds_read_u16 v36, v151 offset:4176
	;; [unrolled: 1-line block ×4, first 2 shown]
	v_mfma_f32_16x16x16_f16 v[26:29], v[26:27], v[134:135], v[238:241]
	s_waitcnt lgkmcnt(0)
	v_perm_b32 v33, v37, v33, s63
	v_perm_b32 v32, v36, v32, s63
	v_cvt_f32_f16_e32 v238, v31
	s_nop 3
	v_cvt_f16_f32_e32 v26, v26
	v_cvt_f16_f32_e32 v27, v27
	v_cvt_f16_f32_e32 v28, v28
	v_cvt_f16_f32_e32 v29, v29
	v_cvt_f32_f16_e32 v26, v26
	v_cvt_f32_f16_e32 v27, v27
	;; [unrolled: 1-line block ×4, first 2 shown]
	v_cvt_f32_f16_sdwa v239, v31 dst_sel:DWORD dst_unused:UNUSED_PAD src0_sel:WORD_1
	v_cvt_f32_f16_e32 v240, v30
	v_mfma_f32_16x16x16_f16 v[26:29], v[32:33], v[136:137], v[26:29]
	ds_read_u16 v32, v151 offset:7776
	ds_read_u16 v36, v151 offset:8016
	ds_read_u16 v33, v152 offset:7776
	ds_read_u16 v37, v153 offset:7776
	v_cvt_f32_f16_sdwa v241, v30 dst_sel:DWORD dst_unused:UNUSED_PAD src0_sel:WORD_1
	s_nop 2
	v_cvt_f16_f32_e32 v26, v26
	v_cvt_f16_f32_e32 v27, v27
	;; [unrolled: 1-line block ×4, first 2 shown]
	s_waitcnt lgkmcnt(0)
	v_perm_b32 v33, v37, v33, s63
	v_perm_b32 v32, v36, v32, s63
	v_cvt_f32_f16_e32 v26, v26
	v_cvt_f32_f16_e32 v27, v27
	;; [unrolled: 1-line block ×4, first 2 shown]
	s_nop 1
	v_mfma_f32_16x16x16_f16 v[26:29], v[32:33], v[138:139], v[26:29]
	ds_read_u16 v32, v151 offset:11616
	ds_read_u16 v36, v151 offset:11856
	;; [unrolled: 1-line block ×4, first 2 shown]
	s_nop 3
	v_cvt_f16_f32_e32 v26, v26
	v_cvt_f16_f32_e32 v27, v27
	;; [unrolled: 1-line block ×4, first 2 shown]
	s_waitcnt lgkmcnt(0)
	v_perm_b32 v33, v37, v33, s63
	v_perm_b32 v32, v36, v32, s63
	v_cvt_f32_f16_e32 v26, v26
	v_cvt_f32_f16_e32 v27, v27
	;; [unrolled: 1-line block ×4, first 2 shown]
	s_nop 1
	v_mfma_f32_16x16x16_f16 v[26:29], v[32:33], v[132:133], v[26:29]
	ds_read_u16 v32, v151 offset:128
	ds_read_u16 v33, v151 offset:368
	;; [unrolled: 1-line block ×4, first 2 shown]
	s_waitcnt lgkmcnt(2)
	v_perm_b32 v30, v33, v32, s63
	s_waitcnt lgkmcnt(0)
	v_perm_b32 v31, v37, v36, s63
	s_nop 1
	v_mfma_f32_16x16x16_f16 v[30:33], v[30:31], v[134:135], v[238:241]
	ds_read_u16 v36, v151 offset:3968
	ds_read_u16 v42, v151 offset:4208
	;; [unrolled: 1-line block ×4, first 2 shown]
	v_cvt_f32_f16_sdwa v239, v35 dst_sel:DWORD dst_unused:UNUSED_PAD src0_sel:WORD_1
	v_cvt_f32_f16_e32 v240, v34
	s_nop 1
	v_cvt_f16_f32_e32 v30, v30
	v_cvt_f16_f32_e32 v31, v31
	;; [unrolled: 1-line block ×4, first 2 shown]
	s_waitcnt lgkmcnt(0)
	v_perm_b32 v37, v238, v37, s63
	v_perm_b32 v36, v42, v36, s63
	v_cvt_f32_f16_e32 v30, v30
	v_cvt_f32_f16_e32 v31, v31
	v_cvt_f32_f16_e32 v32, v32
	v_cvt_f32_f16_e32 v33, v33
	v_cvt_f32_f16_sdwa v241, v34 dst_sel:DWORD dst_unused:UNUSED_PAD src0_sel:WORD_1
	s_nop 0
	v_mfma_f32_16x16x16_f16 v[30:33], v[36:37], v[136:137], v[30:33]
	ds_read_u16 v36, v151 offset:7808
	ds_read_u16 v42, v151 offset:8048
	;; [unrolled: 1-line block ×4, first 2 shown]
	s_nop 3
	v_cvt_f16_f32_e32 v30, v30
	v_cvt_f16_f32_e32 v31, v31
	;; [unrolled: 1-line block ×4, first 2 shown]
	s_waitcnt lgkmcnt(0)
	v_perm_b32 v37, v238, v37, s63
	v_perm_b32 v36, v42, v36, s63
	v_cvt_f32_f16_e32 v30, v30
	v_cvt_f32_f16_e32 v31, v31
	;; [unrolled: 1-line block ×4, first 2 shown]
	s_nop 1
	v_mfma_f32_16x16x16_f16 v[30:33], v[36:37], v[138:139], v[30:33]
	ds_read_u16 v36, v151 offset:11648
	ds_read_u16 v42, v151 offset:11888
	ds_read_u16 v37, v152 offset:11648
	ds_read_u16 v238, v153 offset:11648
	s_nop 3
	v_cvt_f16_f32_e32 v30, v30
	v_cvt_f16_f32_e32 v31, v31
	;; [unrolled: 1-line block ×4, first 2 shown]
	s_waitcnt lgkmcnt(0)
	v_perm_b32 v37, v238, v37, s63
	v_perm_b32 v36, v42, v36, s63
	v_cvt_f32_f16_e32 v30, v30
	v_cvt_f32_f16_e32 v31, v31
	;; [unrolled: 1-line block ×5, first 2 shown]
	s_nop 0
	v_mfma_f32_16x16x16_f16 v[30:33], v[36:37], v[132:133], v[30:33]
	ds_read_u16 v36, v151 offset:160
	ds_read_u16 v37, v151 offset:400
	;; [unrolled: 1-line block ×4, first 2 shown]
	s_waitcnt lgkmcnt(2)
	v_perm_b32 v34, v37, v36, s63
	s_waitcnt lgkmcnt(0)
	v_perm_b32 v35, v242, v42, s63
	s_nop 1
	v_mfma_f32_16x16x16_f16 v[34:37], v[34:35], v[134:135], v[238:241]
	ds_read_u16 v42, v151 offset:4000
	s_nop 1
	ds_read_u16 v238, v151 offset:4240
	ds_read_u16 v239, v152 offset:4000
	;; [unrolled: 1-line block ×3, first 2 shown]
	v_cvt_f32_f16_sdwa v241, v236 dst_sel:DWORD dst_unused:UNUSED_PAD src0_sel:WORD_1
	s_nop 0
	v_cvt_f16_f32_e32 v34, v34
	v_cvt_f16_f32_e32 v35, v35
	;; [unrolled: 1-line block ×4, first 2 shown]
	s_waitcnt lgkmcnt(0)
	v_perm_b32 v239, v240, v239, s63
	v_perm_b32 v238, v238, v42, s63
	v_cvt_f32_f16_e32 v34, v34
	v_cvt_f32_f16_e32 v35, v35
	v_cvt_f32_f16_e32 v36, v36
	v_cvt_f32_f16_e32 v37, v37
	s_nop 1
	v_mfma_f32_16x16x16_f16 v[34:37], v[238:239], v[136:137], v[34:37]
	ds_read_u16 v42, v151 offset:7840
	ds_read_u16 v238, v151 offset:8080
	;; [unrolled: 1-line block ×4, first 2 shown]
	s_nop 3
	v_cvt_f16_f32_e32 v34, v34
	v_cvt_f16_f32_e32 v35, v35
	v_cvt_f16_f32_e32 v36, v36
	v_cvt_f16_f32_e32 v37, v37
	s_waitcnt lgkmcnt(0)
	v_perm_b32 v239, v240, v239, s63
	v_perm_b32 v238, v238, v42, s63
	v_cvt_f32_f16_e32 v34, v34
	v_cvt_f32_f16_e32 v35, v35
	;; [unrolled: 1-line block ×4, first 2 shown]
	s_nop 1
	v_mfma_f32_16x16x16_f16 v[34:37], v[238:239], v[138:139], v[34:37]
	ds_read_u16 v42, v151 offset:11680
	ds_read_u16 v238, v151 offset:11920
	;; [unrolled: 1-line block ×4, first 2 shown]
	s_nop 3
	v_cvt_f16_f32_e32 v34, v34
	v_cvt_f16_f32_e32 v35, v35
	;; [unrolled: 1-line block ×4, first 2 shown]
	s_waitcnt lgkmcnt(0)
	v_perm_b32 v239, v240, v239, s63
	v_perm_b32 v238, v238, v42, s63
	ds_read_u16 v42, v151 offset:192
	ds_read_u16 v242, v151 offset:432
	;; [unrolled: 1-line block ×4, first 2 shown]
	v_cvt_f32_f16_e32 v34, v34
	v_cvt_f32_f16_e32 v35, v35
	;; [unrolled: 1-line block ×5, first 2 shown]
	s_waitcnt lgkmcnt(2)
	v_perm_b32 v236, v242, v42, s63
	v_mfma_f32_16x16x16_f16 v[34:37], v[238:239], v[132:133], v[34:37]
	v_cvt_f32_f16_e32 v238, v237
	v_cvt_f32_f16_sdwa v239, v237 dst_sel:DWORD dst_unused:UNUSED_PAD src0_sel:WORD_1
	s_waitcnt lgkmcnt(0)
	v_perm_b32 v237, v244, v243, s63
	s_nop 1
	v_mfma_f32_16x16x16_f16 v[236:239], v[236:237], v[134:135], v[238:241]
	s_nop 2
	ds_read_u16 v240, v151 offset:4032
	ds_read_u16 v241, v151 offset:4272
	;; [unrolled: 1-line block ×4, first 2 shown]
	s_nop 0
	v_cvt_f16_f32_e32 v134, v237
	v_cvt_f16_f32_e32 v135, v238
	;; [unrolled: 1-line block ×4, first 2 shown]
	v_cvt_f32_f16_e32 v237, v134
	v_cvt_f32_f16_e32 v238, v135
	s_waitcnt lgkmcnt(0)
	v_perm_b32 v135, v243, v242, s63
	v_perm_b32 v134, v241, v240, s63
	v_cvt_f32_f16_e32 v236, v42
	v_cvt_f32_f16_e32 v239, v239
	s_nop 1
	v_mfma_f32_16x16x16_f16 v[134:137], v[134:135], v[136:137], v[236:239]
	s_nop 2
	ds_read_u16 v236, v151 offset:7872
	ds_read_u16 v238, v151 offset:8112
	;; [unrolled: 1-line block ×4, first 2 shown]
	s_nop 0
	v_cvt_f16_f32_e32 v42, v134
	v_cvt_f16_f32_e32 v135, v135
	;; [unrolled: 1-line block ×4, first 2 shown]
	s_waitcnt lgkmcnt(0)
	v_perm_b32 v237, v239, v237, s63
	v_perm_b32 v236, v238, v236, s63
	v_cvt_f32_f16_e32 v134, v42
	v_cvt_f32_f16_e32 v135, v135
	;; [unrolled: 1-line block ×4, first 2 shown]
	s_nop 1
	v_mfma_f32_16x16x16_f16 v[136:139], v[236:237], v[138:139], v[134:137]
	s_nop 7
	v_cvt_f16_f32_e32 v135, v136
	v_cvt_f16_f32_e32 v136, v137
	;; [unrolled: 1-line block ×4, first 2 shown]
	ds_read_u16 v42, v151 offset:11712
	ds_read_u16 v134, v151 offset:11952
	;; [unrolled: 1-line block ×4, first 2 shown]
	v_cvt_f32_f16_e32 v238, v135
	v_cvt_f32_f16_e32 v239, v136
	s_waitcnt lgkmcnt(2)
	v_perm_b32 v134, v134, v42, s63
	v_cvt_f32_f16_e32 v240, v137
	s_waitcnt lgkmcnt(0)
	v_perm_b32 v135, v236, v139, s63
	v_cvt_f32_f16_e32 v241, v138
	v_cvt_pk_f16_f32 v137, v26, v27
	v_cvt_pk_f16_f32 v136, v28, v29
	v_mfma_f32_16x16x16_f16 v[236:239], v[134:135], v[132:133], v[238:241]
	v_cvt_pk_f16_f32 v132, v34, v35
	v_cvt_pk_f16_f32 v133, v36, v37
	;; [unrolled: 1-line block ×12, first 2 shown]
	s_barrier
	s_cbranch_scc0 .LBB19_82
; %bb.79:                               ;   in Loop: Header=BB19_74 Depth=2
	v_mov_b32_e32 v28, v232
	v_mov_b32_e32 v34, v233
	s_branch .LBB19_74
.LBB19_80:                              ;   in Loop: Header=BB19_11 Depth=1
	s_mov_b64 s[8:9], 0
                                        ; implicit-def: $vgpr2_vgpr3
                                        ; implicit-def: $vgpr103
	s_cbranch_execnz .LBB19_154
	s_branch .LBB19_294
.LBB19_81:                              ;   in Loop: Header=BB19_11 Depth=1
	v_mov_b32_e32 v233, 0xfeffffff
	v_mov_b32_e32 v232, 0
	;; [unrolled: 1-line block ×16, first 2 shown]
.LBB19_82:                              ;   in Loop: Header=BB19_11 Depth=1
	s_lshl_b32 s6, s72, 6
	s_ashr_i32 s7, s6, 31
	s_lshl_b64 s[4:5], s[6:7], 1
	v_lshl_add_u64 v[14:15], v[112:113], 0, s[4:5]
	v_lshlrev_b32_e32 v42, 1, v94
	v_lshl_add_u64 v[14:15], v[14:15], 0, v[42:43]
	v_lshl_add_u64 v[16:17], v[126:127], 1, v[14:15]
	;; [unrolled: 1-line block ×3, first 2 shown]
	global_load_dword v16, v[16:17], off
	s_nop 0
	global_load_dword v14, v[14:15], off
	s_mul_hi_i32 s5, s34, s6
	s_mul_i32 s4, s34, s6
	v_add_u32_e32 v15, v198, v196
	s_lshl_b64 s[4:5], s[4:5], 2
	s_waitcnt vmcnt(1)
	ds_write_b32 v15, v16 offset:15360
	s_waitcnt vmcnt(0)
	ds_write_b32 v15, v14 offset:16512
	v_lshl_add_u64 v[16:17], v[110:111], 0, s[4:5]
	s_and_saveexec_b64 s[8:9], s[0:1]
	s_cbranch_execz .LBB19_84
; %bb.83:                               ;   in Loop: Header=BB19_11 Depth=1
	v_lshl_add_u64 v[14:15], v[56:57], 2, v[16:17]
	v_lshlrev_b32_e32 v42, 2, v54
	v_lshl_add_u64 v[14:15], v[14:15], 0, v[42:43]
	global_load_dwordx4 v[18:21], v[14:15], off offset:192
	s_waitcnt vmcnt(0)
	ds_write_b128 v99, v[18:21]
.LBB19_84:                              ;   in Loop: Header=BB19_11 Depth=1
	s_or_b64 exec, exec, s[8:9]
	v_lshl_add_u64 v[14:15], v[44:45], 2, v[16:17]
	v_lshlrev_b32_e32 v42, 2, v46
	v_lshl_add_u64 v[18:19], v[14:15], 0, v[42:43]
	v_lshl_add_u64 v[20:21], v[50:51], 2, v[16:17]
	v_lshlrev_b32_e32 v14, 2, v48
	v_mov_b32_e32 v15, v43
	v_lshl_add_u64 v[16:17], v[52:53], 2, v[16:17]
	v_lshl_add_u64 v[20:21], v[20:21], 0, v[14:15]
	;; [unrolled: 1-line block ×3, first 2 shown]
	global_load_dwordx4 v[16:19], v[18:19], off offset:128
	s_nop 0
	global_load_dwordx4 v[20:23], v[20:21], off
	s_nop 0
	global_load_dwordx4 v[24:27], v[24:25], off
	v_add_u32_e32 v28, 0x800, v199
	v_add_u32_e32 v34, 0x1800, v199
	;; [unrolled: 1-line block ×4, first 2 shown]
	s_mul_hi_i32 s5, s6, s30
	s_mul_i32 s4, s6, s30
	s_lshl_b64 s[4:5], s[4:5], 2
	s_waitcnt vmcnt(2)
	ds_write_b128 v69, v[16:19]
	s_waitcnt vmcnt(1)
	ds_write_b128 v91, v[20:23]
	;; [unrolled: 2-line block ×3, first 2 shown]
	s_waitcnt lgkmcnt(0)
	s_barrier
	ds_read2_b64 v[16:19], v199 offset1:4
	ds_read2_b64 v[24:27], v28 offset0:224 offset1:228
	ds_read2_b64 v[234:237], v34 offset0:192 offset1:196
	;; [unrolled: 1-line block ×3, first 2 shown]
	s_waitcnt lgkmcnt(3)
	v_mfma_f32_16x16x16_f16 v[20:23], v[16:17], v[10:11], 0
	s_waitcnt lgkmcnt(2)
	v_mfma_f32_16x16x16_f16 v[126:129], v[24:25], v[10:11], 0
	;; [unrolled: 2-line block ×4, first 2 shown]
	v_mfma_f32_16x16x16_f16 v[16:19], v[18:19], v[12:13], v[20:23]
	v_mfma_f32_16x16x16_f16 v[20:23], v[26:27], v[12:13], v[126:129]
	s_nop 2
	ds_read2_b64 v[126:129], v199 offset0:8 offset1:12
	v_mfma_f32_16x16x16_f16 v[24:27], v[236:237], v[12:13], v[238:241]
	ds_read2_b64 v[234:237], v28 offset0:232 offset1:236
	v_mfma_f32_16x16x16_f16 v[10:13], v[244:245], v[12:13], v[246:249]
	s_nop 0
	ds_read2_b64 v[238:241], v34 offset0:200 offset1:204
	ds_read2_b64 v[242:245], v35 offset0:168 offset1:172
	s_waitcnt lgkmcnt(3)
	v_mfma_f32_16x16x16_f16 v[16:19], v[126:127], v[6:7], v[16:19]
	s_waitcnt lgkmcnt(2)
	v_mfma_f32_16x16x16_f16 v[20:23], v[234:235], v[6:7], v[20:23]
	;; [unrolled: 2-line block ×4, first 2 shown]
	v_add_u32_e32 v242, 0x3c00, v202
	v_mfma_f32_16x16x16_f16 v[16:19], v[128:129], v[8:9], v[16:19]
	ds_read2_b64 v[126:129], v199 offset0:16 offset1:20
	v_mfma_f32_16x16x16_f16 v[20:23], v[236:237], v[8:9], v[20:23]
	ds_read2_b64 v[234:237], v34 offset0:208 offset1:212
	;; [unrolled: 2-line block ×3, first 2 shown]
	v_mfma_f32_16x16x16_f16 v[6:9], v[244:245], v[8:9], v[10:13]
	s_nop 2
	ds_read2_b64 v[10:13], v28 offset0:240 offset1:244
	s_waitcnt lgkmcnt(3)
	v_mfma_f32_16x16x16_f16 v[16:19], v[126:127], v[2:3], v[16:19]
	v_add_u32_e32 v28, 0x3c00, v200
	s_waitcnt lgkmcnt(0)
	v_mfma_f32_16x16x16_f16 v[20:23], v[10:11], v[2:3], v[20:23]
	v_mfma_f32_16x16x16_f16 v[24:27], v[234:235], v[2:3], v[24:27]
	ds_read_b64 v[34:35], v199 offset:192
	ds_read_b64 v[126:127], v199 offset:4032
	;; [unrolled: 1-line block ×4, first 2 shown]
	s_waitcnt lgkmcnt(0)
	s_barrier
	v_mfma_f32_16x16x16_f16 v[6:9], v[238:239], v[2:3], v[6:9]
	v_mfma_f32_16x16x16_f16 v[16:19], v[128:129], v[4:5], v[16:19]
	ds_read_b32 v2, v101 offset:15360
	ds_read_b32 v3, v150 offset:15360
	ds_read2_b32 v[128:129], v28 offset1:1
	ds_read2_b32 v[238:239], v37 offset1:1
	;; [unrolled: 1-line block ×3, first 2 shown]
	s_waitcnt lgkmcnt(4)
	v_cvt_f32_f16_e32 v28, v2
	v_cvt_f32_f16_sdwa v37, v2 dst_sel:DWORD dst_unused:UNUSED_PAD src0_sel:WORD_1
	v_mfma_f32_16x16x16_f16 v[10:13], v[12:13], v[4:5], v[20:23]
	s_waitcnt lgkmcnt(3)
	v_cvt_f32_f16_e32 v244, v3
	v_cvt_f32_f16_sdwa v245, v3 dst_sel:DWORD dst_unused:UNUSED_PAD src0_sel:WORD_1
	s_waitcnt lgkmcnt(2)
	v_cvt_f32_f16_e32 v246, v129
	v_mfma_f32_16x16x16_f16 v[20:23], v[236:237], v[4:5], v[24:27]
	s_waitcnt lgkmcnt(1)
	v_cvt_f32_f16_e32 v247, v239
	v_cvt_f32_f16_sdwa v239, v239 dst_sel:DWORD dst_unused:UNUSED_PAD src0_sel:WORD_1
	s_waitcnt lgkmcnt(0)
	v_cvt_f32_f16_e32 v248, v242
	v_mfma_f32_16x16x16_f16 v[2:5], v[240:241], v[4:5], v[6:9]
	v_cvt_f32_f16_e32 v240, v128
	v_cvt_f32_f16_sdwa v241, v128 dst_sel:DWORD dst_unused:UNUSED_PAD src0_sel:WORD_1
	v_mfma_f32_16x16x16_f16 v[6:9], v[34:35], v[124:125], v[16:19]
	v_cvt_f32_f16_sdwa v34, v129 dst_sel:DWORD dst_unused:UNUSED_PAD src0_sel:WORD_1
	v_cvt_f32_f16_e32 v35, v238
	v_cvt_f32_f16_sdwa v238, v238 dst_sel:DWORD dst_unused:UNUSED_PAD src0_sel:WORD_1
	v_mfma_f32_16x16x16_f16 v[24:27], v[126:127], v[124:125], v[10:13]
	v_mfma_f32_16x16x16_f16 v[126:129], v[130:131], v[124:125], v[20:23]
	s_nop 2
	v_add_f32_e32 v18, v7, v37
	v_add_f32_e32 v19, v8, v244
	s_nop 1
	v_add_f32_e32 v17, v24, v240
	v_cvt_f32_f16_sdwa v22, v242 dst_sel:DWORD dst_unused:UNUSED_PAD src0_sel:WORD_1
	v_cvt_f32_f16_e32 v23, v243
	v_mfma_f32_16x16x16_f16 v[234:237], v[234:235], v[124:125], v[2:5]
	v_add_f32_e32 v21, v6, v28
	v_add_f32_e32 v20, v9, v245
	;; [unrolled: 1-line block ×5, first 2 shown]
	s_nop 2
	v_add_f32_e32 v6, v235, v22
	v_add_f32_e32 v5, v236, v23
	;; [unrolled: 1-line block ×4, first 2 shown]
	v_max3_f32 v2, v233, v2, v3
	v_cvt_f32_f16_sdwa v130, v243 dst_sel:DWORD dst_unused:UNUSED_PAD src0_sel:WORD_1
	v_add_f32_e32 v13, v26, v246
	v_add_f32_e32 v12, v27, v34
	v_add_f32_e32 v24, 0x40051340, v17
	v_add_f32_e32 v25, 0x40051340, v16
	v_max3_f32 v2, v2, v22, v23
	v_add_f32_e32 v11, v126, v35
	v_add_f32_e32 v10, v127, v238
	v_add_f32_e32 v26, 0x40051340, v13
	v_add_f32_e32 v27, 0x40051340, v12
	v_max3_f32 v2, v2, v24, v25
	;; [unrolled: 5-line block ×3, first 2 shown]
	v_add_f32_e32 v7, v234, v248
	v_add_f32_e32 v35, 0x40051340, v9
	;; [unrolled: 1-line block ×3, first 2 shown]
	v_max3_f32 v2, v2, v28, v34
	v_add_f32_e32 v4, v237, v130
	v_add_f32_e32 v124, 0x40051340, v7
	v_max3_f32 v2, v2, v35, v37
	v_add_f32_e32 v3, 0x40051340, v6
	v_max3_f32 v2, v2, v124, v3
	v_add_f32_e32 v3, 0x40051340, v5
	v_add_f32_e32 v22, 0x40051340, v4
	v_max3_f32 v2, v2, v3, v22
	v_and_b32_e32 v3, 64, v222
	v_add_u32_e32 v3, 64, v3
	v_xor_b32_e32 v22, 32, v222
	v_cmp_lt_i32_e32 vcc, v22, v3
	s_nop 1
	v_cndmask_b32_e32 v22, v222, v22, vcc
	v_lshlrev_b32_e32 v124, 2, v22
	ds_bpermute_b32 v22, v124, v2
	s_waitcnt lgkmcnt(0)
	v_max_f32_e32 v22, v22, v22
	v_max_f32_e32 v22, v2, v22
	v_xor_b32_e32 v2, 16, v222
	v_cmp_lt_i32_e32 vcc, v2, v3
	s_nop 1
	v_cndmask_b32_e32 v2, v222, v2, vcc
	v_lshlrev_b32_e32 v37, 2, v2
	ds_bpermute_b32 v23, v37, v22
	v_lshl_add_u64 v[2:3], v[108:109], 0, s[4:5]
	s_and_saveexec_b64 s[6:7], s[0:1]
	s_cbranch_execz .LBB19_86
; %bb.85:                               ;   in Loop: Header=BB19_11 Depth=1
	v_lshl_add_u64 v[24:25], v[58:59], 2, v[2:3]
	v_lshlrev_b32_e32 v26, 2, v54
	v_mov_b32_e32 v27, v43
	v_lshl_add_u64 v[24:25], v[24:25], 0, v[26:27]
	global_load_dwordx4 v[24:27], v[24:25], off offset:192
	s_waitcnt vmcnt(0)
	ds_write_b128 v99, v[24:27]
.LBB19_86:                              ;   in Loop: Header=BB19_11 Depth=1
	s_or_b64 exec, exec, s[6:7]
	s_waitcnt lgkmcnt(0)
	v_max_f32_e32 v23, v23, v23
	v_max_f32_e32 v22, v22, v22
	v_max_f32_e32 v28, v22, v23
	v_sub_f32_e32 v21, v21, v28
	v_mul_f32_e32 v22, 0x3fb8aa3b, v21
	v_fma_f32 v23, v21, s43, -v22
	v_rndne_f32_e32 v24, v22
	v_fmac_f32_e32 v23, 0x32a5705f, v21
	v_sub_f32_e32 v22, v22, v24
	v_add_f32_e32 v22, v22, v23
	v_exp_f32_e32 v22, v22
	v_cvt_i32_f32_e32 v23, v24
	v_cmp_ngt_f32_e32 vcc, s58, v21
	v_sub_f32_e32 v17, v17, v28
	v_sub_f32_e32 v16, v16, v28
	v_ldexp_f32 v22, v22, v23
	v_sub_f32_e32 v23, v18, v28
	v_mul_f32_e32 v18, 0x3fb8aa3b, v23
	v_fma_f32 v24, v23, s43, -v18
	v_rndne_f32_e32 v25, v18
	v_fmac_f32_e32 v24, 0x32a5705f, v23
	v_sub_f32_e32 v18, v18, v25
	v_add_f32_e32 v18, v18, v24
	v_exp_f32_e32 v24, v18
	v_cvt_i32_f32_e32 v25, v25
	v_cndmask_b32_e32 v18, 0, v22, vcc
	v_sub_f32_e32 v22, v19, v28
	v_mul_f32_e32 v19, 0x3fb8aa3b, v22
	v_cmp_nlt_f32_e32 vcc, s59, v21
	v_ldexp_f32 v21, v24, v25
	v_fma_f32 v24, v22, s43, -v19
	v_rndne_f32_e32 v25, v19
	v_fmac_f32_e32 v24, 0x32a5705f, v22
	v_sub_f32_e32 v19, v19, v25
	v_add_f32_e32 v19, v19, v24
	v_exp_f32_e32 v24, v19
	v_cvt_i32_f32_e32 v25, v25
	v_cndmask_b32_e32 v18, v223, v18, vcc
	v_cmp_ngt_f32_e32 vcc, s58, v23
	v_sub_f32_e32 v13, v13, v28
	v_sub_f32_e32 v12, v12, v28
	v_cndmask_b32_e32 v19, 0, v21, vcc
	v_cmp_nlt_f32_e32 vcc, s59, v23
	v_sub_f32_e32 v23, v20, v28
	v_mul_f32_e32 v20, 0x3fb8aa3b, v23
	v_ldexp_f32 v21, v24, v25
	v_fma_f32 v24, v23, s43, -v20
	v_rndne_f32_e32 v25, v20
	v_fmac_f32_e32 v24, 0x32a5705f, v23
	v_sub_f32_e32 v20, v20, v25
	v_add_f32_e32 v20, v20, v24
	v_exp_f32_e32 v24, v20
	v_cvt_i32_f32_e32 v25, v25
	v_cndmask_b32_e32 v19, v223, v19, vcc
	v_cmp_ngt_f32_e32 vcc, s58, v22
	v_sub_f32_e32 v11, v11, v28
	v_sub_f32_e32 v10, v10, v28
	v_cndmask_b32_e32 v20, 0, v21, vcc
	v_cmp_nlt_f32_e32 vcc, s59, v22
	v_mul_f32_e32 v22, 0x3fb8aa3b, v17
	v_ldexp_f32 v21, v24, v25
	v_fma_f32 v24, v17, s43, -v22
	v_rndne_f32_e32 v25, v22
	v_fmac_f32_e32 v24, 0x32a5705f, v17
	v_sub_f32_e32 v22, v22, v25
	v_add_f32_e32 v22, v22, v24
	v_exp_f32_e32 v22, v22
	v_cvt_i32_f32_e32 v24, v25
	v_cndmask_b32_e32 v20, v223, v20, vcc
	v_cmp_ngt_f32_e32 vcc, s58, v23
	v_sub_f32_e32 v9, v9, v28
	v_ldexp_f32 v22, v22, v24
	v_cndmask_b32_e32 v21, 0, v21, vcc
	v_cmp_nlt_f32_e32 vcc, s59, v23
	v_mul_f32_e32 v23, 0x3fb8aa3b, v16
	v_fma_f32 v24, v16, s43, -v23
	v_rndne_f32_e32 v25, v23
	v_fmac_f32_e32 v24, 0x32a5705f, v16
	v_sub_f32_e32 v23, v23, v25
	v_add_f32_e32 v23, v23, v24
	v_exp_f32_e32 v23, v23
	v_cvt_i32_f32_e32 v24, v25
	v_cndmask_b32_e32 v21, v223, v21, vcc
	v_cmp_ngt_f32_e32 vcc, s58, v17
	v_sub_f32_e32 v7, v7, v28
	v_mul_f32_e32 v26, 0x3fb8aa3b, v7
	v_cndmask_b32_e32 v22, 0, v22, vcc
	v_cmp_nlt_f32_e32 vcc, s59, v17
	v_ldexp_f32 v17, v23, v24
	v_mul_f32_e32 v23, 0x3fb8aa3b, v13
	v_fma_f32 v24, v13, s43, -v23
	v_rndne_f32_e32 v25, v23
	v_fmac_f32_e32 v24, 0x32a5705f, v13
	v_sub_f32_e32 v23, v23, v25
	v_add_f32_e32 v23, v23, v24
	v_exp_f32_e32 v24, v23
	v_cvt_i32_f32_e32 v25, v25
	v_cndmask_b32_e32 v22, v223, v22, vcc
	v_cmp_ngt_f32_e32 vcc, s58, v16
	v_fma_f32 v27, v7, s43, -v26
	v_fmac_f32_e32 v27, 0x32a5705f, v7
	v_cndmask_b32_e32 v17, 0, v17, vcc
	v_cmp_nlt_f32_e32 vcc, s59, v16
	v_ldexp_f32 v16, v24, v25
	v_sub_f32_e32 v5, v5, v28
	v_cndmask_b32_e32 v23, v223, v17, vcc
	v_mul_f32_e32 v17, 0x3fb8aa3b, v12
	v_fma_f32 v24, v12, s43, -v17
	v_rndne_f32_e32 v25, v17
	v_fmac_f32_e32 v24, 0x32a5705f, v12
	v_sub_f32_e32 v17, v17, v25
	v_add_f32_e32 v17, v17, v24
	v_exp_f32_e32 v17, v17
	v_cvt_i32_f32_e32 v25, v25
	v_cmp_ngt_f32_e32 vcc, s58, v13
	v_cvt_pk_f16_f32 v34, v22, v23
	s_nop 0
	v_cndmask_b32_e32 v16, 0, v16, vcc
	v_cmp_nlt_f32_e32 vcc, s59, v13
	v_ldexp_f32 v13, v17, v25
	s_nop 0
	v_cndmask_b32_e32 v24, v223, v16, vcc
	v_mul_f32_e32 v16, 0x3fb8aa3b, v11
	v_fma_f32 v17, v11, s43, -v16
	v_rndne_f32_e32 v25, v16
	v_fmac_f32_e32 v17, 0x32a5705f, v11
	v_sub_f32_e32 v16, v16, v25
	v_add_f32_e32 v16, v16, v17
	v_exp_f32_e32 v16, v16
	v_cvt_i32_f32_e32 v17, v25
	v_cmp_ngt_f32_e32 vcc, s58, v12
	s_nop 1
	v_cndmask_b32_e32 v13, 0, v13, vcc
	v_cmp_nlt_f32_e32 vcc, s59, v12
	v_ldexp_f32 v12, v16, v17
	s_nop 0
	v_cndmask_b32_e32 v25, v223, v13, vcc
	v_mul_f32_e32 v13, 0x3fb8aa3b, v10
	v_fma_f32 v16, v10, s43, -v13
	v_rndne_f32_e32 v17, v13
	v_fmac_f32_e32 v16, 0x32a5705f, v10
	v_sub_f32_e32 v13, v13, v17
	v_add_f32_e32 v13, v13, v16
	v_exp_f32_e32 v13, v13
	v_cvt_i32_f32_e32 v16, v17
	v_cmp_ngt_f32_e32 vcc, s58, v11
	v_cvt_pk_f16_f32 v35, v24, v25
	s_nop 0
	v_cndmask_b32_e32 v12, 0, v12, vcc
	v_cmp_nlt_f32_e32 vcc, s59, v11
	v_ldexp_f32 v11, v13, v16
	s_nop 0
	v_cndmask_b32_e32 v125, v223, v12, vcc
	v_mul_f32_e32 v12, 0x3fb8aa3b, v9
	v_fma_f32 v13, v9, s43, -v12
	v_rndne_f32_e32 v16, v12
	v_fmac_f32_e32 v13, 0x32a5705f, v9
	v_sub_f32_e32 v12, v12, v16
	v_add_f32_e32 v12, v12, v13
	v_exp_f32_e32 v12, v12
	v_cvt_i32_f32_e32 v13, v16
	v_cmp_ngt_f32_e32 vcc, s58, v10
	v_sub_f32_e32 v16, v8, v28
	v_mul_f32_e32 v8, 0x3fb8aa3b, v16
	v_cndmask_b32_e32 v11, 0, v11, vcc
	v_cmp_nlt_f32_e32 vcc, s59, v10
	v_ldexp_f32 v10, v12, v13
	v_rndne_f32_e32 v12, v8
	v_cndmask_b32_e32 v126, v223, v11, vcc
	v_fma_f32 v11, v16, s43, -v8
	v_fmac_f32_e32 v11, 0x32a5705f, v16
	v_sub_f32_e32 v8, v8, v12
	v_add_f32_e32 v8, v8, v11
	v_exp_f32_e32 v8, v8
	v_cvt_i32_f32_e32 v11, v12
	v_cmp_ngt_f32_e32 vcc, s58, v9
	v_lshl_add_u64 v[12:13], v[62:63], 2, v[2:3]
	v_lshl_add_u64 v[12:13], v[12:13], 0, v[14:15]
	v_cndmask_b32_e32 v10, 0, v10, vcc
	v_cmp_nlt_f32_e32 vcc, s59, v9
	v_ldexp_f32 v17, v8, v11
	v_lshl_add_u64 v[8:9], v[64:65], 2, v[2:3]
	v_lshl_add_u64 v[8:9], v[8:9], 0, v[42:43]
	v_cndmask_b32_e32 v127, v223, v10, vcc
	global_load_dwordx4 v[8:11], v[8:9], off offset:128
	v_lshl_add_u64 v[2:3], v[60:61], 2, v[2:3]
	global_load_dwordx4 v[236:239], v[12:13], off
	v_lshl_add_u64 v[2:3], v[2:3], 0, v[14:15]
	global_load_dwordx4 v[12:15], v[2:3], off
	v_rndne_f32_e32 v2, v26
	v_sub_f32_e32 v3, v26, v2
	v_add_f32_e32 v3, v3, v27
	v_exp_f32_e32 v3, v3
	v_cvt_i32_f32_e32 v2, v2
	v_cmp_ngt_f32_e32 vcc, s58, v16
	s_waitcnt vmcnt(2)
	ds_write_b128 v69, v[8:11]
	s_waitcnt vmcnt(1)
	ds_write_b128 v91, v[236:239]
	;; [unrolled: 2-line block ×3, first 2 shown]
	v_ldexp_f32 v2, v3, v2
	v_sub_f32_e32 v3, v6, v28
	v_cndmask_b32_e32 v17, 0, v17, vcc
	v_cmp_nlt_f32_e32 vcc, s59, v16
	v_mul_f32_e32 v6, 0x3fb8aa3b, v3
	v_fma_f32 v16, v3, s43, -v6
	v_cndmask_b32_e32 v42, v223, v17, vcc
	v_rndne_f32_e32 v17, v6
	v_fmac_f32_e32 v16, 0x32a5705f, v3
	v_sub_f32_e32 v6, v6, v17
	v_add_f32_e32 v6, v6, v16
	v_exp_f32_e32 v6, v6
	v_cvt_i32_f32_e32 v16, v17
	v_cmp_ngt_f32_e32 vcc, s58, v7
	s_waitcnt lgkmcnt(0)
	s_barrier
	v_cndmask_b32_e32 v2, 0, v2, vcc
	v_cmp_nlt_f32_e32 vcc, s59, v7
	s_nop 1
	v_cndmask_b32_e32 v128, v223, v2, vcc
	v_ldexp_f32 v2, v6, v16
	v_mul_f32_e32 v6, 0x3fb8aa3b, v5
	v_fma_f32 v7, v5, s43, -v6
	v_rndne_f32_e32 v16, v6
	v_fmac_f32_e32 v7, 0x32a5705f, v5
	v_sub_f32_e32 v6, v6, v16
	v_add_f32_e32 v6, v6, v7
	v_exp_f32_e32 v6, v6
	v_cvt_i32_f32_e32 v7, v16
	v_cmp_ngt_f32_e32 vcc, s58, v3
	s_nop 1
	v_cndmask_b32_e32 v2, 0, v2, vcc
	v_cmp_nlt_f32_e32 vcc, s59, v3
	v_sub_f32_e32 v3, v4, v28
	v_mul_f32_e32 v4, 0x3fb8aa3b, v3
	v_cndmask_b32_e32 v129, v223, v2, vcc
	v_ldexp_f32 v2, v6, v7
	v_cmp_ngt_f32_e32 vcc, s58, v5
	v_rndne_f32_e32 v6, v4
	v_cvt_pk_f16_f32 v26, v128, v129
	v_cndmask_b32_e32 v2, 0, v2, vcc
	v_cmp_nlt_f32_e32 vcc, s59, v5
	v_fma_f32 v5, v3, s43, -v4
	v_fmac_f32_e32 v5, 0x32a5705f, v3
	v_sub_f32_e32 v4, v4, v6
	v_add_f32_e32 v4, v4, v5
	v_cvt_i32_f32_e32 v5, v6
	v_sub_f32_e32 v6, v233, v28
	v_mul_f32_e32 v7, 0x3fb8aa3b, v6
	v_fma_f32 v16, v6, s43, -v7
	v_rndne_f32_e32 v17, v7
	v_fmac_f32_e32 v16, 0x32a5705f, v6
	v_sub_f32_e32 v7, v7, v17
	v_add_f32_e32 v7, v7, v16
	v_exp_f32_e32 v4, v4
	v_exp_f32_e32 v7, v7
	v_cvt_i32_f32_e32 v16, v17
	v_cndmask_b32_e32 v130, v223, v2, vcc
	v_ldexp_f32 v2, v4, v5
	v_cmp_ngt_f32_e64 s[6:7], s58, v6
	v_ldexp_f32 v4, v7, v16
	v_cmp_ngt_f32_e32 vcc, s58, v3
	v_cndmask_b32_e64 v4, 0, v4, s[6:7]
	v_cmp_nlt_f32_e64 s[6:7], s59, v6
	v_cndmask_b32_e32 v2, 0, v2, vcc
	v_cmp_nlt_f32_e32 vcc, s59, v3
	v_cndmask_b32_e64 v4, v223, v4, s[6:7]
	v_cmp_le_f32_e64 s[6:7], s62, v6
	ds_read_u16 v6, v151 offset:240
	ds_read_u16 v7, v152
	ds_read_u16 v8, v153
	;; [unrolled: 1-line block ×3, first 2 shown]
	v_cndmask_b32_e64 v131, 0, v4, s[6:7]
	v_cvt_f16_f32_e32 v4, v131
	v_cndmask_b32_e32 v234, v223, v2, vcc
	s_waitcnt lgkmcnt(1)
	v_perm_b32 v7, v8, v7, s63
	s_waitcnt lgkmcnt(0)
	v_perm_b32 v6, v6, v9, s63
	v_mul_u32_u24_e32 v233, 0x10001, v4
	v_pk_mul_f16 v3, v33, v233
	v_pk_mul_f16 v5, v32, v233
	v_cvt_f32_f16_e32 v2, v3
	v_cvt_f32_f16_sdwa v3, v3 dst_sel:DWORD dst_unused:UNUSED_PAD src0_sel:WORD_1
	v_cvt_f32_f16_e32 v4, v5
	v_cvt_f32_f16_sdwa v5, v5 dst_sel:DWORD dst_unused:UNUSED_PAD src0_sel:WORD_1
	v_pk_mul_f16 v16, v31, v233
	v_pk_mul_f16 v9, v30, v233
	v_cvt_pk_f16_f32 v31, v20, v21
	v_cvt_pk_f16_f32 v30, v18, v19
	;; [unrolled: 1-line block ×4, first 2 shown]
	v_mfma_f32_16x16x16_f16 v[2:5], v[6:7], v[30:31], v[2:5]
	ds_read_u16 v6, v151 offset:3840
	ds_read_u16 v7, v152 offset:3840
	;; [unrolled: 1-line block ×4, first 2 shown]
	v_cvt_pk_f16_f32 v27, v130, v234
	v_pk_mul_f16 v135, v135, v233
	s_nop 1
	v_cvt_f16_f32_e32 v2, v2
	v_cvt_f16_f32_e32 v3, v3
	;; [unrolled: 1-line block ×4, first 2 shown]
	s_waitcnt lgkmcnt(1)
	v_perm_b32 v7, v8, v7, s63
	s_waitcnt lgkmcnt(0)
	v_perm_b32 v6, v10, v6, s63
	v_cvt_f32_f16_e32 v2, v2
	v_cvt_f32_f16_e32 v3, v3
	;; [unrolled: 1-line block ×4, first 2 shown]
	ds_read_u16 v10, v152 offset:32
	v_pk_mul_f16 v235, v134, v233
	v_mfma_f32_16x16x16_f16 v[2:5], v[6:7], v[34:35], v[2:5]
	ds_read_u16 v6, v151 offset:7680
	ds_read_u16 v7, v152 offset:7680
	;; [unrolled: 1-line block ×4, first 2 shown]
	v_cvt_f32_f16_e32 v134, v135
	v_cvt_f32_f16_sdwa v135, v135 dst_sel:DWORD dst_unused:UNUSED_PAD src0_sel:WORD_1
	s_nop 1
	v_cvt_f16_f32_e32 v2, v2
	v_cvt_f16_f32_e32 v3, v3
	;; [unrolled: 1-line block ×4, first 2 shown]
	s_waitcnt lgkmcnt(1)
	v_perm_b32 v7, v8, v7, s63
	s_waitcnt lgkmcnt(0)
	v_perm_b32 v6, v11, v6, s63
	v_cvt_f32_f16_e32 v2, v2
	v_cvt_f32_f16_e32 v3, v3
	;; [unrolled: 1-line block ×4, first 2 shown]
	ds_read_u16 v11, v153 offset:32
	v_add_f32_e32 v18, v18, v19
	v_mfma_f32_16x16x16_f16 v[2:5], v[6:7], v[32:33], v[2:5]
	ds_read_u16 v6, v151 offset:11520
	ds_read_u16 v7, v152 offset:11520
	;; [unrolled: 1-line block ×5, first 2 shown]
	s_waitcnt lgkmcnt(5)
	v_perm_b32 v11, v11, v10, s63
	s_nop 0
	v_cvt_f16_f32_e32 v2, v2
	v_cvt_f16_f32_e32 v3, v3
	;; [unrolled: 1-line block ×4, first 2 shown]
	s_waitcnt lgkmcnt(1)
	v_perm_b32 v6, v12, v6, s63
	ds_read_u16 v12, v151 offset:32
	v_perm_b32 v7, v8, v7, s63
	v_cvt_f32_f16_e32 v2, v2
	v_cvt_f32_f16_e32 v3, v3
	v_cvt_f32_f16_e32 v4, v4
	v_cvt_f32_f16_e32 v5, v5
	s_waitcnt lgkmcnt(0)
	v_perm_b32 v10, v13, v12, s63
	v_cvt_f32_f16_e32 v8, v9
	v_mfma_f32_16x16x16_f16 v[2:5], v[6:7], v[26:27], v[2:5]
	v_cvt_f32_f16_e32 v6, v16
	v_cvt_f32_f16_sdwa v7, v16 dst_sel:DWORD dst_unused:UNUSED_PAD src0_sel:WORD_1
	v_cvt_f32_f16_sdwa v9, v9 dst_sel:DWORD dst_unused:UNUSED_PAD src0_sel:WORD_1
	v_add_f32_e32 v18, v20, v18
	v_pk_mul_f16 v36, v36, v233
	v_mfma_f32_16x16x16_f16 v[6:9], v[10:11], v[30:31], v[6:9]
	ds_read_u16 v10, v151 offset:3872
	ds_read_u16 v11, v152 offset:3872
	;; [unrolled: 1-line block ×4, first 2 shown]
	v_pk_mul_f16 v29, v29, v233
	v_cvt_f16_f32_e32 v4, v4
	s_nop 1
	v_cvt_f16_f32_e32 v6, v6
	v_cvt_f16_f32_e32 v7, v7
	;; [unrolled: 1-line block ×4, first 2 shown]
	s_waitcnt lgkmcnt(1)
	v_perm_b32 v11, v12, v11, s63
	s_waitcnt lgkmcnt(0)
	v_perm_b32 v10, v13, v10, s63
	v_cvt_f32_f16_e32 v6, v6
	v_cvt_f32_f16_e32 v7, v7
	;; [unrolled: 1-line block ×4, first 2 shown]
	v_cvt_f16_f32_e32 v5, v5
	v_cmp_eq_u64_e32 vcc, 0, v[106:107]
	v_mfma_f32_16x16x16_f16 v[6:9], v[10:11], v[34:35], v[6:9]
	ds_read_u16 v10, v151 offset:7712
	ds_read_u16 v11, v152 offset:7712
	;; [unrolled: 1-line block ×4, first 2 shown]
	v_perm_b32 v5, v5, v4, s63
	s_and_b64 vcc, exec, vcc
	s_nop 1
	v_cvt_f16_f32_e32 v6, v6
	v_cvt_f16_f32_e32 v7, v7
	;; [unrolled: 1-line block ×4, first 2 shown]
	s_waitcnt lgkmcnt(1)
	v_perm_b32 v11, v12, v11, s63
	s_waitcnt lgkmcnt(0)
	v_perm_b32 v10, v13, v10, s63
	v_cvt_f32_f16_e32 v6, v6
	v_cvt_f32_f16_e32 v7, v7
	;; [unrolled: 1-line block ×4, first 2 shown]
	s_nop 1
	v_mfma_f32_16x16x16_f16 v[6:9], v[10:11], v[32:33], v[6:9]
	ds_read_u16 v10, v151 offset:11552
	ds_read_u16 v11, v152 offset:11552
	;; [unrolled: 1-line block ×8, first 2 shown]
	v_cvt_f16_f32_e32 v6, v6
	v_cvt_f16_f32_e32 v7, v7
	;; [unrolled: 1-line block ×4, first 2 shown]
	s_waitcnt lgkmcnt(5)
	v_perm_b32 v11, v12, v11, s63
	s_waitcnt lgkmcnt(4)
	v_perm_b32 v10, v13, v10, s63
	v_cvt_f32_f16_e32 v6, v6
	v_cvt_f32_f16_e32 v7, v7
	;; [unrolled: 1-line block ×4, first 2 shown]
	v_pk_mul_f16 v12, v139, v233
	v_pk_mul_f16 v13, v138, v233
	s_waitcnt lgkmcnt(1)
	v_perm_b32 v15, v16, v15, s63
	s_waitcnt lgkmcnt(0)
	v_perm_b32 v14, v17, v14, s63
	v_mfma_f32_16x16x16_f16 v[6:9], v[10:11], v[26:27], v[6:9]
	v_cvt_f32_f16_e32 v10, v12
	v_cvt_f32_f16_sdwa v11, v12 dst_sel:DWORD dst_unused:UNUSED_PAD src0_sel:WORD_1
	v_cvt_f32_f16_e32 v12, v13
	v_cvt_f32_f16_sdwa v13, v13 dst_sel:DWORD dst_unused:UNUSED_PAD src0_sel:WORD_1
	s_nop 1
	v_mfma_f32_16x16x16_f16 v[10:13], v[14:15], v[30:31], v[10:13]
	ds_read_u16 v14, v151 offset:3904
	ds_read_u16 v15, v152 offset:3904
	;; [unrolled: 1-line block ×4, first 2 shown]
	s_nop 3
	v_cvt_f16_f32_e32 v10, v10
	v_cvt_f16_f32_e32 v11, v11
	;; [unrolled: 1-line block ×4, first 2 shown]
	s_waitcnt lgkmcnt(1)
	v_perm_b32 v15, v16, v15, s63
	s_waitcnt lgkmcnt(0)
	v_perm_b32 v14, v17, v14, s63
	v_cvt_f32_f16_e32 v10, v10
	v_cvt_f32_f16_e32 v11, v11
	;; [unrolled: 1-line block ×4, first 2 shown]
	s_nop 1
	v_mfma_f32_16x16x16_f16 v[10:13], v[14:15], v[34:35], v[10:13]
	ds_read_u16 v14, v151 offset:7744
	ds_read_u16 v15, v152 offset:7744
	;; [unrolled: 1-line block ×4, first 2 shown]
	s_nop 3
	v_cvt_f16_f32_e32 v10, v10
	v_cvt_f16_f32_e32 v11, v11
	;; [unrolled: 1-line block ×4, first 2 shown]
	s_waitcnt lgkmcnt(1)
	v_perm_b32 v15, v16, v15, s63
	s_waitcnt lgkmcnt(0)
	v_perm_b32 v14, v17, v14, s63
	v_cvt_f32_f16_e32 v10, v10
	v_cvt_f32_f16_e32 v11, v11
	;; [unrolled: 1-line block ×4, first 2 shown]
	s_nop 1
	v_mfma_f32_16x16x16_f16 v[10:13], v[14:15], v[32:33], v[10:13]
	ds_read_u16 v14, v151 offset:11584
	ds_read_u16 v15, v152 offset:11584
	;; [unrolled: 1-line block ×4, first 2 shown]
	s_nop 3
	v_cvt_f16_f32_e32 v10, v10
	v_cvt_f16_f32_e32 v11, v11
	;; [unrolled: 1-line block ×4, first 2 shown]
	s_waitcnt lgkmcnt(1)
	v_perm_b32 v15, v16, v15, s63
	s_waitcnt lgkmcnt(0)
	v_perm_b32 v14, v17, v14, s63
	v_pk_mul_f16 v16, v137, v233
	v_pk_mul_f16 v17, v136, v233
	ds_read_u16 v136, v151 offset:96
	ds_read_u16 v137, v152 offset:96
	;; [unrolled: 1-line block ×4, first 2 shown]
	v_cvt_f32_f16_e32 v10, v10
	v_cvt_f32_f16_e32 v11, v11
	v_cvt_f32_f16_e32 v12, v12
	v_cvt_f32_f16_e32 v13, v13
	s_waitcnt lgkmcnt(1)
	v_perm_b32 v137, v138, v137, s63
	s_waitcnt lgkmcnt(0)
	v_perm_b32 v136, v139, v136, s63
	v_mfma_f32_16x16x16_f16 v[10:13], v[14:15], v[26:27], v[10:13]
	v_cvt_f32_f16_e32 v14, v16
	v_cvt_f32_f16_sdwa v15, v16 dst_sel:DWORD dst_unused:UNUSED_PAD src0_sel:WORD_1
	v_cvt_f32_f16_e32 v16, v17
	v_cvt_f32_f16_sdwa v17, v17 dst_sel:DWORD dst_unused:UNUSED_PAD src0_sel:WORD_1
	s_nop 3
	v_cvt_f16_f32_e32 v12, v12
	v_cvt_f16_f32_e32 v13, v13
	v_mfma_f32_16x16x16_f16 v[14:17], v[136:137], v[30:31], v[14:17]
	ds_read_u16 v136, v151 offset:3936
	ds_read_u16 v137, v152 offset:3936
	ds_read_u16 v138, v153 offset:3936
	ds_read_u16 v139, v151 offset:4176
	s_nop 3
	v_cvt_f16_f32_e32 v14, v14
	v_cvt_f16_f32_e32 v15, v15
	v_cvt_f16_f32_e32 v16, v16
	v_cvt_f16_f32_e32 v17, v17
	s_waitcnt lgkmcnt(1)
	v_perm_b32 v137, v138, v137, s63
	s_waitcnt lgkmcnt(0)
	v_perm_b32 v136, v139, v136, s63
	v_cvt_f32_f16_e32 v14, v14
	v_cvt_f32_f16_e32 v15, v15
	v_cvt_f32_f16_e32 v16, v16
	v_cvt_f32_f16_e32 v17, v17
	s_nop 1
	v_mfma_f32_16x16x16_f16 v[14:17], v[136:137], v[34:35], v[14:17]
	ds_read_u16 v136, v151 offset:7776
	ds_read_u16 v137, v152 offset:7776
	ds_read_u16 v138, v153 offset:7776
	ds_read_u16 v139, v151 offset:8016
	s_nop 3
	v_cvt_f16_f32_e32 v14, v14
	v_cvt_f16_f32_e32 v15, v15
	v_cvt_f16_f32_e32 v16, v16
	v_cvt_f16_f32_e32 v17, v17
	s_waitcnt lgkmcnt(1)
	v_perm_b32 v137, v138, v137, s63
	s_waitcnt lgkmcnt(0)
	v_perm_b32 v136, v139, v136, s63
	v_cvt_f32_f16_e32 v14, v14
	v_cvt_f32_f16_e32 v15, v15
	v_cvt_f32_f16_e32 v16, v16
	v_cvt_f32_f16_e32 v17, v17
	s_nop 1
	;; [unrolled: 19-line block ×3, first 2 shown]
	v_mfma_f32_16x16x16_f16 v[14:17], v[136:137], v[26:27], v[14:17]
	ds_read_u16 v137, v151 offset:128
	ds_read_u16 v138, v152 offset:128
	ds_read_u16 v139, v153 offset:128
	ds_read_u16 v236, v151 offset:368
	v_cvt_f32_f16_e32 v136, v235
	s_waitcnt lgkmcnt(1)
	v_perm_b32 v139, v139, v138, s63
	s_waitcnt lgkmcnt(0)
	v_perm_b32 v138, v236, v137, s63
	v_cvt_f32_f16_sdwa v137, v235 dst_sel:DWORD dst_unused:UNUSED_PAD src0_sel:WORD_1
	v_add_f32_e32 v235, v21, v18
	v_add_f32_e32 v22, v22, v235
	v_mfma_f32_16x16x16_f16 v[18:21], v[138:139], v[30:31], v[134:137]
	s_nop 2
	ds_read_u16 v134, v151 offset:3968
	ds_read_u16 v135, v152 offset:3968
	;; [unrolled: 1-line block ×4, first 2 shown]
	v_add_f32_e32 v22, v23, v22
	v_add_f32_e32 v24, v24, v22
	v_cvt_f16_f32_e32 v18, v18
	v_cvt_f16_f32_e32 v19, v19
	;; [unrolled: 1-line block ×4, first 2 shown]
	s_waitcnt lgkmcnt(1)
	v_perm_b32 v135, v136, v135, s63
	s_waitcnt lgkmcnt(0)
	v_perm_b32 v134, v137, v134, s63
	v_cvt_f32_f16_e32 v18, v18
	v_cvt_f32_f16_e32 v19, v19
	;; [unrolled: 1-line block ×4, first 2 shown]
	v_add_f32_e32 v24, v25, v24
	v_add_f32_e32 v24, v125, v24
	v_mfma_f32_16x16x16_f16 v[18:21], v[134:135], v[34:35], v[18:21]
	ds_read_u16 v22, v151 offset:7808
	ds_read_u16 v23, v152 offset:7808
	;; [unrolled: 1-line block ×4, first 2 shown]
	v_add_f32_e32 v24, v126, v24
	s_nop 2
	v_cvt_f16_f32_e32 v18, v18
	v_cvt_f16_f32_e32 v19, v19
	;; [unrolled: 1-line block ×4, first 2 shown]
	s_waitcnt lgkmcnt(1)
	v_perm_b32 v23, v134, v23, s63
	s_waitcnt lgkmcnt(0)
	v_perm_b32 v22, v135, v22, s63
	v_cvt_f32_f16_e32 v18, v18
	v_cvt_f32_f16_e32 v19, v19
	;; [unrolled: 1-line block ×4, first 2 shown]
	s_nop 1
	v_mfma_f32_16x16x16_f16 v[18:21], v[22:23], v[32:33], v[18:21]
	ds_read_u16 v22, v151 offset:11648
	ds_read_u16 v23, v152 offset:11648
	;; [unrolled: 1-line block ×4, first 2 shown]
	s_nop 3
	v_cvt_f16_f32_e32 v18, v18
	v_cvt_f16_f32_e32 v19, v19
	;; [unrolled: 1-line block ×4, first 2 shown]
	s_waitcnt lgkmcnt(1)
	v_perm_b32 v23, v25, v23, s63
	s_waitcnt lgkmcnt(0)
	v_perm_b32 v22, v125, v22, s63
	v_add_f32_e32 v125, v127, v24
	v_pk_mul_f16 v24, v132, v233
	v_pk_mul_f16 v25, v133, v233
	ds_read_u16 v126, v151 offset:160
	ds_read_u16 v127, v152 offset:160
	;; [unrolled: 1-line block ×4, first 2 shown]
	v_cvt_f32_f16_e32 v18, v18
	v_cvt_f32_f16_e32 v19, v19
	;; [unrolled: 1-line block ×4, first 2 shown]
	s_waitcnt lgkmcnt(1)
	v_perm_b32 v127, v132, v127, s63
	s_waitcnt lgkmcnt(0)
	v_perm_b32 v126, v133, v126, s63
	v_mfma_f32_16x16x16_f16 v[18:21], v[22:23], v[26:27], v[18:21]
	v_cvt_f32_f16_e32 v22, v24
	v_cvt_f32_f16_sdwa v23, v24 dst_sel:DWORD dst_unused:UNUSED_PAD src0_sel:WORD_1
	v_cvt_f32_f16_e32 v24, v25
	v_cvt_f32_f16_sdwa v25, v25 dst_sel:DWORD dst_unused:UNUSED_PAD src0_sel:WORD_1
	v_add_f32_e32 v42, v42, v125
	v_add_f32_e32 v42, v128, v42
	v_mfma_f32_16x16x16_f16 v[22:25], v[126:127], v[30:31], v[22:25]
	ds_read_u16 v125, v151 offset:4000
	ds_read_u16 v126, v152 offset:4000
	;; [unrolled: 1-line block ×4, first 2 shown]
	v_add_f32_e32 v42, v129, v42
	v_add_f32_e32 v42, v130, v42
	s_nop 1
	v_cvt_f16_f32_e32 v22, v22
	v_cvt_f16_f32_e32 v23, v23
	;; [unrolled: 1-line block ×4, first 2 shown]
	s_waitcnt lgkmcnt(1)
	v_perm_b32 v127, v127, v126, s63
	s_waitcnt lgkmcnt(0)
	v_perm_b32 v126, v128, v125, s63
	v_cvt_f32_f16_e32 v22, v22
	v_cvt_f32_f16_e32 v23, v23
	;; [unrolled: 1-line block ×4, first 2 shown]
	v_add_f32_e32 v42, v234, v42
	v_fmac_f32_e32 v42, v232, v131
	v_mfma_f32_16x16x16_f16 v[22:25], v[126:127], v[34:35], v[22:25]
	ds_read_u16 v125, v151 offset:7840
	ds_read_u16 v126, v152 offset:7840
	;; [unrolled: 1-line block ×4, first 2 shown]
	v_cvt_f16_f32_e32 v130, v9
	s_nop 2
	v_cvt_f16_f32_e32 v22, v22
	v_cvt_f16_f32_e32 v23, v23
	;; [unrolled: 1-line block ×4, first 2 shown]
	s_waitcnt lgkmcnt(1)
	v_perm_b32 v127, v127, v126, s63
	s_waitcnt lgkmcnt(0)
	v_perm_b32 v126, v128, v125, s63
	v_cvt_f32_f16_e32 v22, v22
	v_cvt_f32_f16_e32 v23, v23
	;; [unrolled: 1-line block ×4, first 2 shown]
	s_nop 1
	v_mfma_f32_16x16x16_f16 v[22:25], v[126:127], v[32:33], v[22:25]
	ds_read_u16 v125, v151 offset:11680
	ds_read_u16 v126, v152 offset:11680
	;; [unrolled: 1-line block ×4, first 2 shown]
	s_nop 3
	v_cvt_f16_f32_e32 v22, v22
	v_cvt_f16_f32_e32 v23, v23
	;; [unrolled: 1-line block ×4, first 2 shown]
	s_waitcnt lgkmcnt(1)
	v_perm_b32 v127, v127, v126, s63
	s_waitcnt lgkmcnt(0)
	v_perm_b32 v126, v128, v125, s63
	v_cvt_f16_f32_e32 v125, v8
	ds_read_u16 v8, v151 offset:192
	ds_read_u16 v9, v152 offset:192
	;; [unrolled: 1-line block ×4, first 2 shown]
	v_cvt_f32_f16_e32 v22, v22
	v_cvt_f32_f16_e32 v23, v23
	;; [unrolled: 1-line block ×4, first 2 shown]
	s_waitcnt lgkmcnt(1)
	v_perm_b32 v9, v129, v9, s63
	s_waitcnt lgkmcnt(0)
	v_perm_b32 v8, v131, v8, s63
	v_mfma_f32_16x16x16_f16 v[22:25], v[126:127], v[26:27], v[22:25]
	v_cvt_f32_f16_e32 v126, v36
	v_cvt_f32_f16_sdwa v127, v36 dst_sel:DWORD dst_unused:UNUSED_PAD src0_sel:WORD_1
	v_cvt_f32_f16_e32 v128, v29
	v_cvt_f32_f16_sdwa v129, v29 dst_sel:DWORD dst_unused:UNUSED_PAD src0_sel:WORD_1
	v_perm_b32 v4, v130, v125, s63
	s_nop 0
	v_mfma_f32_16x16x16_f16 v[126:129], v[8:9], v[30:31], v[126:129]
	s_nop 7
	v_cvt_f16_f32_e32 v30, v129
	ds_read_u16 v31, v151 offset:4032
	ds_read_u16 v36, v152 offset:4032
	;; [unrolled: 1-line block ×4, first 2 shown]
	v_cvt_f16_f32_e32 v8, v126
	v_cvt_f16_f32_e32 v9, v127
	;; [unrolled: 1-line block ×3, first 2 shown]
	v_cvt_f32_f16_e32 v126, v8
	v_cvt_f32_f16_e32 v127, v9
	s_waitcnt lgkmcnt(1)
	v_perm_b32 v9, v125, v36, s63
	s_waitcnt lgkmcnt(0)
	v_perm_b32 v8, v129, v31, s63
	v_cvt_f32_f16_e32 v128, v29
	v_cvt_f32_f16_e32 v129, v30
	v_cvt_f16_f32_e32 v30, v17
	v_cvt_f16_f32_e32 v29, v16
	v_mfma_f32_16x16x16_f16 v[126:129], v[8:9], v[34:35], v[126:129]
	ds_read_u16 v34, v151 offset:7872
	ds_read_u16 v17, v152 offset:7872
	;; [unrolled: 1-line block ×4, first 2 shown]
	s_nop 3
	v_cvt_f16_f32_e32 v16, v128
	v_cvt_f16_f32_e32 v8, v126
	;; [unrolled: 1-line block ×4, first 2 shown]
	v_cvt_f32_f16_e32 v128, v16
	s_waitcnt lgkmcnt(1)
	v_perm_b32 v17, v35, v17, s63
	s_waitcnt lgkmcnt(0)
	v_perm_b32 v16, v36, v34, s63
	v_cvt_f32_f16_e32 v126, v8
	v_cvt_f32_f16_e32 v127, v9
	;; [unrolled: 1-line block ×3, first 2 shown]
	v_perm_b32 v8, v30, v29, s63
	v_perm_b32 v9, v13, v12, s63
	v_mfma_f32_16x16x16_f16 v[30:33], v[16:17], v[32:33], v[126:129]
	v_cvt_f16_f32_e32 v12, v20
	s_nop 6
	v_cvt_f16_f32_e32 v17, v30
	v_cvt_f16_f32_e32 v20, v31
	;; [unrolled: 1-line block ×3, first 2 shown]
	ds_read_u16 v16, v151 offset:11712
	ds_read_u16 v30, v152 offset:11712
	;; [unrolled: 1-line block ×4, first 2 shown]
	v_cvt_f16_f32_e32 v13, v33
	v_cvt_f32_f16_e32 v126, v17
	v_cvt_f32_f16_e32 v127, v20
	s_waitcnt lgkmcnt(1)
	v_perm_b32 v17, v31, v30, s63
	s_waitcnt lgkmcnt(0)
	v_perm_b32 v16, v32, v16, s63
	v_cvt_f32_f16_e32 v128, v29
	v_cvt_f32_f16_e32 v129, v13
	v_cvt_f16_f32_e32 v13, v21
	v_cvt_f16_f32_e32 v20, v24
	;; [unrolled: 1-line block ×3, first 2 shown]
	v_mfma_f32_16x16x16_f16 v[24:27], v[16:17], v[26:27], v[126:129]
	v_perm_b32 v13, v13, v12, s63
	v_perm_b32 v12, v21, v20, s63
	s_barrier
	s_nop 4
	v_cvt_f16_f32_e32 v16, v26
	ds_bpermute_b32 v26, v124, v42
	v_cvt_f16_f32_e32 v17, v27
	v_perm_b32 v16, v17, v16, s63
	s_waitcnt lgkmcnt(0)
	v_add_f32_e32 v17, v42, v26
	ds_bpermute_b32 v20, v37, v17
	s_waitcnt lgkmcnt(0)
	v_add_f32_e32 v29, v17, v20
	s_cbranch_vccnz .LBB19_88
; %bb.87:                               ;   in Loop: Header=BB19_11 Depth=1
	v_lshlrev_b32_e32 v17, 2, v74
	v_readfirstlane_b32 s4, v106
	v_readfirstlane_b32 s5, v107
	v_cvt_pk_f16_f32 v2, v2, v3
	v_cvt_pk_f16_f32 v3, v6, v7
	v_cvt_pk_f16_f32 v6, v10, v11
	v_max_f32_e32 v7, v28, v28
	v_cvt_pk_f16_f32 v14, v14, v15
	global_load_dword v17, v17, s[4:5]
	v_cvt_pk_f16_f32 v15, v18, v19
	s_waitcnt vmcnt(0)
	v_max_f32_e32 v10, v17, v17
	v_max_f32_e32 v18, v7, v10
	v_sub_f32_e32 v7, v28, v18
	v_sub_f32_e32 v10, v17, v18
	v_mul_f32_e32 v11, 0x3fb8aa3b, v7
	v_mul_f32_e32 v17, 0x3fb8aa3b, v10
	v_fma_f32 v19, v7, s43, -v11
	v_rndne_f32_e32 v20, v11
	v_fma_f32 v21, v10, s43, -v17
	v_rndne_f32_e32 v26, v17
	v_fmac_f32_e32 v19, 0x32a5705f, v7
	v_sub_f32_e32 v11, v11, v20
	v_fmac_f32_e32 v21, 0x32a5705f, v10
	v_sub_f32_e32 v17, v17, v26
	v_add_f32_e32 v11, v11, v19
	v_cvt_i32_f32_e32 v20, v20
	v_add_f32_e32 v17, v17, v21
	v_exp_f32_e32 v11, v11
	v_cvt_i32_f32_e32 v26, v26
	v_exp_f32_e32 v17, v17
	v_cmp_ngt_f32_e32 vcc, s58, v7
	v_ldexp_f32 v11, v11, v20
	v_cvt_pk_f16_f32 v21, v22, v23
	v_ldexp_f32 v17, v17, v26
	v_cndmask_b32_e32 v11, 0, v11, vcc
	v_cmp_ngt_f32_e32 vcc, s58, v10
	v_cvt_pk_f16_f32 v22, v24, v25
	s_nop 0
	v_cndmask_b32_e32 v17, 0, v17, vcc
	v_cmp_nlt_f32_e32 vcc, s59, v7
	s_nop 1
	v_cndmask_b32_e32 v11, v223, v11, vcc
	v_cmp_le_f32_e32 vcc, s62, v7
	s_nop 1
	v_cndmask_b32_e32 v7, 0, v11, vcc
	v_cvt_f16_f32_e32 v11, v7
	v_cmp_nlt_f32_e32 vcc, s59, v10
	s_nop 1
	v_cndmask_b32_e32 v19, v223, v17, vcc
	v_fmac_f32_e32 v19, v29, v7
	v_mul_u32_u24_e32 v17, 0x10001, v11
	v_pk_mul_f16 v11, v2, v17
	v_pk_mul_f16 v5, v5, v17
	;; [unrolled: 1-line block ×14, first 2 shown]
	v_mov_b64_e32 v[28:29], v[18:19]
	s_branch .LBB19_89
.LBB19_88:                              ;   in Loop: Header=BB19_11 Depth=1
	v_cvt_f16_f32_e32 v17, v2
	v_cvt_f16_f32_e32 v20, v3
	;; [unrolled: 1-line block ×14, first 2 shown]
	v_perm_b32 v2, v14, v2, s63
	v_perm_b32 v3, v15, v3, s63
	;; [unrolled: 1-line block ×7, first 2 shown]
.LBB19_89:                              ;   in Loop: Header=BB19_11 Depth=1
	s_barrier
	s_mov_b64 s[6:7], exec
	v_readlane_b32 s4, v250, 13
	v_readlane_b32 s5, v250, 14
	s_and_b64 s[4:5], s[6:7], s[4:5]
	s_mov_b64 exec, s[4:5]
	s_cbranch_execz .LBB19_91
; %bb.90:                               ;   in Loop: Header=BB19_11 Depth=1
	global_store_dwordx2 v[66:67], v[28:29], off
.LBB19_91:                              ;   in Loop: Header=BB19_11 Depth=1
	s_or_b64 exec, exec, s[6:7]
	v_add_u32_e32 v15, v97, v175
	v_cmp_gt_i32_e64 s[6:7], s28, v224
	v_cmp_gt_i32_e64 s[8:9], s33, v142
	ds_write2_b32 v15, v11, v5 offset1:1
	ds_write2_b32 v15, v10, v4 offset0:8 offset1:9
	ds_write2_b32 v15, v7, v9 offset0:16 offset1:17
	;; [unrolled: 1-line block ×6, first 2 shown]
	v_cmp_le_i32_e32 vcc, s33, v142
	s_and_b64 s[4:5], s[6:7], s[8:9]
	v_mov_b32_e32 v2, 50
	s_waitcnt lgkmcnt(0)
	s_barrier
	s_and_saveexec_b64 s[6:7], s[4:5]
	s_cbranch_execz .LBB19_93
; %bb.92:                               ;   in Loop: Header=BB19_11 Depth=1
	v_add_u32_e32 v2, v187, v204
	ds_read_b32 v5, v2
	v_mad_u64_u32 v[2:3], s[4:5], v224, s29, v[100:101]
	v_mad_u64_u32 v[2:3], s[4:5], v2, 56, v[38:39]
	s_waitcnt lgkmcnt(0)
	v_cvt_f32_f16_e32 v4, v5
	v_cvt_f32_f16_sdwa v5, v5 dst_sel:DWORD dst_unused:UNUSED_PAD src0_sel:WORD_1
	v_ashrrev_i32_e32 v3, 31, v2
	v_lshl_add_u64 v[2:3], v[2:3], 3, v[104:105]
	v_pk_add_f32 v[4:5], v[4:5], 0 op_sel_hi:[1,0]
	global_store_dwordx2 v[2:3], v[4:5], off
	v_mov_b32_e32 v2, 0
.LBB19_93:                              ;   in Loop: Header=BB19_11 Depth=1
	s_or_b64 exec, exec, s[6:7]
	v_cmp_gt_i32_e64 s[6:7], 50, v2
	s_mov_b64 s[72:73], -1
	s_and_saveexec_b64 s[8:9], s[6:7]
; %bb.94:                               ;   in Loop: Header=BB19_11 Depth=1
	v_cmp_eq_u32_e64 s[6:7], 0, v2
	s_orn2_b64 s[72:73], s[6:7], exec
; %bb.95:                               ;   in Loop: Header=BB19_11 Depth=1
	s_or_b64 exec, exec, s[8:9]
	s_and_saveexec_b64 s[8:9], s[72:73]
	s_cbranch_execz .LBB19_128
; %bb.96:                               ;   in Loop: Header=BB19_11 Depth=1
	v_cmp_gt_i32_e64 s[6:7], s28, v231
	s_xor_b64 s[72:73], vcc, -1
	s_and_b64 s[4:5], s[6:7], s[72:73]
	v_mov_b32_e32 v2, 50
	s_and_saveexec_b64 s[6:7], s[4:5]
	s_cbranch_execz .LBB19_98
; %bb.97:                               ;   in Loop: Header=BB19_11 Depth=1
	v_add_u32_e32 v2, v187, v204
	ds_read_b32 v5, v2 offset:1920
	v_mad_u64_u32 v[2:3], s[4:5], v231, s29, v[100:101]
	v_mad_u64_u32 v[2:3], s[4:5], v2, 56, v[38:39]
	s_waitcnt lgkmcnt(0)
	v_cvt_f32_f16_e32 v4, v5
	v_cvt_f32_f16_sdwa v5, v5 dst_sel:DWORD dst_unused:UNUSED_PAD src0_sel:WORD_1
	v_ashrrev_i32_e32 v3, 31, v2
	v_lshl_add_u64 v[2:3], v[2:3], 3, v[104:105]
	v_pk_add_f32 v[4:5], v[4:5], 0 op_sel_hi:[1,0]
	global_store_dwordx2 v[2:3], v[4:5], off
	v_mov_b32_e32 v2, 0
.LBB19_98:                              ;   in Loop: Header=BB19_11 Depth=1
	s_or_b64 exec, exec, s[6:7]
	v_cmp_gt_i32_e32 vcc, 50, v2
	s_mov_b64 s[6:7], -1
	s_and_saveexec_b64 s[74:75], vcc
; %bb.99:                               ;   in Loop: Header=BB19_11 Depth=1
	v_cmp_eq_u32_e32 vcc, 0, v2
	s_orn2_b64 s[6:7], vcc, exec
; %bb.100:                              ;   in Loop: Header=BB19_11 Depth=1
	s_or_b64 exec, exec, s[74:75]
	s_and_b64 exec, exec, s[6:7]
	s_cbranch_execz .LBB19_128
; %bb.101:                              ;   in Loop: Header=BB19_11 Depth=1
	v_cmp_gt_i32_e32 vcc, s28, v230
	s_and_b64 s[4:5], vcc, s[72:73]
	v_mov_b32_e32 v2, 50
	s_and_saveexec_b64 s[6:7], s[4:5]
	s_cbranch_execz .LBB19_103
; %bb.102:                              ;   in Loop: Header=BB19_11 Depth=1
	ds_read_b32 v5, v188
	v_mad_u64_u32 v[2:3], s[4:5], v230, s29, v[100:101]
	v_mad_u64_u32 v[2:3], s[4:5], v2, 56, v[38:39]
	s_waitcnt lgkmcnt(0)
	v_cvt_f32_f16_e32 v4, v5
	v_cvt_f32_f16_sdwa v5, v5 dst_sel:DWORD dst_unused:UNUSED_PAD src0_sel:WORD_1
	v_ashrrev_i32_e32 v3, 31, v2
	v_lshl_add_u64 v[2:3], v[2:3], 3, v[104:105]
	v_pk_add_f32 v[4:5], v[4:5], 0 op_sel_hi:[1,0]
	global_store_dwordx2 v[2:3], v[4:5], off
	v_mov_b32_e32 v2, 0
.LBB19_103:                             ;   in Loop: Header=BB19_11 Depth=1
	s_or_b64 exec, exec, s[6:7]
	v_cmp_gt_i32_e32 vcc, 50, v2
	s_mov_b64 s[6:7], -1
	s_and_saveexec_b64 s[74:75], vcc
; %bb.104:                              ;   in Loop: Header=BB19_11 Depth=1
	v_cmp_eq_u32_e32 vcc, 0, v2
	s_orn2_b64 s[6:7], vcc, exec
; %bb.105:                              ;   in Loop: Header=BB19_11 Depth=1
	s_or_b64 exec, exec, s[74:75]
	s_and_b64 exec, exec, s[6:7]
	s_cbranch_execz .LBB19_128
; %bb.106:                              ;   in Loop: Header=BB19_11 Depth=1
	v_cmp_gt_i32_e32 vcc, s28, v229
	s_and_b64 s[4:5], vcc, s[72:73]
	v_mov_b32_e32 v2, 50
	s_and_saveexec_b64 s[6:7], s[4:5]
	s_cbranch_execz .LBB19_108
; %bb.107:                              ;   in Loop: Header=BB19_11 Depth=1
	v_add_u32_e32 v2, v187, v204
	ds_read_b32 v5, v2 offset:5760
	v_mad_u64_u32 v[2:3], s[4:5], v229, s29, v[100:101]
	v_mad_u64_u32 v[2:3], s[4:5], v2, 56, v[38:39]
	s_waitcnt lgkmcnt(0)
	v_cvt_f32_f16_e32 v4, v5
	v_cvt_f32_f16_sdwa v5, v5 dst_sel:DWORD dst_unused:UNUSED_PAD src0_sel:WORD_1
	v_ashrrev_i32_e32 v3, 31, v2
	v_lshl_add_u64 v[2:3], v[2:3], 3, v[104:105]
	v_pk_add_f32 v[4:5], v[4:5], 0 op_sel_hi:[1,0]
	global_store_dwordx2 v[2:3], v[4:5], off
	v_mov_b32_e32 v2, 0
.LBB19_108:                             ;   in Loop: Header=BB19_11 Depth=1
	s_or_b64 exec, exec, s[6:7]
	v_cmp_gt_i32_e32 vcc, 50, v2
	s_mov_b64 s[6:7], -1
	s_and_saveexec_b64 s[74:75], vcc
; %bb.109:                              ;   in Loop: Header=BB19_11 Depth=1
	v_cmp_eq_u32_e32 vcc, 0, v2
	s_orn2_b64 s[6:7], vcc, exec
; %bb.110:                              ;   in Loop: Header=BB19_11 Depth=1
	s_or_b64 exec, exec, s[74:75]
	s_and_b64 exec, exec, s[6:7]
	s_cbranch_execz .LBB19_128
; %bb.111:                              ;   in Loop: Header=BB19_11 Depth=1
	v_cmp_gt_i32_e32 vcc, s28, v228
	s_and_b64 s[4:5], vcc, s[72:73]
	v_mov_b32_e32 v2, 50
	s_and_saveexec_b64 s[6:7], s[4:5]
	s_cbranch_execz .LBB19_113
; %bb.112:                              ;   in Loop: Header=BB19_11 Depth=1
	ds_read_b32 v5, v189
	v_mad_u64_u32 v[2:3], s[4:5], v228, s29, v[100:101]
	v_mad_u64_u32 v[2:3], s[4:5], v2, 56, v[38:39]
	s_waitcnt lgkmcnt(0)
	v_cvt_f32_f16_e32 v4, v5
	v_cvt_f32_f16_sdwa v5, v5 dst_sel:DWORD dst_unused:UNUSED_PAD src0_sel:WORD_1
	v_ashrrev_i32_e32 v3, 31, v2
	v_lshl_add_u64 v[2:3], v[2:3], 3, v[104:105]
	v_pk_add_f32 v[4:5], v[4:5], 0 op_sel_hi:[1,0]
	global_store_dwordx2 v[2:3], v[4:5], off
	v_mov_b32_e32 v2, 0
.LBB19_113:                             ;   in Loop: Header=BB19_11 Depth=1
	s_or_b64 exec, exec, s[6:7]
	v_cmp_gt_i32_e32 vcc, 50, v2
	s_mov_b64 s[6:7], -1
	s_and_saveexec_b64 s[74:75], vcc
; %bb.114:                              ;   in Loop: Header=BB19_11 Depth=1
	v_cmp_eq_u32_e32 vcc, 0, v2
	s_orn2_b64 s[6:7], vcc, exec
; %bb.115:                              ;   in Loop: Header=BB19_11 Depth=1
	s_or_b64 exec, exec, s[74:75]
	s_and_b64 exec, exec, s[6:7]
	s_cbranch_execz .LBB19_128
; %bb.116:                              ;   in Loop: Header=BB19_11 Depth=1
	v_cmp_gt_i32_e32 vcc, s28, v227
	s_and_b64 s[4:5], vcc, s[72:73]
	v_mov_b32_e32 v2, 50
	s_and_saveexec_b64 s[6:7], s[4:5]
	s_cbranch_execz .LBB19_118
; %bb.117:                              ;   in Loop: Header=BB19_11 Depth=1
	v_add_u32_e32 v2, v187, v204
	ds_read_b32 v5, v2 offset:9600
	v_mad_u64_u32 v[2:3], s[4:5], v227, s29, v[100:101]
	v_mad_u64_u32 v[2:3], s[4:5], v2, 56, v[38:39]
	s_waitcnt lgkmcnt(0)
	v_cvt_f32_f16_e32 v4, v5
	v_cvt_f32_f16_sdwa v5, v5 dst_sel:DWORD dst_unused:UNUSED_PAD src0_sel:WORD_1
	v_ashrrev_i32_e32 v3, 31, v2
	v_lshl_add_u64 v[2:3], v[2:3], 3, v[104:105]
	v_pk_add_f32 v[4:5], v[4:5], 0 op_sel_hi:[1,0]
	global_store_dwordx2 v[2:3], v[4:5], off
	v_mov_b32_e32 v2, 0
.LBB19_118:                             ;   in Loop: Header=BB19_11 Depth=1
	s_or_b64 exec, exec, s[6:7]
	v_cmp_gt_i32_e32 vcc, 50, v2
	s_mov_b64 s[6:7], -1
	s_and_saveexec_b64 s[74:75], vcc
; %bb.119:                              ;   in Loop: Header=BB19_11 Depth=1
	v_cmp_eq_u32_e32 vcc, 0, v2
	s_orn2_b64 s[6:7], vcc, exec
; %bb.120:                              ;   in Loop: Header=BB19_11 Depth=1
	s_or_b64 exec, exec, s[74:75]
	s_and_b64 exec, exec, s[6:7]
	s_cbranch_execz .LBB19_128
; %bb.121:                              ;   in Loop: Header=BB19_11 Depth=1
	v_cmp_gt_i32_e32 vcc, s28, v226
	s_and_b64 s[4:5], vcc, s[72:73]
	v_mov_b32_e32 v2, 50
	s_and_saveexec_b64 s[6:7], s[4:5]
	s_cbranch_execz .LBB19_123
; %bb.122:                              ;   in Loop: Header=BB19_11 Depth=1
	ds_read_b32 v5, v190
	v_mad_u64_u32 v[2:3], s[4:5], v226, s29, v[100:101]
	v_mad_u64_u32 v[2:3], s[4:5], v2, 56, v[38:39]
	s_waitcnt lgkmcnt(0)
	v_cvt_f32_f16_e32 v4, v5
	v_cvt_f32_f16_sdwa v5, v5 dst_sel:DWORD dst_unused:UNUSED_PAD src0_sel:WORD_1
	v_ashrrev_i32_e32 v3, 31, v2
	v_lshl_add_u64 v[2:3], v[2:3], 3, v[104:105]
	v_pk_add_f32 v[4:5], v[4:5], 0 op_sel_hi:[1,0]
	global_store_dwordx2 v[2:3], v[4:5], off
	v_mov_b32_e32 v2, 0
.LBB19_123:                             ;   in Loop: Header=BB19_11 Depth=1
	s_or_b64 exec, exec, s[6:7]
	v_cmp_gt_i32_e32 vcc, 50, v2
	s_mov_b64 s[6:7], -1
	s_and_saveexec_b64 s[74:75], vcc
; %bb.124:                              ;   in Loop: Header=BB19_11 Depth=1
	v_cmp_eq_u32_e32 vcc, 0, v2
	s_orn2_b64 s[6:7], vcc, exec
; %bb.125:                              ;   in Loop: Header=BB19_11 Depth=1
	s_or_b64 exec, exec, s[74:75]
	s_and_b64 exec, exec, s[6:7]
	s_cbranch_execz .LBB19_128
; %bb.126:                              ;   in Loop: Header=BB19_11 Depth=1
	v_cmp_gt_i32_e32 vcc, s28, v149
	s_and_b64 s[4:5], vcc, s[72:73]
	s_and_b64 exec, exec, s[4:5]
	s_cbranch_execz .LBB19_128
; %bb.127:                              ;   in Loop: Header=BB19_11 Depth=1
	v_add_u32_e32 v2, v187, v204
	ds_read_b32 v5, v2 offset:13440
	v_mad_u64_u32 v[2:3], s[4:5], v149, s29, v[100:101]
	v_mad_u64_u32 v[2:3], s[4:5], v2, 56, v[38:39]
	s_waitcnt lgkmcnt(0)
	v_cvt_f32_f16_e32 v4, v5
	v_cvt_f32_f16_sdwa v5, v5 dst_sel:DWORD dst_unused:UNUSED_PAD src0_sel:WORD_1
	v_ashrrev_i32_e32 v3, 31, v2
	v_lshl_add_u64 v[2:3], v[2:3], 3, v[104:105]
	v_pk_add_f32 v[4:5], v[4:5], 0 op_sel_hi:[1,0]
	global_store_dwordx2 v[2:3], v[4:5], off
.LBB19_128:                             ;   in Loop: Header=BB19_11 Depth=1
	s_or_b64 exec, exec, s[8:9]
	v_cmp_gt_i32_e64 s[6:7], s28, v148
	v_cmp_gt_i32_e64 s[8:9], s33, v225
	v_cmp_le_i32_e32 vcc, s33, v225
	s_and_b64 s[4:5], s[6:7], s[8:9]
	v_mov_b32_e32 v2, 50
	s_and_saveexec_b64 s[6:7], s[4:5]
	s_cbranch_execz .LBB19_130
; %bb.129:                              ;   in Loop: Header=BB19_11 Depth=1
	v_add_u32_e32 v2, v182, v164
	ds_read_b32 v5, v2 offset:128
	v_mad_u64_u32 v[2:3], s[4:5], v148, s29, v[96:97]
	v_mul_lo_u32 v2, v2, 56
	v_ashrrev_i32_e32 v3, 31, v2
	s_waitcnt lgkmcnt(0)
	v_cvt_f32_f16_e32 v4, v5
	v_cvt_f32_f16_sdwa v5, v5 dst_sel:DWORD dst_unused:UNUSED_PAD src0_sel:WORD_1
	v_lshl_add_u64 v[2:3], v[2:3], 0, v[40:41]
	v_lshl_add_u64 v[2:3], v[2:3], 3, v[104:105]
	v_pk_add_f32 v[4:5], v[4:5], 0 op_sel_hi:[1,0]
	global_store_dwordx2 v[2:3], v[4:5], off offset:256
	v_mov_b32_e32 v2, 0
.LBB19_130:                             ;   in Loop: Header=BB19_11 Depth=1
	s_or_b64 exec, exec, s[6:7]
	v_cmp_gt_i32_e64 s[6:7], 50, v2
	s_mov_b64 s[72:73], -1
	s_and_saveexec_b64 s[8:9], s[6:7]
; %bb.131:                              ;   in Loop: Header=BB19_11 Depth=1
	v_cmp_eq_u32_e64 s[6:7], 0, v2
	s_orn2_b64 s[72:73], s[6:7], exec
; %bb.132:                              ;   in Loop: Header=BB19_11 Depth=1
	s_or_b64 exec, exec, s[8:9]
	s_and_saveexec_b64 s[8:9], s[72:73]
	s_cbranch_execz .LBB19_145
; %bb.133:                              ;   in Loop: Header=BB19_11 Depth=1
	v_cmp_gt_i32_e64 s[6:7], s28, v147
	s_xor_b64 s[72:73], vcc, -1
	s_and_b64 s[4:5], s[6:7], s[72:73]
	v_mov_b32_e32 v2, 50
	s_and_saveexec_b64 s[6:7], s[4:5]
	s_cbranch_execz .LBB19_135
; %bb.134:                              ;   in Loop: Header=BB19_11 Depth=1
	ds_read_b32 v5, v191 offset:128
	v_mad_u64_u32 v[2:3], s[4:5], v147, s29, v[96:97]
	v_mul_lo_u32 v2, v2, 56
	v_ashrrev_i32_e32 v3, 31, v2
	s_waitcnt lgkmcnt(0)
	v_cvt_f32_f16_e32 v4, v5
	v_cvt_f32_f16_sdwa v5, v5 dst_sel:DWORD dst_unused:UNUSED_PAD src0_sel:WORD_1
	v_lshl_add_u64 v[2:3], v[2:3], 0, v[40:41]
	v_lshl_add_u64 v[2:3], v[2:3], 3, v[104:105]
	v_pk_add_f32 v[4:5], v[4:5], 0 op_sel_hi:[1,0]
	global_store_dwordx2 v[2:3], v[4:5], off offset:256
	v_mov_b32_e32 v2, 0
.LBB19_135:                             ;   in Loop: Header=BB19_11 Depth=1
	s_or_b64 exec, exec, s[6:7]
	v_cmp_gt_i32_e32 vcc, 50, v2
	s_mov_b64 s[6:7], -1
	s_and_saveexec_b64 s[74:75], vcc
; %bb.136:                              ;   in Loop: Header=BB19_11 Depth=1
	v_cmp_eq_u32_e32 vcc, 0, v2
	s_orn2_b64 s[6:7], vcc, exec
; %bb.137:                              ;   in Loop: Header=BB19_11 Depth=1
	s_or_b64 exec, exec, s[74:75]
	s_and_b64 exec, exec, s[6:7]
	s_cbranch_execz .LBB19_145
; %bb.138:                              ;   in Loop: Header=BB19_11 Depth=1
	v_cmp_gt_i32_e32 vcc, s28, v146
	s_and_b64 s[4:5], vcc, s[72:73]
	v_mov_b32_e32 v2, 50
	s_and_saveexec_b64 s[6:7], s[4:5]
	s_cbranch_execz .LBB19_140
; %bb.139:                              ;   in Loop: Header=BB19_11 Depth=1
	ds_read_b32 v5, v192 offset:128
	v_mad_u64_u32 v[2:3], s[4:5], v146, s29, v[96:97]
	v_mul_lo_u32 v2, v2, 56
	v_ashrrev_i32_e32 v3, 31, v2
	s_waitcnt lgkmcnt(0)
	v_cvt_f32_f16_e32 v4, v5
	v_cvt_f32_f16_sdwa v5, v5 dst_sel:DWORD dst_unused:UNUSED_PAD src0_sel:WORD_1
	v_lshl_add_u64 v[2:3], v[2:3], 0, v[40:41]
	v_lshl_add_u64 v[2:3], v[2:3], 3, v[104:105]
	v_pk_add_f32 v[4:5], v[4:5], 0 op_sel_hi:[1,0]
	global_store_dwordx2 v[2:3], v[4:5], off offset:256
	v_mov_b32_e32 v2, 0
.LBB19_140:                             ;   in Loop: Header=BB19_11 Depth=1
	s_or_b64 exec, exec, s[6:7]
	v_cmp_gt_i32_e32 vcc, 50, v2
	s_mov_b64 s[6:7], -1
	s_and_saveexec_b64 s[74:75], vcc
; %bb.141:                              ;   in Loop: Header=BB19_11 Depth=1
	v_cmp_eq_u32_e32 vcc, 0, v2
	s_orn2_b64 s[6:7], vcc, exec
; %bb.142:                              ;   in Loop: Header=BB19_11 Depth=1
	s_or_b64 exec, exec, s[74:75]
	s_and_b64 exec, exec, s[6:7]
	s_cbranch_execz .LBB19_145
; %bb.143:                              ;   in Loop: Header=BB19_11 Depth=1
	v_cmp_gt_i32_e32 vcc, s28, v144
	s_and_b64 s[4:5], vcc, s[72:73]
	s_and_b64 exec, exec, s[4:5]
	s_cbranch_execz .LBB19_145
; %bb.144:                              ;   in Loop: Header=BB19_11 Depth=1
	ds_read_b32 v5, v193 offset:128
	v_mad_u64_u32 v[2:3], s[4:5], v144, s29, v[96:97]
	v_mul_lo_u32 v2, v2, 56
	v_ashrrev_i32_e32 v3, 31, v2
	s_waitcnt lgkmcnt(0)
	v_cvt_f32_f16_e32 v4, v5
	v_cvt_f32_f16_sdwa v5, v5 dst_sel:DWORD dst_unused:UNUSED_PAD src0_sel:WORD_1
	v_lshl_add_u64 v[2:3], v[2:3], 0, v[40:41]
	v_lshl_add_u64 v[2:3], v[2:3], 3, v[104:105]
	v_pk_add_f32 v[4:5], v[4:5], 0 op_sel_hi:[1,0]
	global_store_dwordx2 v[2:3], v[4:5], off offset:256
.LBB19_145:                             ;   in Loop: Header=BB19_11 Depth=1
	s_or_b64 exec, exec, s[8:9]
	v_cmp_gt_i32_e64 s[6:7], s33, v145
	v_cmp_gt_i32_e64 s[8:9], s28, v143
	v_cmp_le_i32_e32 vcc, s33, v145
	s_and_b64 s[4:5], s[8:9], s[6:7]
	v_mov_b32_e32 v2, 50
	s_and_saveexec_b64 s[6:7], s[4:5]
	s_cbranch_execz .LBB19_147
; %bb.146:                              ;   in Loop: Header=BB19_11 Depth=1
	v_add_u32_e32 v2, v172, v169
	ds_read_b32 v4, v2 offset:192
	v_mad_u64_u32 v[2:3], s[4:5], v143, s29, v[90:91]
	v_mul_lo_u32 v6, v2, 56
	v_ashrrev_i32_e32 v5, 31, v6
	s_waitcnt lgkmcnt(0)
	v_cvt_f32_f16_e32 v2, v4
	v_cvt_f32_f16_sdwa v3, v4 dst_sel:DWORD dst_unused:UNUSED_PAD src0_sel:WORD_1
	v_or_b32_e32 v4, v6, v68
	v_lshl_add_u64 v[4:5], v[4:5], 3, v[104:105]
	v_pk_add_f32 v[2:3], v[2:3], 0 op_sel_hi:[1,0]
	global_store_dwordx2 v[4:5], v[2:3], off offset:384
	v_mov_b32_e32 v2, 0
.LBB19_147:                             ;   in Loop: Header=BB19_11 Depth=1
	s_or_b64 exec, exec, s[6:7]
	v_cmp_gt_i32_e64 s[6:7], 50, v2
	s_mov_b64 s[76:77], -1
	s_and_saveexec_b64 s[8:9], s[6:7]
; %bb.148:                              ;   in Loop: Header=BB19_11 Depth=1
	v_cmp_eq_u32_e64 s[6:7], 0, v2
	s_orn2_b64 s[76:77], s[6:7], exec
; %bb.149:                              ;   in Loop: Header=BB19_11 Depth=1
	s_or_b64 exec, exec, s[8:9]
	s_mov_b64 s[72:73], 0
	s_mov_b64 s[8:9], 0
                                        ; implicit-def: $vgpr2_vgpr3
	s_and_saveexec_b64 s[74:75], s[76:77]
	s_cbranch_execz .LBB19_153
; %bb.150:                              ;   in Loop: Header=BB19_11 Depth=1
	v_cmp_gt_i32_e64 s[6:7], s28, v103
	s_xor_b64 s[4:5], vcc, -1
	s_and_b64 s[4:5], s[6:7], s[4:5]
	s_mov_b64 s[6:7], 0
                                        ; implicit-def: $vgpr2_vgpr3
	s_and_saveexec_b64 s[8:9], s[4:5]
	s_xor_b64 s[8:9], exec, s[8:9]
	s_cbranch_execz .LBB19_152
; %bb.151:                              ;   in Loop: Header=BB19_11 Depth=1
	v_add_u32_e32 v2, v172, v169
	ds_read_b32 v3, v2 offset:7872
	s_mov_b64 s[6:7], exec
	s_waitcnt lgkmcnt(0)
	v_cvt_f32_f16_e32 v2, v3
	v_cvt_f32_f16_sdwa v3, v3 dst_sel:DWORD dst_unused:UNUSED_PAD src0_sel:WORD_1
	v_pk_add_f32 v[2:3], v[2:3], 0 op_sel_hi:[1,0]
.LBB19_152:                             ;   in Loop: Header=BB19_11 Depth=1
	s_or_b64 exec, exec, s[8:9]
	s_and_b64 s[8:9], s[6:7], exec
.LBB19_153:                             ;   in Loop: Header=BB19_11 Depth=1
	s_or_b64 exec, exec, s[74:75]
	s_and_b64 vcc, exec, s[72:73]
	s_cbranch_vccz .LBB19_294
.LBB19_154:                             ;   in Loop: Header=BB19_11 Depth=1
	v_cmp_gt_i32_e64 s[6:7], s28, v224
	v_cmp_gt_i32_e32 vcc, s33, v142
	s_and_b64 s[96:97], s[6:7], vcc
	s_xor_b64 s[6:7], s[96:97], -1
	s_and_saveexec_b64 s[72:73], s[6:7]
	s_xor_b64 s[6:7], exec, s[72:73]
; %bb.155:                              ;   in Loop: Header=BB19_11 Depth=1
	v_add_u32_e32 v2, v187, v204
	ds_write_b32 v2, v43
; %bb.156:                              ;   in Loop: Header=BB19_11 Depth=1
	s_andn2_saveexec_b64 s[6:7], s[6:7]
	s_cbranch_execz .LBB19_158
; %bb.157:                              ;   in Loop: Header=BB19_11 Depth=1
	v_mad_u64_u32 v[2:3], s[72:73], v224, s53, v[102:103]
	v_ashrrev_i32_e32 v3, 31, v2
	v_lshl_add_u64 v[2:3], v[2:3], 3, v[122:123]
	global_load_dwordx2 v[2:3], v[2:3], off
	s_waitcnt vmcnt(0)
	v_cvt_pk_f16_f32 v2, v2, v3
	v_pk_mul_f16 v2, v2, v195
	v_add_u32_e32 v3, v187, v204
	ds_write_b32 v3, v2
.LBB19_158:                             ;   in Loop: Header=BB19_11 Depth=1
	s_or_b64 exec, exec, s[6:7]
	v_add_u32_e32 v235, v205, v140
	v_cmp_gt_i32_e64 s[6:7], s28, v235
	s_and_b64 s[94:95], s[6:7], vcc
	s_xor_b64 s[6:7], s[94:95], -1
	s_and_saveexec_b64 s[72:73], s[6:7]
	s_xor_b64 s[6:7], exec, s[72:73]
; %bb.159:                              ;   in Loop: Header=BB19_11 Depth=1
	v_add_u32_e32 v2, v187, v204
	ds_write_b32 v2, v43 offset:1920
; %bb.160:                              ;   in Loop: Header=BB19_11 Depth=1
	s_andn2_saveexec_b64 s[6:7], s[6:7]
	s_cbranch_execz .LBB19_162
; %bb.161:                              ;   in Loop: Header=BB19_11 Depth=1
	v_mad_u64_u32 v[2:3], s[72:73], v235, s53, v[102:103]
	v_ashrrev_i32_e32 v3, 31, v2
	v_lshl_add_u64 v[2:3], v[2:3], 3, v[122:123]
	global_load_dwordx2 v[2:3], v[2:3], off
	s_waitcnt vmcnt(0)
	v_cvt_pk_f16_f32 v2, v2, v3
	v_pk_mul_f16 v2, v2, v195
	v_add_u32_e32 v3, v187, v204
	ds_write_b32 v3, v2 offset:1920
.LBB19_162:                             ;   in Loop: Header=BB19_11 Depth=1
	s_or_b64 exec, exec, s[6:7]
	v_add_u32_e32 v234, v159, v140
	v_cmp_gt_i32_e64 s[6:7], s28, v234
	s_and_b64 s[92:93], s[6:7], vcc
	s_xor_b64 s[6:7], s[92:93], -1
	s_and_saveexec_b64 s[72:73], s[6:7]
	s_xor_b64 s[6:7], exec, s[72:73]
; %bb.163:                              ;   in Loop: Header=BB19_11 Depth=1
	v_add_u32_e32 v2, v187, v204
	ds_write_b32 v2, v43 offset:3840
; %bb.164:                              ;   in Loop: Header=BB19_11 Depth=1
	s_andn2_saveexec_b64 s[6:7], s[6:7]
	s_cbranch_execz .LBB19_166
; %bb.165:                              ;   in Loop: Header=BB19_11 Depth=1
	v_mad_u64_u32 v[2:3], s[72:73], v234, s53, v[102:103]
	v_ashrrev_i32_e32 v3, 31, v2
	v_lshl_add_u64 v[2:3], v[2:3], 3, v[122:123]
	global_load_dwordx2 v[2:3], v[2:3], off
	s_waitcnt vmcnt(0)
	v_cvt_pk_f16_f32 v2, v2, v3
	v_pk_mul_f16 v2, v2, v195
	v_add_u32_e32 v3, v187, v204
	ds_write_b32 v3, v2 offset:3840
.LBB19_166:                             ;   in Loop: Header=BB19_11 Depth=1
	;; [unrolled: 24-line block ×7, first 2 shown]
	s_or_b64 exec, exec, s[6:7]
	v_add_u32_e32 v228, v163, v140
	v_or_b32_e32 v2, v96, v141
	v_cmp_gt_i32_e64 s[6:7], s28, v228
	v_cmp_gt_i32_e32 vcc, s33, v2
	s_and_b64 s[80:81], s[6:7], vcc
	s_xor_b64 s[6:7], s[80:81], -1
	s_and_saveexec_b64 s[72:73], s[6:7]
	s_xor_b64 s[6:7], exec, s[72:73]
; %bb.187:                              ;   in Loop: Header=BB19_11 Depth=1
	ds_write_b32 v183, v43 offset:128
; %bb.188:                              ;   in Loop: Header=BB19_11 Depth=1
	s_andn2_saveexec_b64 s[6:7], s[6:7]
	s_cbranch_execz .LBB19_190
; %bb.189:                              ;   in Loop: Header=BB19_11 Depth=1
	v_mad_u64_u32 v[2:3], s[72:73], v228, s53, v[98:99]
	v_ashrrev_i32_e32 v3, 31, v2
	v_lshl_add_u64 v[2:3], v[2:3], 3, v[122:123]
	global_load_dwordx2 v[2:3], v[2:3], off
	s_waitcnt vmcnt(0)
	v_cvt_pk_f16_f32 v2, v2, v3
	v_pk_mul_f16 v2, v2, v195
	v_add_u32_e32 v3, v182, v164
	ds_write_b32 v3, v2 offset:128
.LBB19_190:                             ;   in Loop: Header=BB19_11 Depth=1
	s_or_b64 exec, exec, s[6:7]
	v_add_u32_e32 v227, v166, v140
	v_cmp_gt_i32_e64 s[6:7], s28, v227
	s_and_b64 s[78:79], s[6:7], vcc
	s_xor_b64 s[6:7], s[78:79], -1
	s_and_saveexec_b64 s[72:73], s[6:7]
	s_xor_b64 s[6:7], exec, s[72:73]
; %bb.191:                              ;   in Loop: Header=BB19_11 Depth=1
	ds_write_b32 v206, v43 offset:128
; %bb.192:                              ;   in Loop: Header=BB19_11 Depth=1
	s_andn2_saveexec_b64 s[6:7], s[6:7]
	s_cbranch_execz .LBB19_194
; %bb.193:                              ;   in Loop: Header=BB19_11 Depth=1
	v_mad_u64_u32 v[2:3], s[72:73], v227, s53, v[98:99]
	v_ashrrev_i32_e32 v3, 31, v2
	v_lshl_add_u64 v[2:3], v[2:3], 3, v[122:123]
	global_load_dwordx2 v[2:3], v[2:3], off
	s_waitcnt vmcnt(0)
	v_cvt_pk_f16_f32 v2, v2, v3
	v_pk_mul_f16 v2, v2, v195
	v_add_u32_e32 v3, v182, v164
	ds_write_b32 v3, v2 offset:3968
.LBB19_194:                             ;   in Loop: Header=BB19_11 Depth=1
	s_or_b64 exec, exec, s[6:7]
	v_add_u32_e32 v226, v167, v140
	v_cmp_gt_i32_e64 s[6:7], s28, v226
	;; [unrolled: 23-line block ×3, first 2 shown]
	s_and_b64 s[74:75], s[6:7], vcc
	s_xor_b64 s[6:7], s[74:75], -1
	s_and_saveexec_b64 s[72:73], s[6:7]
	s_xor_b64 s[6:7], exec, s[72:73]
; %bb.199:                              ;   in Loop: Header=BB19_11 Depth=1
	ds_write_b32 v208, v43 offset:128
; %bb.200:                              ;   in Loop: Header=BB19_11 Depth=1
	s_andn2_saveexec_b64 s[6:7], s[6:7]
	s_cbranch_execz .LBB19_202
; %bb.201:                              ;   in Loop: Header=BB19_11 Depth=1
	v_mad_u64_u32 v[2:3], s[72:73], v225, s53, v[98:99]
	v_ashrrev_i32_e32 v3, 31, v2
	v_lshl_add_u64 v[2:3], v[2:3], 3, v[122:123]
	global_load_dwordx2 v[2:3], v[2:3], off
	s_waitcnt vmcnt(0)
	v_cvt_pk_f16_f32 v2, v2, v3
	v_pk_mul_f16 v2, v2, v195
	v_add_u32_e32 v3, v182, v164
	ds_write_b32 v3, v2 offset:11648
.LBB19_202:                             ;   in Loop: Header=BB19_11 Depth=1
	s_or_b64 exec, exec, s[6:7]
	v_or_b32_e32 v2, v141, v90
	v_add_u32_e32 v125, v170, v140
	v_cmp_gt_i32_e32 vcc, s33, v2
	v_cmp_gt_i32_e64 s[6:7], s28, v125
	s_and_b64 s[72:73], s[6:7], vcc
	s_xor_b64 s[6:7], s[72:73], -1
	s_and_saveexec_b64 s[98:99], s[6:7]
	s_xor_b64 s[6:7], exec, s[98:99]
; %bb.203:                              ;   in Loop: Header=BB19_11 Depth=1
	ds_write_b32 v173, v43 offset:192
; %bb.204:                              ;   in Loop: Header=BB19_11 Depth=1
	s_andn2_saveexec_b64 s[6:7], s[6:7]
	s_cbranch_execz .LBB19_206
; %bb.205:                              ;   in Loop: Header=BB19_11 Depth=1
	v_mad_u64_u32 v[2:3], s[4:5], v125, s53, v[92:93]
	v_ashrrev_i32_e32 v3, 31, v2
	v_lshl_add_u64 v[2:3], v[2:3], 3, v[122:123]
	global_load_dwordx2 v[2:3], v[2:3], off
	s_waitcnt vmcnt(0)
	v_cvt_pk_f16_f32 v2, v2, v3
	v_pk_mul_f16 v2, v2, v195
	v_add_u32_e32 v3, v172, v169
	ds_write_b32 v3, v2 offset:192
.LBB19_206:                             ;   in Loop: Header=BB19_11 Depth=1
	s_or_b64 exec, exec, s[6:7]
	v_add_u32_e32 v103, v171, v140
	v_cmp_gt_i32_e64 s[6:7], s28, v103
	s_and_b64 s[6:7], s[6:7], vcc
	s_xor_b64 s[4:5], s[6:7], -1
	s_and_saveexec_b64 s[98:99], s[4:5]
	s_xor_b64 s[98:99], exec, s[98:99]
; %bb.207:                              ;   in Loop: Header=BB19_11 Depth=1
	ds_write_b32 v174, v43 offset:192
                                        ; implicit-def: $vgpr122_vgpr123
; %bb.208:                              ;   in Loop: Header=BB19_11 Depth=1
	s_andn2_saveexec_b64 s[98:99], s[98:99]
	s_cbranch_execz .LBB19_210
; %bb.209:                              ;   in Loop: Header=BB19_11 Depth=1
	v_mad_u64_u32 v[2:3], s[4:5], v103, s53, v[92:93]
	v_ashrrev_i32_e32 v3, 31, v2
	v_lshl_add_u64 v[2:3], v[2:3], 3, v[122:123]
	global_load_dwordx2 v[2:3], v[2:3], off
	s_waitcnt vmcnt(0)
	v_cvt_pk_f16_f32 v2, v2, v3
	v_pk_mul_f16 v2, v2, v195
	v_add_u32_e32 v3, v172, v169
	ds_write_b32 v3, v2 offset:7872
.LBB19_210:                             ;   in Loop: Header=BB19_11 Depth=1
	s_or_b64 exec, exec, s[98:99]
	s_waitcnt lgkmcnt(0)
	s_barrier
	ds_read2_b64 v[10:13], v55 offset1:4
	ds_read2_b64 v[6:9], v55 offset0:8 offset1:12
	ds_read2_b64 v[2:5], v55 offset0:16 offset1:20
	ds_read_b64 v[122:123], v55 offset:192
	s_cmp_gt_i32 s38, 1
	s_mov_b64 s[98:99], -1
	s_waitcnt lgkmcnt(0)
	s_barrier
                                        ; implicit-def: $vgpr14_vgpr15
                                        ; implicit-def: $vgpr16_vgpr17
	s_cbranch_scc1 .LBB19_212
; %bb.211:                              ;   in Loop: Header=BB19_11 Depth=1
	v_add_u32_e32 v14, v140, v39
	v_add_u32_e32 v16, v140, v197
	v_mul_hi_u32 v15, s40, v14
	v_mul_hi_u32 v17, s40, v16
	v_add_u32_e32 v15, v14, v15
	v_add_u32_e32 v17, v16, v17
	v_lshrrev_b32_e32 v15, s41, v15
	v_lshrrev_b32_e32 v17, s41, v17
	v_mul_lo_u32 v15, v15, s28
	v_mul_lo_u32 v17, v17, s28
	v_sub_u32_e32 v14, v14, v15
	v_sub_u32_e32 v16, v16, v17
	v_mad_i64_i32 v[14:15], s[4:5], v14, s42, 0
	v_mad_i64_i32 v[16:17], s[4:5], v16, s42, 0
	s_mov_b64 s[98:99], 0
.LBB19_212:                             ;   in Loop: Header=BB19_11 Depth=1
	s_andn2_b64 vcc, exec, s[98:99]
	s_cbranch_vccnz .LBB19_220
; %bb.213:                              ;   in Loop: Header=BB19_11 Depth=1
	v_add_u32_e32 v14, v140, v39
	v_mul_hi_u32 v15, s40, v14
	v_add_u32_e32 v15, v14, v15
	v_lshrrev_b32_e32 v15, s41, v15
	v_mul_lo_u32 v15, v15, s28
	v_sub_u32_e32 v42, v14, v15
	v_add_u32_e32 v14, v140, v197
	v_mul_hi_u32 v15, s40, v14
	v_add_u32_e32 v15, v14, v15
	v_lshrrev_b32_e32 v15, s41, v15
	v_mul_lo_u32 v15, v15, s28
	v_sub_u32_e32 v124, v14, v15
	v_and_b32_e32 v14, 64, v222
	v_add_u32_e32 v14, 64, v14
	v_xor_b32_e32 v15, 32, v222
	v_cmp_lt_i32_e32 vcc, v15, v14
	v_readlane_b32 s4, v250, 21
	s_mov_b32 s55, s49
	v_cndmask_b32_e32 v15, v222, v15, vcc
	v_lshlrev_b32_e32 v238, 2, v15
	v_xor_b32_e32 v15, 16, v222
	v_cmp_lt_i32_e32 vcc, v15, v14
	s_add_i32 s49, s38, -1
	v_readlane_b32 s5, v250, 22
	v_cndmask_b32_e32 v14, v222, v15, vcc
	s_mov_b32 s38, s4
	v_lshlrev_b32_e32 v239, 2, v14
	v_mad_i64_i32 v[126:127], s[4:5], s38, v42, v[112:113]
	v_mad_i64_i32 v[128:129], s[4:5], s38, v124, v[112:113]
	v_lshl_add_u64 v[130:131], v[72:73], 0, v[120:121]
	v_lshl_add_u64 v[132:133], v[76:77], 0, v[120:121]
	;; [unrolled: 1-line block ×8, first 2 shown]
	v_mov_b32_e32 v34, 0
	v_mov_b32_e32 v27, 0xfeffffff
	;; [unrolled: 1-line block ×3, first 2 shown]
	s_mov_b32 s38, s49
	v_mov_b32_e32 v35, 0
	v_mov_b32_e32 v31, 0
	;; [unrolled: 1-line block ×13, first 2 shown]
.LBB19_214:                             ;   Parent Loop BB19_11 Depth=1
                                        ; =>  This Inner Loop Header: Depth=2
	v_lshl_add_u64 v[14:15], v[126:127], 0, v[70:71]
	global_load_dword v16, v[14:15], off
	v_lshl_add_u64 v[14:15], v[128:129], 0, v[70:71]
	global_load_dword v14, v[14:15], off
	v_add_u32_e32 v15, v198, v196
	s_waitcnt vmcnt(1)
	ds_write_b32 v15, v16 offset:15360
	s_waitcnt vmcnt(0)
	ds_write_b32 v15, v14 offset:16512
	s_and_saveexec_b64 s[98:99], s[0:1]
	s_cbranch_execz .LBB19_216
; %bb.215:                              ;   in Loop: Header=BB19_214 Depth=2
	v_lshl_add_u64 v[14:15], v[118:119], 0, v[114:115]
	global_load_dwordx4 v[14:17], v[14:15], off
	s_waitcnt vmcnt(0)
	ds_write_b128 v99, v[14:17]
.LBB19_216:                             ;   in Loop: Header=BB19_214 Depth=2
	s_or_b64 exec, exec, s[98:99]
	v_lshl_add_u64 v[14:15], v[136:137], 0, v[114:115]
	global_load_dwordx4 v[14:17], v[14:15], off
	v_lshl_add_u64 v[18:19], v[138:139], 0, v[114:115]
	v_lshl_add_u64 v[20:21], v[140:141], 0, v[114:115]
	v_add_u32_e32 v22, 0x800, v199
	v_add_u32_e32 v236, 0x1800, v199
	s_waitcnt vmcnt(0)
	ds_write_b128 v69, v[14:17]
	global_load_dwordx4 v[14:17], v[18:19], off
	s_waitcnt vmcnt(0)
	ds_write_b128 v91, v[14:17]
	global_load_dwordx4 v[14:17], v[20:21], off
	s_waitcnt vmcnt(0)
	ds_write_b128 v95, v[14:17]
	s_waitcnt lgkmcnt(0)
	s_barrier
	ds_read2_b64 v[14:17], v199 offset1:4
	s_waitcnt lgkmcnt(0)
	v_mfma_f32_16x16x16_f16 v[18:21], v[14:15], v[10:11], 0
	v_mfma_f32_16x16x16_f16 v[14:17], v[16:17], v[12:13], v[18:21]
	s_nop 6
	ds_read2_b64 v[18:21], v199 offset0:8 offset1:12
	s_waitcnt lgkmcnt(0)
	v_mfma_f32_16x16x16_f16 v[14:17], v[18:19], v[6:7], v[14:17]
	v_mfma_f32_16x16x16_f16 v[14:17], v[20:21], v[8:9], v[14:17]
	ds_read2_b64 v[18:21], v199 offset0:16 offset1:20
	s_waitcnt lgkmcnt(0)
	v_mfma_f32_16x16x16_f16 v[14:17], v[18:19], v[2:3], v[14:17]
	ds_read_b64 v[18:19], v199 offset:192
	v_mfma_f32_16x16x16_f16 v[14:17], v[20:21], v[4:5], v[14:17]
	s_waitcnt lgkmcnt(0)
	v_mfma_f32_16x16x16_f16 v[146:149], v[18:19], v[122:123], v[14:17]
	s_nop 5
	ds_read2_b64 v[14:17], v22 offset0:224 offset1:228
	s_waitcnt lgkmcnt(0)
	v_mfma_f32_16x16x16_f16 v[18:21], v[14:15], v[10:11], 0
	v_mfma_f32_16x16x16_f16 v[14:17], v[16:17], v[12:13], v[18:21]
	s_nop 6
	ds_read2_b64 v[18:21], v22 offset0:232 offset1:236
	s_waitcnt lgkmcnt(0)
	v_mfma_f32_16x16x16_f16 v[14:17], v[18:19], v[6:7], v[14:17]
	v_mfma_f32_16x16x16_f16 v[14:17], v[20:21], v[8:9], v[14:17]
	ds_read2_b64 v[18:21], v22 offset0:240 offset1:244
	s_waitcnt lgkmcnt(0)
	v_mfma_f32_16x16x16_f16 v[14:17], v[18:19], v[2:3], v[14:17]
	ds_read_b64 v[18:19], v199 offset:4032
	v_mfma_f32_16x16x16_f16 v[14:17], v[20:21], v[4:5], v[14:17]
	s_waitcnt lgkmcnt(0)
	v_mfma_f32_16x16x16_f16 v[18:21], v[18:19], v[122:123], v[14:17]
	s_nop 5
	ds_read2_b64 v[14:17], v236 offset0:192 offset1:196
	s_waitcnt lgkmcnt(0)
	v_mfma_f32_16x16x16_f16 v[22:25], v[14:15], v[10:11], 0
	v_mfma_f32_16x16x16_f16 v[14:17], v[16:17], v[12:13], v[22:25]
	s_nop 6
	ds_read2_b64 v[22:25], v236 offset0:200 offset1:204
	s_waitcnt lgkmcnt(0)
	v_mfma_f32_16x16x16_f16 v[14:17], v[22:23], v[6:7], v[14:17]
	v_mfma_f32_16x16x16_f16 v[14:17], v[24:25], v[8:9], v[14:17]
	ds_read2_b64 v[22:25], v236 offset0:208 offset1:212
	v_add_u32_e32 v236, 0x2800, v199
	s_waitcnt lgkmcnt(0)
	v_mfma_f32_16x16x16_f16 v[14:17], v[22:23], v[2:3], v[14:17]
	ds_read_b64 v[22:23], v199 offset:7872
	v_mfma_f32_16x16x16_f16 v[14:17], v[24:25], v[4:5], v[14:17]
	s_waitcnt lgkmcnt(0)
	v_mfma_f32_16x16x16_f16 v[22:25], v[22:23], v[122:123], v[14:17]
	s_nop 5
	ds_read2_b64 v[14:17], v236 offset0:160 offset1:164
	s_waitcnt lgkmcnt(0)
	v_mfma_f32_16x16x16_f16 v[240:243], v[14:15], v[10:11], 0
	v_mfma_f32_16x16x16_f16 v[14:17], v[16:17], v[12:13], v[240:243]
	s_nop 6
	ds_read2_b64 v[240:243], v236 offset0:168 offset1:172
	s_waitcnt lgkmcnt(0)
	v_mfma_f32_16x16x16_f16 v[14:17], v[240:241], v[6:7], v[14:17]
	v_mfma_f32_16x16x16_f16 v[14:17], v[242:243], v[8:9], v[14:17]
	ds_read2_b64 v[240:243], v236 offset0:176 offset1:180
	ds_read_b64 v[236:237], v199 offset:11712
	s_waitcnt lgkmcnt(0)
	v_mfma_f32_16x16x16_f16 v[14:17], v[240:241], v[2:3], v[14:17]
	s_barrier
	v_mfma_f32_16x16x16_f16 v[14:17], v[242:243], v[4:5], v[14:17]
	v_mfma_f32_16x16x16_f16 v[14:17], v[236:237], v[122:123], v[14:17]
	ds_read_b32 v236, v101 offset:15360
	s_waitcnt lgkmcnt(0)
	v_cvt_f32_f16_e32 v237, v236
	v_cvt_f32_f16_sdwa v236, v236 dst_sel:DWORD dst_unused:UNUSED_PAD src0_sel:WORD_1
	v_add_f32_e32 v245, v146, v237
	ds_read_b32 v146, v150 offset:15360
	v_add_f32_e32 v244, v147, v236
	s_waitcnt lgkmcnt(0)
	v_cvt_f32_f16_e32 v147, v146
	v_cvt_f32_f16_sdwa v146, v146 dst_sel:DWORD dst_unused:UNUSED_PAD src0_sel:WORD_1
	v_add_f32_e32 v243, v148, v147
	v_add_f32_e32 v241, v149, v146
	v_add_u32_e32 v146, 0x3c00, v200
	ds_read2_b32 v[146:147], v146 offset1:1
	s_waitcnt lgkmcnt(0)
	v_cvt_f32_f16_e32 v148, v146
	v_cvt_f32_f16_sdwa v146, v146 dst_sel:DWORD dst_unused:UNUSED_PAD src0_sel:WORD_1
	v_add_f32_e32 v242, v18, v148
	v_cvt_f32_f16_e32 v18, v147
	v_add_f32_e32 v240, v19, v146
	v_cvt_f32_f16_sdwa v19, v147 dst_sel:DWORD dst_unused:UNUSED_PAD src0_sel:WORD_1
	v_add_f32_e32 v146, v20, v18
	v_add_u32_e32 v18, 0x3c00, v201
	v_add_f32_e32 v147, v21, v19
	ds_read2_b32 v[18:19], v18 offset1:1
	s_waitcnt lgkmcnt(0)
	v_cvt_f32_f16_e32 v20, v18
	v_cvt_f32_f16_sdwa v18, v18 dst_sel:DWORD dst_unused:UNUSED_PAD src0_sel:WORD_1
	v_add_f32_e32 v148, v22, v20
	v_add_f32_e32 v149, v23, v18
	v_cvt_f32_f16_e32 v18, v19
	v_cvt_f32_f16_sdwa v19, v19 dst_sel:DWORD dst_unused:UNUSED_PAD src0_sel:WORD_1
	v_add_f32_e32 v23, v24, v18
	v_add_u32_e32 v18, 0x3c00, v202
	v_add_f32_e32 v22, v25, v19
	ds_read2_b32 v[18:19], v18 offset1:1
	s_waitcnt lgkmcnt(0)
	v_cvt_f32_f16_e32 v20, v18
	v_cvt_f32_f16_sdwa v18, v18 dst_sel:DWORD dst_unused:UNUSED_PAD src0_sel:WORD_1
	v_add_f32_e32 v237, v14, v20
	v_add_f32_e32 v14, v15, v18
	v_cvt_f32_f16_e32 v15, v19
	v_cvt_f32_f16_sdwa v18, v19 dst_sel:DWORD dst_unused:UNUSED_PAD src0_sel:WORD_1
	v_add_f32_e32 v19, 0x40051340, v241
	v_add_f32_e32 v16, v16, v15
	v_add_f32_e32 v15, v17, v18
	v_add_f32_e32 v17, 0x40051340, v245
	v_add_f32_e32 v18, 0x40051340, v244
	v_max3_f32 v17, v27, v17, v18
	v_add_f32_e32 v18, 0x40051340, v243
	v_max3_f32 v17, v17, v18, v19
	v_add_f32_e32 v18, 0x40051340, v242
	v_add_f32_e32 v19, 0x40051340, v240
	v_max3_f32 v17, v17, v18, v19
	v_add_f32_e32 v18, 0x40051340, v146
	;; [unrolled: 3-line block ×6, first 2 shown]
	v_add_f32_e32 v19, 0x40051340, v15
	v_max3_f32 v17, v17, v18, v19
	ds_bpermute_b32 v18, v238, v17
	s_waitcnt lgkmcnt(0)
	v_max_f32_e32 v18, v18, v18
	v_max_f32_e32 v17, v17, v18
	ds_bpermute_b32 v18, v239, v17
	s_and_saveexec_b64 s[98:99], s[0:1]
	s_cbranch_execz .LBB19_218
; %bb.217:                              ;   in Loop: Header=BB19_214 Depth=2
	v_lshl_add_u64 v[20:21], v[130:131], 0, v[116:117]
	global_load_dwordx4 v[246:249], v[20:21], off
	s_waitcnt vmcnt(0)
	ds_write_b128 v99, v[246:249]
.LBB19_218:                             ;   in Loop: Header=BB19_214 Depth=2
	s_or_b64 exec, exec, s[98:99]
	s_waitcnt lgkmcnt(0)
	v_max_f32_e32 v18, v18, v18
	v_max_f32_e32 v17, v17, v17
	;; [unrolled: 1-line block ×3, first 2 shown]
	v_sub_f32_e32 v17, v245, v236
	v_mul_f32_e32 v18, 0x3fb8aa3b, v17
	v_fma_f32 v19, v17, s43, -v18
	v_rndne_f32_e32 v20, v18
	v_fmac_f32_e32 v19, 0x32a5705f, v17
	v_sub_f32_e32 v18, v18, v20
	v_add_f32_e32 v18, v18, v19
	v_exp_f32_e32 v18, v18
	v_cvt_i32_f32_e32 v19, v20
	v_cmp_ngt_f32_e32 vcc, s58, v17
	v_sub_f32_e32 v146, v146, v236
	v_sub_f32_e32 v147, v147, v236
	v_ldexp_f32 v18, v18, v19
	v_cndmask_b32_e32 v18, 0, v18, vcc
	v_cmp_nlt_f32_e32 vcc, s59, v17
	v_sub_f32_e32 v17, v244, v236
	v_mul_f32_e32 v19, 0x3fb8aa3b, v17
	v_fma_f32 v20, v17, s43, -v19
	v_rndne_f32_e32 v21, v19
	v_fmac_f32_e32 v20, 0x32a5705f, v17
	v_sub_f32_e32 v19, v19, v21
	v_add_f32_e32 v19, v19, v20
	v_exp_f32_e32 v19, v19
	v_cvt_i32_f32_e32 v20, v21
	v_cndmask_b32_e32 v18, v223, v18, vcc
	v_cmp_ngt_f32_e32 vcc, s58, v17
	v_sub_f32_e32 v148, v148, v236
	v_ldexp_f32 v19, v19, v20
	v_sub_f32_e32 v20, v243, v236
	v_mul_f32_e32 v21, 0x3fb8aa3b, v20
	v_fma_f32 v24, v20, s43, -v21
	v_rndne_f32_e32 v25, v21
	v_fmac_f32_e32 v24, 0x32a5705f, v20
	v_sub_f32_e32 v21, v21, v25
	v_add_f32_e32 v21, v21, v24
	v_exp_f32_e32 v21, v21
	v_cvt_i32_f32_e32 v24, v25
	v_cndmask_b32_e32 v19, 0, v19, vcc
	v_cmp_nlt_f32_e32 vcc, s59, v17
	v_sub_f32_e32 v149, v149, v236
	v_ldexp_f32 v21, v21, v24
	v_cndmask_b32_e32 v19, v223, v19, vcc
	v_cmp_ngt_f32_e32 vcc, s58, v20
	v_sub_f32_e32 v23, v23, v236
	v_sub_f32_e32 v22, v22, v236
	v_cndmask_b32_e32 v21, 0, v21, vcc
	v_cmp_nlt_f32_e32 vcc, s59, v20
	v_add_f32_e32 v17, v18, v19
	v_sub_f32_e32 v14, v14, v236
	v_cndmask_b32_e32 v20, v223, v21, vcc
	v_sub_f32_e32 v21, v241, v236
	v_mul_f32_e32 v24, 0x3fb8aa3b, v21
	v_fma_f32 v25, v21, s43, -v24
	v_rndne_f32_e32 v241, v24
	v_fmac_f32_e32 v25, 0x32a5705f, v21
	v_sub_f32_e32 v24, v24, v241
	v_add_f32_e32 v24, v24, v25
	v_exp_f32_e32 v24, v24
	v_cvt_i32_f32_e32 v25, v241
	v_cmp_ngt_f32_e32 vcc, s58, v21
	v_add_f32_e32 v17, v20, v17
	v_sub_f32_e32 v16, v16, v236
	v_ldexp_f32 v24, v24, v25
	v_cndmask_b32_e32 v24, 0, v24, vcc
	v_cmp_nlt_f32_e32 vcc, s59, v21
	v_sub_f32_e32 v21, v242, v236
	v_mul_f32_e32 v25, 0x3fb8aa3b, v21
	v_fma_f32 v241, v21, s43, -v25
	v_rndne_f32_e32 v242, v25
	v_fmac_f32_e32 v241, 0x32a5705f, v21
	v_sub_f32_e32 v25, v25, v242
	v_add_f32_e32 v25, v25, v241
	v_exp_f32_e32 v25, v25
	v_cvt_i32_f32_e32 v241, v242
	v_cndmask_b32_e32 v24, v223, v24, vcc
	v_cmp_ngt_f32_e32 vcc, s58, v21
	v_add_f32_e32 v17, v24, v17
	v_ldexp_f32 v25, v25, v241
	v_cndmask_b32_e32 v25, 0, v25, vcc
	v_cmp_nlt_f32_e32 vcc, s59, v21
	v_sub_f32_e32 v15, v15, v236
	s_add_i32 s38, s38, -1
	v_cndmask_b32_e32 v21, v223, v25, vcc
	v_sub_f32_e32 v25, v240, v236
	v_mul_f32_e32 v240, 0x3fb8aa3b, v25
	v_fma_f32 v241, v25, s43, -v240
	v_rndne_f32_e32 v242, v240
	v_fmac_f32_e32 v241, 0x32a5705f, v25
	v_sub_f32_e32 v240, v240, v242
	v_add_f32_e32 v240, v240, v241
	v_exp_f32_e32 v240, v240
	v_cvt_i32_f32_e32 v241, v242
	v_cmp_ngt_f32_e32 vcc, s58, v25
	v_add_f32_e32 v17, v21, v17
	v_lshl_add_u64 v[126:127], v[126:127], 0, s[68:69]
	v_ldexp_f32 v240, v240, v241
	v_cndmask_b32_e32 v240, 0, v240, vcc
	v_cmp_nlt_f32_e32 vcc, s59, v25
	v_lshl_add_u64 v[128:129], v[128:129], 0, s[68:69]
	v_lshl_add_u64 v[130:131], v[130:131], 0, s[66:67]
	v_cndmask_b32_e32 v25, v223, v240, vcc
	v_mul_f32_e32 v240, 0x3fb8aa3b, v146
	v_fma_f32 v241, v146, s43, -v240
	v_rndne_f32_e32 v242, v240
	v_fmac_f32_e32 v241, 0x32a5705f, v146
	v_sub_f32_e32 v240, v240, v242
	v_add_f32_e32 v240, v240, v241
	v_exp_f32_e32 v240, v240
	v_cvt_i32_f32_e32 v241, v242
	v_cmp_ngt_f32_e32 vcc, s58, v146
	v_add_f32_e32 v17, v25, v17
	v_lshl_add_u64 v[136:137], v[136:137], 0, s[70:71]
	v_ldexp_f32 v240, v240, v241
	v_cndmask_b32_e32 v240, 0, v240, vcc
	v_cmp_nlt_f32_e32 vcc, s59, v146
	v_lshl_add_u64 v[138:139], v[138:139], 0, s[70:71]
	v_lshl_add_u64 v[140:141], v[140:141], 0, s[70:71]
	v_cndmask_b32_e32 v146, v223, v240, vcc
	v_mul_f32_e32 v240, 0x3fb8aa3b, v147
	v_fma_f32 v241, v147, s43, -v240
	v_rndne_f32_e32 v242, v240
	v_fmac_f32_e32 v241, 0x32a5705f, v147
	v_sub_f32_e32 v240, v240, v242
	v_add_f32_e32 v240, v240, v241
	v_exp_f32_e32 v240, v240
	v_cvt_i32_f32_e32 v241, v242
	v_cmp_ngt_f32_e32 vcc, s58, v147
	v_add_f32_e32 v17, v146, v17
	v_lshl_add_u64 v[118:119], v[118:119], 0, s[70:71]
	v_ldexp_f32 v240, v240, v241
	v_cndmask_b32_e32 v240, 0, v240, vcc
	v_cmp_nlt_f32_e32 vcc, s59, v147
	s_cmp_lg_u32 s38, 0
	s_nop 0
	v_cndmask_b32_e32 v147, v223, v240, vcc
	v_mul_f32_e32 v240, 0x3fb8aa3b, v148
	v_fma_f32 v241, v148, s43, -v240
	v_rndne_f32_e32 v242, v240
	v_fmac_f32_e32 v241, 0x32a5705f, v148
	v_sub_f32_e32 v240, v240, v242
	v_add_f32_e32 v240, v240, v241
	v_exp_f32_e32 v240, v240
	v_cvt_i32_f32_e32 v241, v242
	v_cmp_ngt_f32_e32 vcc, s58, v148
	v_add_f32_e32 v17, v147, v17
	v_cvt_pk_f16_f32 v147, v146, v147
	v_ldexp_f32 v240, v240, v241
	v_cndmask_b32_e32 v240, 0, v240, vcc
	v_cmp_nlt_f32_e32 vcc, s59, v148
	v_cvt_pk_f16_f32 v146, v21, v25
	s_nop 0
	v_cndmask_b32_e32 v148, v223, v240, vcc
	v_mul_f32_e32 v240, 0x3fb8aa3b, v149
	v_fma_f32 v241, v149, s43, -v240
	v_rndne_f32_e32 v242, v240
	v_fmac_f32_e32 v241, 0x32a5705f, v149
	v_sub_f32_e32 v240, v240, v242
	v_add_f32_e32 v240, v240, v241
	v_exp_f32_e32 v240, v240
	v_cvt_i32_f32_e32 v241, v242
	v_cmp_ngt_f32_e32 vcc, s58, v149
	v_add_f32_e32 v17, v148, v17
	v_ldexp_f32 v240, v240, v241
	v_cndmask_b32_e32 v240, 0, v240, vcc
	v_cmp_nlt_f32_e32 vcc, s59, v149
	v_mul_f32_e32 v149, 0x3fb8aa3b, v23
	v_rndne_f32_e32 v241, v149
	v_cndmask_b32_e32 v242, v223, v240, vcc
	v_fma_f32 v240, v23, s43, -v149
	v_fmac_f32_e32 v240, 0x32a5705f, v23
	v_sub_f32_e32 v149, v149, v241
	v_add_f32_e32 v149, v149, v240
	v_exp_f32_e32 v149, v149
	v_cvt_i32_f32_e32 v240, v241
	v_cmp_ngt_f32_e32 vcc, s58, v23
	v_add_f32_e32 v17, v242, v17
	v_cvt_pk_f16_f32 v148, v148, v242
	v_ldexp_f32 v149, v149, v240
	v_cndmask_b32_e32 v149, 0, v149, vcc
	v_cmp_nlt_f32_e32 vcc, s59, v23
	v_mul_f32_e32 v23, 0x3fb8aa3b, v22
	v_fma_f32 v240, v22, s43, -v23
	v_rndne_f32_e32 v241, v23
	v_fmac_f32_e32 v240, 0x32a5705f, v22
	v_sub_f32_e32 v23, v23, v241
	v_add_f32_e32 v23, v23, v240
	v_exp_f32_e32 v23, v23
	v_cvt_i32_f32_e32 v240, v241
	v_cndmask_b32_e32 v149, v223, v149, vcc
	v_cmp_ngt_f32_e32 vcc, s58, v22
	v_add_f32_e32 v17, v149, v17
	v_ldexp_f32 v23, v23, v240
	v_cndmask_b32_e32 v23, 0, v23, vcc
	v_cmp_nlt_f32_e32 vcc, s59, v22
	v_sub_f32_e32 v22, v237, v236
	s_nop 0
	v_cndmask_b32_e32 v244, v223, v23, vcc
	v_mul_f32_e32 v23, 0x3fb8aa3b, v22
	v_fma_f32 v237, v22, s43, -v23
	v_rndne_f32_e32 v240, v23
	v_fmac_f32_e32 v237, 0x32a5705f, v22
	v_sub_f32_e32 v23, v23, v240
	v_add_f32_e32 v23, v23, v237
	v_exp_f32_e32 v23, v23
	v_cvt_i32_f32_e32 v237, v240
	v_cmp_ngt_f32_e32 vcc, s58, v22
	v_add_f32_e32 v17, v244, v17
	v_cvt_pk_f16_f32 v149, v149, v244
	v_ldexp_f32 v23, v23, v237
	v_cndmask_b32_e32 v23, 0, v23, vcc
	v_cmp_nlt_f32_e32 vcc, s59, v22
	v_mul_f32_e32 v22, 0x3fb8aa3b, v14
	v_rndne_f32_e32 v237, v22
	v_cndmask_b32_e32 v243, v223, v23, vcc
	v_fma_f32 v23, v14, s43, -v22
	v_fmac_f32_e32 v23, 0x32a5705f, v14
	v_sub_f32_e32 v22, v22, v237
	v_add_f32_e32 v22, v22, v23
	v_exp_f32_e32 v22, v22
	v_cvt_i32_f32_e32 v23, v237
	v_cmp_ngt_f32_e32 vcc, s58, v14
	v_add_f32_e32 v17, v243, v17
	v_ldexp_f32 v22, v22, v23
	v_cndmask_b32_e32 v22, 0, v22, vcc
	v_cmp_nlt_f32_e32 vcc, s59, v14
	s_nop 1
	v_cndmask_b32_e32 v245, v223, v22, vcc
	v_add_f32_e32 v14, v245, v17
	v_mul_f32_e32 v17, 0x3fb8aa3b, v16
	v_fma_f32 v22, v16, s43, -v17
	v_rndne_f32_e32 v23, v17
	v_fmac_f32_e32 v22, 0x32a5705f, v16
	v_sub_f32_e32 v17, v17, v23
	v_add_f32_e32 v17, v17, v22
	v_exp_f32_e32 v17, v17
	v_cvt_i32_f32_e32 v22, v23
	v_cmp_ngt_f32_e32 vcc, s58, v16
	v_ldexp_f32 v17, v17, v22
	s_nop 0
	v_cndmask_b32_e32 v17, 0, v17, vcc
	v_cmp_nlt_f32_e32 vcc, s59, v16
	v_mul_f32_e32 v16, 0x3fb8aa3b, v15
	v_rndne_f32_e32 v22, v16
	v_cndmask_b32_e32 v246, v223, v17, vcc
	v_fma_f32 v17, v15, s43, -v16
	v_fmac_f32_e32 v17, 0x32a5705f, v15
	v_sub_f32_e32 v16, v16, v22
	v_add_f32_e32 v16, v16, v17
	v_exp_f32_e32 v16, v16
	v_cvt_i32_f32_e32 v17, v22
	v_cmp_ngt_f32_e32 vcc, s58, v15
	v_add_f32_e32 v14, v246, v14
	v_ldexp_f32 v16, v16, v17
	v_cndmask_b32_e32 v16, 0, v16, vcc
	v_cmp_nlt_f32_e32 vcc, s59, v15
	s_nop 1
	v_cndmask_b32_e32 v247, v223, v16, vcc
	v_add_f32_e32 v237, v247, v14
	v_sub_f32_e32 v14, v27, v236
	v_mul_f32_e32 v15, 0x3fb8aa3b, v14
	v_fma_f32 v16, v14, s43, -v15
	v_rndne_f32_e32 v17, v15
	v_fmac_f32_e32 v16, 0x32a5705f, v14
	v_sub_f32_e32 v15, v15, v17
	v_add_f32_e32 v15, v15, v16
	v_exp_f32_e32 v15, v15
	v_cvt_i32_f32_e32 v16, v17
	v_cmp_ngt_f32_e32 vcc, s58, v14
	v_ldexp_f32 v15, v15, v16
	s_nop 0
	v_cndmask_b32_e32 v15, 0, v15, vcc
	v_cmp_nlt_f32_e32 vcc, s59, v14
	s_nop 1
	v_cndmask_b32_e32 v15, v223, v15, vcc
	v_cmp_le_f32_e32 vcc, s62, v14
	s_nop 1
	v_cndmask_b32_e32 v14, 0, v15, vcc
	v_fmac_f32_e32 v237, v26, v14
	v_cvt_f16_f32_e32 v14, v14
	v_mul_u32_u24_e32 v14, 0x10001, v14
	v_pk_mul_f16 v145, v145, v14
	v_pk_mul_f16 v144, v144, v14
	;; [unrolled: 1-line block ×14, first 2 shown]
	v_lshl_add_u64 v[14:15], v[132:133], 0, v[116:117]
	global_load_dwordx4 v[14:17], v[14:15], off
	v_cvt_pk_f16_f32 v143, v246, v247
	v_cvt_pk_f16_f32 v142, v243, v245
	v_cvt_f32_f16_e32 v242, v23
	v_cvt_f32_f16_sdwa v243, v23 dst_sel:DWORD dst_unused:UNUSED_PAD src0_sel:WORD_1
	v_cvt_f32_f16_e32 v244, v22
	v_cvt_f32_f16_sdwa v245, v22 dst_sel:DWORD dst_unused:UNUSED_PAD src0_sel:WORD_1
	v_lshl_add_u64 v[132:133], v[132:133], 0, s[66:67]
	s_waitcnt vmcnt(0)
	ds_write_b128 v69, v[14:17]
	v_lshl_add_u64 v[14:15], v[134:135], 0, v[116:117]
	global_load_dwordx4 v[14:17], v[14:15], off
	v_lshl_add_u64 v[134:135], v[134:135], 0, s[66:67]
	s_waitcnt vmcnt(0)
	ds_write_b128 v91, v[14:17]
	v_lshl_add_u64 v[14:15], v[120:121], 0, v[116:117]
	global_load_dwordx4 v[14:17], v[14:15], off
	v_lshl_add_u64 v[120:121], v[120:121], 0, s[66:67]
	s_waitcnt vmcnt(0)
	ds_write_b128 v95, v[14:17]
	s_waitcnt lgkmcnt(0)
	s_barrier
	ds_read_u16 v28, v151 offset:240
	ds_read_u16 v29, v152
	ds_read_u16 v32, v152 offset:32
	ds_read_u16 v33, v153
	ds_read_u16 v35, v153 offset:32
	v_cvt_f32_f16_e32 v14, v145
	v_cvt_f32_f16_sdwa v15, v145 dst_sel:DWORD dst_unused:UNUSED_PAD src0_sel:WORD_1
	v_cvt_f32_f16_e32 v16, v144
	s_waitcnt lgkmcnt(1)
	v_perm_b32 v29, v33, v29, s63
	ds_read_u16 v33, v151
	ds_read_u16 v37, v151 offset:32
	v_cvt_f32_f16_sdwa v17, v144 dst_sel:DWORD dst_unused:UNUSED_PAD src0_sel:WORD_1
	v_cvt_pk_f16_f32 v145, v20, v24
	v_cvt_pk_f16_f32 v144, v18, v19
	s_waitcnt lgkmcnt(1)
	v_perm_b32 v28, v28, v33, s63
	ds_read_u16 v18, v151 offset:3840
	ds_read_u16 v20, v151 offset:4080
	;; [unrolled: 1-line block ×4, first 2 shown]
	v_mfma_f32_16x16x16_f16 v[14:17], v[28:29], v[144:145], v[14:17]
	s_waitcnt lgkmcnt(0)
	v_perm_b32 v19, v24, v19, s63
	v_perm_b32 v18, v20, v18, s63
	;; [unrolled: 1-line block ×3, first 2 shown]
	s_nop 3
	v_cvt_f16_f32_e32 v14, v14
	v_cvt_f16_f32_e32 v15, v15
	;; [unrolled: 1-line block ×4, first 2 shown]
	v_cvt_f32_f16_e32 v14, v14
	v_cvt_f32_f16_e32 v15, v15
	;; [unrolled: 1-line block ×4, first 2 shown]
	s_nop 1
	v_mfma_f32_16x16x16_f16 v[14:17], v[18:19], v[146:147], v[14:17]
	ds_read_u16 v18, v151 offset:7680
	ds_read_u16 v20, v151 offset:7920
	;; [unrolled: 1-line block ×4, first 2 shown]
	s_nop 3
	v_cvt_f16_f32_e32 v14, v14
	v_cvt_f16_f32_e32 v15, v15
	;; [unrolled: 1-line block ×4, first 2 shown]
	s_waitcnt lgkmcnt(0)
	v_perm_b32 v19, v21, v19, s63
	v_perm_b32 v18, v20, v18, s63
	v_cvt_f32_f16_e32 v14, v14
	v_cvt_f32_f16_e32 v15, v15
	;; [unrolled: 1-line block ×4, first 2 shown]
	s_nop 1
	v_mfma_f32_16x16x16_f16 v[14:17], v[18:19], v[148:149], v[14:17]
	ds_read_u16 v18, v151 offset:11520
	ds_read_u16 v20, v151 offset:11760
	ds_read_u16 v19, v152 offset:11520
	ds_read_u16 v21, v153 offset:11520
	ds_read_u16 v24, v151 offset:272
	s_nop 2
	v_cvt_f16_f32_e32 v14, v14
	v_cvt_f16_f32_e32 v15, v15
	v_cvt_f16_f32_e32 v16, v16
	v_cvt_f16_f32_e32 v17, v17
	s_waitcnt lgkmcnt(1)
	v_perm_b32 v19, v21, v19, s63
	v_perm_b32 v18, v20, v18, s63
	v_cvt_f32_f16_e32 v14, v14
	v_cvt_f32_f16_e32 v15, v15
	;; [unrolled: 1-line block ×4, first 2 shown]
	s_waitcnt lgkmcnt(0)
	v_perm_b32 v24, v24, v37, s63
	v_cvt_f32_f16_e32 v20, v248
	v_mfma_f32_16x16x16_f16 v[14:17], v[18:19], v[142:143], v[14:17]
	v_cvt_f32_f16_e32 v18, v249
	v_cvt_f32_f16_sdwa v19, v249 dst_sel:DWORD dst_unused:UNUSED_PAD src0_sel:WORD_1
	v_cvt_f32_f16_sdwa v21, v248 dst_sel:DWORD dst_unused:UNUSED_PAD src0_sel:WORD_1
	s_nop 1
	v_mfma_f32_16x16x16_f16 v[18:21], v[24:25], v[144:145], v[18:21]
	ds_read_u16 v24, v151 offset:3872
	ds_read_u16 v28, v151 offset:4112
	ds_read_u16 v25, v152 offset:3872
	ds_read_u16 v29, v153 offset:3872
	s_nop 3
	v_cvt_f16_f32_e32 v18, v18
	v_cvt_f16_f32_e32 v19, v19
	v_cvt_f16_f32_e32 v20, v20
	v_cvt_f16_f32_e32 v21, v21
	s_waitcnt lgkmcnt(0)
	v_perm_b32 v25, v29, v25, s63
	v_perm_b32 v24, v28, v24, s63
	v_cvt_f32_f16_e32 v18, v18
	v_cvt_f32_f16_e32 v19, v19
	v_cvt_f32_f16_e32 v20, v20
	v_cvt_f32_f16_e32 v21, v21
	s_nop 1
	v_mfma_f32_16x16x16_f16 v[18:21], v[24:25], v[146:147], v[18:21]
	ds_read_u16 v24, v151 offset:7712
	ds_read_u16 v28, v151 offset:7952
	ds_read_u16 v25, v152 offset:7712
	ds_read_u16 v29, v153 offset:7712
	s_nop 3
	v_cvt_f16_f32_e32 v18, v18
	v_cvt_f16_f32_e32 v19, v19
	v_cvt_f16_f32_e32 v20, v20
	v_cvt_f16_f32_e32 v21, v21
	s_waitcnt lgkmcnt(0)
	v_perm_b32 v25, v29, v25, s63
	v_perm_b32 v24, v28, v24, s63
	v_cvt_f32_f16_e32 v18, v18
	v_cvt_f32_f16_e32 v19, v19
	v_cvt_f32_f16_e32 v20, v20
	v_cvt_f32_f16_e32 v21, v21
	;; [unrolled: 18-line block ×3, first 2 shown]
	s_nop 1
	v_mfma_f32_16x16x16_f16 v[18:21], v[24:25], v[142:143], v[18:21]
	ds_read_u16 v24, v151 offset:64
	ds_read_u16 v25, v151 offset:304
	;; [unrolled: 1-line block ×4, first 2 shown]
	s_waitcnt lgkmcnt(2)
	v_perm_b32 v22, v25, v24, s63
	s_waitcnt lgkmcnt(0)
	v_perm_b32 v23, v29, v28, s63
	ds_read_u16 v28, v151 offset:3904
	ds_read_u16 v32, v151 offset:4144
	;; [unrolled: 1-line block ×4, first 2 shown]
	v_mfma_f32_16x16x16_f16 v[22:25], v[22:23], v[144:145], v[242:245]
	s_waitcnt lgkmcnt(0)
	v_perm_b32 v29, v33, v29, s63
	v_perm_b32 v28, v32, v28, s63
	v_cvt_f32_f16_e32 v242, v27
	s_nop 3
	v_cvt_f16_f32_e32 v22, v22
	v_cvt_f16_f32_e32 v23, v23
	;; [unrolled: 1-line block ×4, first 2 shown]
	v_cvt_f32_f16_e32 v22, v22
	v_cvt_f32_f16_e32 v23, v23
	;; [unrolled: 1-line block ×4, first 2 shown]
	v_cvt_f32_f16_sdwa v243, v27 dst_sel:DWORD dst_unused:UNUSED_PAD src0_sel:WORD_1
	v_cvt_f32_f16_e32 v244, v26
	v_mfma_f32_16x16x16_f16 v[22:25], v[28:29], v[146:147], v[22:25]
	ds_read_u16 v28, v151 offset:7744
	ds_read_u16 v32, v151 offset:7984
	;; [unrolled: 1-line block ×4, first 2 shown]
	v_cvt_f32_f16_sdwa v245, v26 dst_sel:DWORD dst_unused:UNUSED_PAD src0_sel:WORD_1
	s_nop 2
	v_cvt_f16_f32_e32 v22, v22
	v_cvt_f16_f32_e32 v23, v23
	;; [unrolled: 1-line block ×4, first 2 shown]
	s_waitcnt lgkmcnt(0)
	v_perm_b32 v29, v33, v29, s63
	v_perm_b32 v28, v32, v28, s63
	v_cvt_f32_f16_e32 v22, v22
	v_cvt_f32_f16_e32 v23, v23
	;; [unrolled: 1-line block ×4, first 2 shown]
	s_nop 1
	v_mfma_f32_16x16x16_f16 v[22:25], v[28:29], v[148:149], v[22:25]
	ds_read_u16 v28, v151 offset:11584
	ds_read_u16 v32, v151 offset:11824
	;; [unrolled: 1-line block ×4, first 2 shown]
	s_nop 3
	v_cvt_f16_f32_e32 v22, v22
	v_cvt_f16_f32_e32 v23, v23
	;; [unrolled: 1-line block ×4, first 2 shown]
	s_waitcnt lgkmcnt(0)
	v_perm_b32 v29, v33, v29, s63
	v_perm_b32 v28, v32, v28, s63
	v_cvt_f32_f16_e32 v22, v22
	v_cvt_f32_f16_e32 v23, v23
	;; [unrolled: 1-line block ×4, first 2 shown]
	s_nop 1
	v_mfma_f32_16x16x16_f16 v[22:25], v[28:29], v[142:143], v[22:25]
	ds_read_u16 v28, v151 offset:96
	ds_read_u16 v29, v151 offset:336
	;; [unrolled: 1-line block ×4, first 2 shown]
	s_waitcnt lgkmcnt(2)
	v_perm_b32 v26, v29, v28, s63
	s_waitcnt lgkmcnt(0)
	v_perm_b32 v27, v33, v32, s63
	ds_read_u16 v32, v151 offset:3936
	ds_read_u16 v35, v151 offset:4176
	ds_read_u16 v33, v152 offset:3936
	ds_read_u16 v37, v153 offset:3936
	v_mfma_f32_16x16x16_f16 v[26:29], v[26:27], v[144:145], v[242:245]
	s_waitcnt lgkmcnt(0)
	v_perm_b32 v33, v37, v33, s63
	v_perm_b32 v32, v35, v32, s63
	v_cvt_f32_f16_e32 v242, v31
	s_nop 3
	v_cvt_f16_f32_e32 v26, v26
	v_cvt_f16_f32_e32 v27, v27
	;; [unrolled: 1-line block ×4, first 2 shown]
	v_cvt_f32_f16_e32 v26, v26
	v_cvt_f32_f16_e32 v27, v27
	;; [unrolled: 1-line block ×4, first 2 shown]
	v_cvt_f32_f16_sdwa v243, v31 dst_sel:DWORD dst_unused:UNUSED_PAD src0_sel:WORD_1
	v_cvt_f32_f16_e32 v244, v30
	v_mfma_f32_16x16x16_f16 v[26:29], v[32:33], v[146:147], v[26:29]
	ds_read_u16 v32, v151 offset:7776
	ds_read_u16 v35, v151 offset:8016
	;; [unrolled: 1-line block ×4, first 2 shown]
	v_cvt_f32_f16_sdwa v245, v30 dst_sel:DWORD dst_unused:UNUSED_PAD src0_sel:WORD_1
	s_nop 2
	v_cvt_f16_f32_e32 v26, v26
	v_cvt_f16_f32_e32 v27, v27
	;; [unrolled: 1-line block ×4, first 2 shown]
	s_waitcnt lgkmcnt(0)
	v_perm_b32 v33, v37, v33, s63
	v_perm_b32 v32, v35, v32, s63
	v_cvt_f32_f16_e32 v26, v26
	v_cvt_f32_f16_e32 v27, v27
	;; [unrolled: 1-line block ×4, first 2 shown]
	s_nop 1
	v_mfma_f32_16x16x16_f16 v[26:29], v[32:33], v[148:149], v[26:29]
	ds_read_u16 v32, v151 offset:11616
	ds_read_u16 v35, v151 offset:11856
	;; [unrolled: 1-line block ×4, first 2 shown]
	s_nop 3
	v_cvt_f16_f32_e32 v26, v26
	v_cvt_f16_f32_e32 v27, v27
	;; [unrolled: 1-line block ×4, first 2 shown]
	s_waitcnt lgkmcnt(0)
	v_perm_b32 v33, v37, v33, s63
	v_perm_b32 v32, v35, v32, s63
	v_cvt_f32_f16_e32 v26, v26
	v_cvt_f32_f16_e32 v27, v27
	;; [unrolled: 1-line block ×4, first 2 shown]
	s_nop 1
	v_mfma_f32_16x16x16_f16 v[26:29], v[32:33], v[142:143], v[26:29]
	ds_read_u16 v32, v151 offset:128
	ds_read_u16 v33, v151 offset:368
	;; [unrolled: 1-line block ×4, first 2 shown]
	s_waitcnt lgkmcnt(2)
	v_perm_b32 v30, v33, v32, s63
	s_waitcnt lgkmcnt(0)
	v_perm_b32 v31, v37, v35, s63
	s_nop 1
	v_mfma_f32_16x16x16_f16 v[30:33], v[30:31], v[144:145], v[242:245]
	ds_read_u16 v35, v151 offset:3968
	ds_read_u16 v37, v151 offset:4208
	s_nop 0
	ds_read_u16 v242, v152 offset:3968
	ds_read_u16 v243, v153 offset:3968
	v_cvt_f32_f16_e32 v244, v34
	v_cvt_f32_f16_sdwa v245, v34 dst_sel:DWORD dst_unused:UNUSED_PAD src0_sel:WORD_1
	s_nop 0
	v_cvt_f16_f32_e32 v30, v30
	v_cvt_f16_f32_e32 v31, v31
	;; [unrolled: 1-line block ×4, first 2 shown]
	s_waitcnt lgkmcnt(0)
	v_perm_b32 v243, v243, v242, s63
	v_perm_b32 v242, v37, v35, s63
	v_cvt_f32_f16_e32 v30, v30
	v_cvt_f32_f16_e32 v31, v31
	;; [unrolled: 1-line block ×4, first 2 shown]
	s_nop 1
	v_mfma_f32_16x16x16_f16 v[30:33], v[242:243], v[146:147], v[30:33]
	ds_read_u16 v35, v151 offset:7808
	ds_read_u16 v37, v151 offset:8048
	;; [unrolled: 1-line block ×4, first 2 shown]
	s_nop 3
	v_cvt_f16_f32_e32 v30, v30
	v_cvt_f16_f32_e32 v31, v31
	;; [unrolled: 1-line block ×4, first 2 shown]
	s_waitcnt lgkmcnt(0)
	v_perm_b32 v243, v243, v242, s63
	v_perm_b32 v242, v37, v35, s63
	v_cvt_f32_f16_e32 v30, v30
	v_cvt_f32_f16_e32 v31, v31
	;; [unrolled: 1-line block ×4, first 2 shown]
	s_nop 1
	v_mfma_f32_16x16x16_f16 v[30:33], v[242:243], v[148:149], v[30:33]
	ds_read_u16 v35, v151 offset:11648
	ds_read_u16 v37, v151 offset:11888
	;; [unrolled: 1-line block ×4, first 2 shown]
	s_nop 3
	v_cvt_f16_f32_e32 v30, v30
	v_cvt_f16_f32_e32 v31, v31
	;; [unrolled: 1-line block ×4, first 2 shown]
	s_waitcnt lgkmcnt(0)
	v_perm_b32 v243, v243, v242, s63
	v_perm_b32 v242, v37, v35, s63
	ds_read_u16 v37, v151 offset:160
	ds_read_u16 v246, v151 offset:400
	;; [unrolled: 1-line block ×4, first 2 shown]
	v_cvt_f32_f16_e32 v30, v30
	v_cvt_f32_f16_e32 v31, v31
	;; [unrolled: 1-line block ×4, first 2 shown]
	s_waitcnt lgkmcnt(0)
	v_perm_b32 v35, v247, v35, s63
	v_perm_b32 v34, v246, v37, s63
	v_mfma_f32_16x16x16_f16 v[30:33], v[242:243], v[142:143], v[30:33]
	v_cvt_f32_f16_e32 v242, v36
	v_cvt_f32_f16_sdwa v243, v36 dst_sel:DWORD dst_unused:UNUSED_PAD src0_sel:WORD_1
	s_nop 1
	v_mfma_f32_16x16x16_f16 v[34:37], v[34:35], v[144:145], v[242:245]
	s_nop 2
	ds_read_u16 v242, v151 offset:4000
	ds_read_u16 v244, v151 offset:4240
	;; [unrolled: 1-line block ×4, first 2 shown]
	v_cvt_pk_f16_f32 v31, v30, v31
	v_cvt_pk_f16_f32 v30, v32, v33
	v_cvt_f16_f32_e32 v34, v34
	v_cvt_f16_f32_e32 v35, v35
	;; [unrolled: 1-line block ×4, first 2 shown]
	s_waitcnt lgkmcnt(0)
	v_perm_b32 v243, v245, v243, s63
	v_perm_b32 v242, v244, v242, s63
	v_cvt_f32_f16_e32 v34, v34
	v_cvt_f32_f16_e32 v35, v35
	;; [unrolled: 1-line block ×4, first 2 shown]
	v_cvt_pk_f16_f32 v33, v26, v27
	v_cvt_pk_f16_f32 v32, v28, v29
	v_mfma_f32_16x16x16_f16 v[34:37], v[242:243], v[146:147], v[34:37]
	ds_read_u16 v242, v151 offset:7840
	ds_read_u16 v244, v151 offset:8080
	;; [unrolled: 1-line block ×4, first 2 shown]
	s_nop 3
	v_cvt_f16_f32_e32 v34, v34
	v_cvt_f16_f32_e32 v35, v35
	;; [unrolled: 1-line block ×4, first 2 shown]
	s_waitcnt lgkmcnt(0)
	v_perm_b32 v243, v245, v243, s63
	v_perm_b32 v242, v244, v242, s63
	v_cvt_f32_f16_e32 v34, v34
	v_cvt_f32_f16_e32 v35, v35
	;; [unrolled: 1-line block ×4, first 2 shown]
	s_nop 1
	v_mfma_f32_16x16x16_f16 v[34:37], v[242:243], v[148:149], v[34:37]
	ds_read_u16 v242, v151 offset:11680
	ds_read_u16 v244, v151 offset:11920
	;; [unrolled: 1-line block ×8, first 2 shown]
	v_cvt_f16_f32_e32 v34, v34
	v_cvt_f16_f32_e32 v35, v35
	;; [unrolled: 1-line block ×4, first 2 shown]
	s_waitcnt lgkmcnt(4)
	v_perm_b32 v243, v245, v243, s63
	v_perm_b32 v242, v244, v242, s63
	v_cvt_f32_f16_e32 v34, v34
	v_cvt_f32_f16_e32 v35, v35
	;; [unrolled: 1-line block ×5, first 2 shown]
	v_cvt_f32_f16_sdwa v245, v240 dst_sel:DWORD dst_unused:UNUSED_PAD src0_sel:WORD_1
	v_mfma_f32_16x16x16_f16 v[34:37], v[242:243], v[142:143], v[34:37]
	v_cvt_f32_f16_e32 v242, v241
	v_cvt_f32_f16_sdwa v243, v241 dst_sel:DWORD dst_unused:UNUSED_PAD src0_sel:WORD_1
	s_waitcnt lgkmcnt(0)
	v_perm_b32 v241, v249, v248, s63
	v_perm_b32 v240, v247, v246, s63
	s_nop 2
	v_cvt_pk_f16_f32 v34, v34, v35
	v_cvt_pk_f16_f32 v35, v36, v37
	v_mfma_f32_16x16x16_f16 v[240:243], v[240:241], v[144:145], v[242:245]
	s_nop 2
	ds_read_u16 v244, v151 offset:4032
	ds_read_u16 v245, v151 offset:4272
	;; [unrolled: 1-line block ×4, first 2 shown]
	v_cvt_pk_f16_f32 v37, v22, v23
	v_cvt_pk_f16_f32 v36, v24, v25
	v_cvt_f16_f32_e32 v144, v240
	v_cvt_f16_f32_e32 v145, v241
	v_cvt_f16_f32_e32 v242, v242
	v_cvt_f16_f32_e32 v243, v243
	v_cvt_f32_f16_e32 v240, v144
	v_cvt_f32_f16_e32 v241, v145
	s_waitcnt lgkmcnt(0)
	v_perm_b32 v145, v247, v246, s63
	v_perm_b32 v144, v245, v244, s63
	v_cvt_f32_f16_e32 v242, v242
	v_cvt_f32_f16_e32 v243, v243
	s_nop 1
	v_mfma_f32_16x16x16_f16 v[144:147], v[144:145], v[146:147], v[240:243]
	s_nop 2
	ds_read_u16 v240, v151 offset:7872
	ds_read_u16 v242, v151 offset:8112
	;; [unrolled: 1-line block ×4, first 2 shown]
	s_nop 0
	v_cvt_f16_f32_e32 v144, v144
	v_cvt_f16_f32_e32 v145, v145
	;; [unrolled: 1-line block ×4, first 2 shown]
	s_waitcnt lgkmcnt(0)
	v_perm_b32 v241, v243, v241, s63
	v_perm_b32 v240, v242, v240, s63
	v_cvt_f32_f16_e32 v144, v144
	v_cvt_f32_f16_e32 v145, v145
	;; [unrolled: 1-line block ×4, first 2 shown]
	s_nop 1
	v_mfma_f32_16x16x16_f16 v[146:149], v[240:241], v[148:149], v[144:147]
	s_nop 2
	ds_read_u16 v144, v151 offset:11712
	ds_read_u16 v145, v151 offset:11952
	ds_read_u16 v240, v152 offset:11712
	ds_read_u16 v241, v153 offset:11712
	s_waitcnt lgkmcnt(0)
	s_barrier
	v_cvt_f16_f32_e32 v146, v146
	v_cvt_f16_f32_e32 v147, v147
	;; [unrolled: 1-line block ×4, first 2 shown]
	v_perm_b32 v241, v241, v240, s63
	v_perm_b32 v240, v145, v144, s63
	v_cvt_f32_f16_e32 v146, v146
	v_cvt_f32_f16_e32 v147, v147
	;; [unrolled: 1-line block ×4, first 2 shown]
	v_cvt_pk_f16_f32 v145, v14, v15
	v_cvt_pk_f16_f32 v144, v16, v17
	v_mfma_f32_16x16x16_f16 v[146:149], v[240:241], v[142:143], v[146:149]
	v_cvt_pk_f16_f32 v143, v18, v19
	v_cvt_pk_f16_f32 v142, v20, v21
	s_nop 5
	v_cvt_pk_f16_f32 v29, v146, v147
	v_cvt_pk_f16_f32 v28, v148, v149
	s_cbranch_scc0 .LBB19_221
; %bb.219:                              ;   in Loop: Header=BB19_214 Depth=2
	v_mov_b32_e32 v26, v237
	v_mov_b32_e32 v27, v236
	s_branch .LBB19_214
.LBB19_220:                             ;   in Loop: Header=BB19_11 Depth=1
	v_mov_b32_e32 v236, 0xfeffffff
	v_mov_b32_e32 v237, 0
	s_mov_b64 s[98:99], 0
	v_mov_b32_e32 v28, 0
	v_mov_b32_e32 v29, 0
	;; [unrolled: 1-line block ×14, first 2 shown]
	s_branch .LBB19_222
.LBB19_221:                             ;   in Loop: Header=BB19_11 Depth=1
	v_mad_i64_i32 v[14:15], s[4:5], v42, s42, 0
	v_mad_i64_i32 v[16:17], s[4:5], v124, s42, 0
	v_readlane_b32 s4, v250, 15
	v_readlane_b32 s5, v250, 16
	s_mov_b32 s99, s5
	v_writelane_b32 v250, s4, 15
	s_lshl_b32 s98, s49, 6
	s_mov_b32 s49, s55
	v_writelane_b32 v250, s5, 16
	s_nop 0
	v_readlane_b32 s55, v250, 17
.LBB19_222:                             ;   in Loop: Header=BB19_11 Depth=1
	s_lshl_b64 s[4:5], s[98:99], 1
	v_lshl_add_u64 v[18:19], v[112:113], 0, s[4:5]
	v_lshlrev_b32_e32 v42, 1, v94
	v_lshl_add_u64 v[18:19], v[18:19], 0, v[42:43]
	v_lshl_add_u64 v[14:15], v[14:15], 1, v[18:19]
	;; [unrolled: 1-line block ×3, first 2 shown]
	global_load_dword v14, v[14:15], off
	s_nop 0
	global_load_dword v15, v[16:17], off
	s_mul_i32 s5, s98, s35
	s_mul_hi_u32 s38, s98, s34
	s_mul_i32 s4, s98, s34
	s_add_i32 s5, s38, s5
	v_add_u32_e32 v16, v198, v196
	s_lshl_b64 s[4:5], s[4:5], 2
	s_waitcnt vmcnt(1)
	ds_write_b32 v16, v14 offset:15360
	s_waitcnt vmcnt(0)
	ds_write_b32 v16, v15 offset:16512
	v_lshl_add_u64 v[14:15], v[110:111], 0, s[4:5]
	s_and_saveexec_b64 vcc, s[0:1]
	s_cbranch_execz .LBB19_224
; %bb.223:                              ;   in Loop: Header=BB19_11 Depth=1
	v_lshl_add_u64 v[16:17], v[56:57], 2, v[14:15]
	v_lshlrev_b32_e32 v42, 2, v54
	v_lshl_add_u64 v[16:17], v[16:17], 0, v[42:43]
	global_load_dwordx4 v[16:19], v[16:17], off offset:192
	s_waitcnt vmcnt(0)
	ds_write_b128 v99, v[16:19]
.LBB19_224:                             ;   in Loop: Header=BB19_11 Depth=1
	s_or_b64 exec, exec, vcc
	v_lshl_add_u64 v[16:17], v[44:45], 2, v[14:15]
	v_lshlrev_b32_e32 v42, 2, v46
	v_lshl_add_u64 v[16:17], v[16:17], 0, v[42:43]
	v_lshl_add_u64 v[18:19], v[50:51], 2, v[14:15]
	v_lshlrev_b32_e32 v22, 2, v48
	v_mov_b32_e32 v23, v43
	v_lshl_add_u64 v[14:15], v[52:53], 2, v[14:15]
	v_lshl_add_u64 v[20:21], v[14:15], 0, v[22:23]
	global_load_dwordx4 v[14:17], v[16:17], off offset:128
	v_lshl_add_u64 v[18:19], v[18:19], 0, v[22:23]
	v_add_u32_e32 v110, 0x800, v199
	v_add_u32_e32 v114, 0x1800, v199
	;; [unrolled: 1-line block ×3, first 2 shown]
	s_mul_i32 s4, s98, s31
	s_mul_hi_u32 s5, s98, s30
	s_add_i32 s5, s5, s4
	s_mul_i32 s4, s98, s30
	s_lshl_b64 s[4:5], s[4:5], 2
	s_waitcnt vmcnt(0)
	ds_write_b128 v69, v[14:17]
	global_load_dwordx4 v[14:17], v[18:19], off
	s_waitcnt vmcnt(0)
	ds_write_b128 v91, v[14:17]
	global_load_dwordx4 v[14:17], v[20:21], off
	s_waitcnt vmcnt(0)
	ds_write_b128 v95, v[14:17]
	s_waitcnt lgkmcnt(0)
	s_barrier
	ds_read2_b64 v[14:17], v199 offset1:4
	s_waitcnt lgkmcnt(0)
	v_mfma_f32_16x16x16_f16 v[18:21], v[14:15], v[10:11], 0
	v_mfma_f32_16x16x16_f16 v[14:17], v[16:17], v[12:13], v[18:21]
	s_nop 6
	ds_read2_b64 v[18:21], v199 offset0:8 offset1:12
	s_waitcnt lgkmcnt(0)
	v_mfma_f32_16x16x16_f16 v[14:17], v[18:19], v[6:7], v[14:17]
	v_mfma_f32_16x16x16_f16 v[14:17], v[20:21], v[8:9], v[14:17]
	ds_read2_b64 v[18:21], v199 offset0:16 offset1:20
	s_waitcnt lgkmcnt(0)
	v_mfma_f32_16x16x16_f16 v[14:17], v[18:19], v[2:3], v[14:17]
	ds_read_b64 v[18:19], v199 offset:192
	v_mfma_f32_16x16x16_f16 v[14:17], v[20:21], v[4:5], v[14:17]
	s_waitcnt lgkmcnt(0)
	v_mfma_f32_16x16x16_f16 v[24:27], v[18:19], v[122:123], v[14:17]
	s_nop 5
	ds_read2_b64 v[14:17], v110 offset0:224 offset1:228
	s_waitcnt lgkmcnt(0)
	v_mfma_f32_16x16x16_f16 v[18:21], v[14:15], v[10:11], 0
	v_mfma_f32_16x16x16_f16 v[14:17], v[16:17], v[12:13], v[18:21]
	s_nop 6
	ds_read2_b64 v[18:21], v110 offset0:232 offset1:236
	s_waitcnt lgkmcnt(0)
	v_mfma_f32_16x16x16_f16 v[14:17], v[18:19], v[6:7], v[14:17]
	v_mfma_f32_16x16x16_f16 v[14:17], v[20:21], v[8:9], v[14:17]
	ds_read2_b64 v[18:21], v110 offset0:240 offset1:244
	s_waitcnt lgkmcnt(0)
	v_mfma_f32_16x16x16_f16 v[14:17], v[18:19], v[2:3], v[14:17]
	ds_read_b64 v[18:19], v199 offset:4032
	v_mfma_f32_16x16x16_f16 v[14:17], v[20:21], v[4:5], v[14:17]
	s_waitcnt lgkmcnt(0)
	v_mfma_f32_16x16x16_f16 v[14:17], v[18:19], v[122:123], v[14:17]
	ds_read2_b64 v[18:21], v114 offset0:192 offset1:196
	s_waitcnt lgkmcnt(0)
	v_mfma_f32_16x16x16_f16 v[110:113], v[18:19], v[10:11], 0
	v_mfma_f32_16x16x16_f16 v[18:21], v[20:21], v[12:13], v[110:113]
	s_nop 6
	ds_read2_b64 v[110:113], v114 offset0:200 offset1:204
	s_waitcnt lgkmcnt(0)
	v_mfma_f32_16x16x16_f16 v[18:21], v[110:111], v[6:7], v[18:21]
	v_mfma_f32_16x16x16_f16 v[18:21], v[112:113], v[8:9], v[18:21]
	ds_read2_b64 v[110:113], v114 offset0:208 offset1:212
	s_waitcnt lgkmcnt(0)
	v_mfma_f32_16x16x16_f16 v[18:21], v[110:111], v[2:3], v[18:21]
	ds_read_b64 v[110:111], v199 offset:7872
	v_mfma_f32_16x16x16_f16 v[18:21], v[112:113], v[4:5], v[18:21]
	s_waitcnt lgkmcnt(0)
	v_mfma_f32_16x16x16_f16 v[18:21], v[110:111], v[122:123], v[18:21]
	ds_read2_b64 v[110:113], v118 offset0:160 offset1:164
	s_waitcnt lgkmcnt(0)
	v_mfma_f32_16x16x16_f16 v[114:117], v[110:111], v[10:11], 0
	v_mfma_f32_16x16x16_f16 v[10:13], v[112:113], v[12:13], v[114:117]
	ds_read2_b64 v[110:113], v118 offset0:168 offset1:172
	s_waitcnt lgkmcnt(0)
	v_mfma_f32_16x16x16_f16 v[10:13], v[110:111], v[6:7], v[10:13]
	v_mfma_f32_16x16x16_f16 v[6:9], v[112:113], v[8:9], v[10:13]
	s_nop 6
	ds_read2_b64 v[10:13], v118 offset0:176 offset1:180
	s_waitcnt lgkmcnt(0)
	v_mfma_f32_16x16x16_f16 v[6:9], v[10:11], v[2:3], v[6:9]
	v_mfma_f32_16x16x16_f16 v[2:5], v[12:13], v[4:5], v[6:9]
	s_nop 6
	ds_read_b64 v[6:7], v199 offset:11712
	s_waitcnt lgkmcnt(0)
	v_mfma_f32_16x16x16_f16 v[2:5], v[6:7], v[122:123], v[2:5]
	s_barrier
	ds_read_b32 v6, v101 offset:15360
	s_waitcnt lgkmcnt(0)
	v_cvt_f32_f16_e32 v7, v6
	v_cvt_f32_f16_sdwa v8, v6 dst_sel:DWORD dst_unused:UNUSED_PAD src0_sel:WORD_1
	v_add_f32_e32 v6, v24, v7
	v_add_f32_e32 v7, v25, v8
	ds_read_b32 v8, v150 offset:15360
	s_waitcnt lgkmcnt(0)
	v_cvt_f32_f16_e32 v9, v8
	v_cvt_f32_f16_sdwa v8, v8 dst_sel:DWORD dst_unused:UNUSED_PAD src0_sel:WORD_1
	v_add_f32_e32 v110, v26, v9
	v_add_f32_e32 v25, v27, v8
	v_add_u32_e32 v8, 0x3c00, v200
	ds_read2_b32 v[8:9], v8 offset1:1
	s_waitcnt lgkmcnt(0)
	v_cvt_f32_f16_e32 v10, v8
	v_cvt_f32_f16_sdwa v8, v8 dst_sel:DWORD dst_unused:UNUSED_PAD src0_sel:WORD_1
	v_add_f32_e32 v27, v14, v10
	v_add_f32_e32 v24, v15, v8
	v_cvt_f32_f16_e32 v8, v9
	v_cvt_f32_f16_sdwa v9, v9 dst_sel:DWORD dst_unused:UNUSED_PAD src0_sel:WORD_1
	v_add_f32_e32 v15, v16, v8
	v_add_u32_e32 v8, 0x3c00, v201
	v_add_f32_e32 v13, v17, v9
	ds_read2_b32 v[8:9], v8 offset1:1
	s_waitcnt lgkmcnt(0)
	v_cvt_f32_f16_e32 v10, v8
	v_cvt_f32_f16_sdwa v8, v8 dst_sel:DWORD dst_unused:UNUSED_PAD src0_sel:WORD_1
	v_cvt_f32_f16_sdwa v12, v9 dst_sel:DWORD dst_unused:UNUSED_PAD src0_sel:WORD_1
	v_add_f32_e32 v11, v18, v10
	v_add_f32_e32 v10, v19, v8
	v_cvt_f32_f16_e32 v8, v9
	v_add_f32_e32 v9, v20, v8
	v_add_f32_e32 v8, v21, v12
	v_add_u32_e32 v12, 0x3c00, v202
	ds_read2_b32 v[16:17], v12 offset1:1
	s_waitcnt lgkmcnt(0)
	v_cvt_f32_f16_e32 v12, v16
	v_cvt_f32_f16_sdwa v16, v16 dst_sel:DWORD dst_unused:UNUSED_PAD src0_sel:WORD_1
	v_add_f32_e32 v14, v2, v12
	v_add_f32_e32 v12, v3, v16
	v_cvt_f32_f16_e32 v2, v17
	v_cvt_f32_f16_sdwa v3, v17 dst_sel:DWORD dst_unused:UNUSED_PAD src0_sel:WORD_1
	v_add_f32_e32 v21, v4, v2
	v_add_f32_e32 v4, v5, v3
	;; [unrolled: 1-line block ×4, first 2 shown]
	v_max3_f32 v2, v236, v2, v3
	v_add_f32_e32 v3, 0x40051340, v110
	v_add_f32_e32 v5, 0x40051340, v25
	v_max3_f32 v2, v2, v3, v5
	v_add_f32_e32 v3, 0x40051340, v27
	v_add_f32_e32 v5, 0x40051340, v24
	;; [unrolled: 3-line block ×7, first 2 shown]
	v_max3_f32 v2, v2, v3, v5
	v_and_b32_e32 v3, 64, v222
	v_add_u32_e32 v3, 64, v3
	v_xor_b32_e32 v5, 32, v222
	v_cmp_lt_i32_e32 vcc, v5, v3
	s_nop 1
	v_cndmask_b32_e32 v5, v222, v5, vcc
	v_lshlrev_b32_e32 v26, 2, v5
	ds_bpermute_b32 v5, v26, v2
	s_waitcnt lgkmcnt(0)
	v_max_f32_e32 v5, v5, v5
	v_max_f32_e32 v5, v2, v5
	v_xor_b32_e32 v2, 16, v222
	v_cmp_lt_i32_e32 vcc, v2, v3
	s_nop 1
	v_cndmask_b32_e32 v2, v222, v2, vcc
	v_lshlrev_b32_e32 v19, 2, v2
	ds_bpermute_b32 v16, v19, v5
	v_lshl_add_u64 v[2:3], v[108:109], 0, s[4:5]
	s_and_saveexec_b64 s[98:99], s[0:1]
	s_cbranch_execz .LBB19_226
; %bb.225:                              ;   in Loop: Header=BB19_11 Depth=1
	v_lshl_add_u64 v[108:109], v[58:59], 2, v[2:3]
	v_lshlrev_b32_e32 v112, 2, v54
	v_mov_b32_e32 v113, v43
	v_lshl_add_u64 v[108:109], v[108:109], 0, v[112:113]
	global_load_dwordx4 v[112:115], v[108:109], off offset:192
	s_waitcnt vmcnt(0)
	ds_write_b128 v99, v[112:115]
.LBB19_226:                             ;   in Loop: Header=BB19_11 Depth=1
	s_or_b64 exec, exec, s[98:99]
	s_waitcnt lgkmcnt(0)
	v_max_f32_e32 v16, v16, v16
	v_max_f32_e32 v5, v5, v5
	;; [unrolled: 1-line block ×3, first 2 shown]
	v_sub_f32_e32 v5, v6, v18
	v_mul_f32_e32 v6, 0x3fb8aa3b, v5
	v_fma_f32 v16, v5, s43, -v6
	v_rndne_f32_e32 v17, v6
	v_fmac_f32_e32 v16, 0x32a5705f, v5
	v_sub_f32_e32 v6, v6, v17
	v_add_f32_e32 v6, v6, v16
	v_exp_f32_e32 v6, v6
	v_cvt_i32_f32_e32 v16, v17
	v_cmp_ngt_f32_e32 vcc, s58, v5
	v_sub_f32_e32 v24, v24, v18
	v_sub_f32_e32 v15, v15, v18
	v_ldexp_f32 v6, v6, v16
	v_cndmask_b32_e32 v6, 0, v6, vcc
	v_cmp_nlt_f32_e32 vcc, s59, v5
	v_sub_f32_e32 v5, v7, v18
	v_mul_f32_e32 v7, 0x3fb8aa3b, v5
	v_fma_f32 v16, v5, s43, -v7
	v_rndne_f32_e32 v17, v7
	v_fmac_f32_e32 v16, 0x32a5705f, v5
	v_sub_f32_e32 v7, v7, v17
	v_add_f32_e32 v7, v7, v16
	v_exp_f32_e32 v7, v7
	v_cvt_i32_f32_e32 v16, v17
	v_cndmask_b32_e32 v6, v223, v6, vcc
	v_cmp_ngt_f32_e32 vcc, s58, v5
	v_sub_f32_e32 v13, v13, v18
	v_ldexp_f32 v7, v7, v16
	v_sub_f32_e32 v16, v110, v18
	v_mul_f32_e32 v17, 0x3fb8aa3b, v16
	v_fma_f32 v20, v16, s43, -v17
	v_rndne_f32_e32 v108, v17
	v_fmac_f32_e32 v20, 0x32a5705f, v16
	v_sub_f32_e32 v17, v17, v108
	v_add_f32_e32 v17, v17, v20
	v_exp_f32_e32 v17, v17
	v_cvt_i32_f32_e32 v20, v108
	v_cndmask_b32_e32 v7, 0, v7, vcc
	v_cmp_nlt_f32_e32 vcc, s59, v5
	v_sub_f32_e32 v11, v11, v18
	v_ldexp_f32 v17, v17, v20
	v_cndmask_b32_e32 v7, v223, v7, vcc
	v_cmp_ngt_f32_e32 vcc, s58, v16
	v_sub_f32_e32 v10, v10, v18
	v_sub_f32_e32 v9, v9, v18
	v_cndmask_b32_e32 v17, 0, v17, vcc
	v_cmp_nlt_f32_e32 vcc, s59, v16
	v_sub_f32_e32 v8, v8, v18
	v_add_f32_e32 v5, v6, v7
	v_cndmask_b32_e32 v16, v223, v17, vcc
	v_sub_f32_e32 v17, v25, v18
	v_mul_f32_e32 v20, 0x3fb8aa3b, v17
	v_fma_f32 v25, v17, s43, -v20
	v_rndne_f32_e32 v108, v20
	v_fmac_f32_e32 v25, 0x32a5705f, v17
	v_sub_f32_e32 v20, v20, v108
	v_add_f32_e32 v20, v20, v25
	v_exp_f32_e32 v20, v20
	v_cvt_i32_f32_e32 v25, v108
	v_cmp_ngt_f32_e32 vcc, s58, v17
	v_add_f32_e32 v5, v16, v5
	v_sub_f32_e32 v4, v4, v18
	v_ldexp_f32 v20, v20, v25
	v_cndmask_b32_e32 v20, 0, v20, vcc
	v_cmp_nlt_f32_e32 vcc, s59, v17
	v_sub_f32_e32 v17, v27, v18
	v_mul_f32_e32 v25, 0x3fb8aa3b, v17
	v_fma_f32 v27, v17, s43, -v25
	v_rndne_f32_e32 v108, v25
	v_fmac_f32_e32 v27, 0x32a5705f, v17
	v_sub_f32_e32 v25, v25, v108
	v_add_f32_e32 v25, v25, v27
	v_exp_f32_e32 v25, v25
	v_cvt_i32_f32_e32 v27, v108
	v_cndmask_b32_e32 v20, v223, v20, vcc
	v_cmp_ngt_f32_e32 vcc, s58, v17
	v_add_f32_e32 v5, v20, v5
	v_ldexp_f32 v25, v25, v27
	v_cndmask_b32_e32 v25, 0, v25, vcc
	v_cmp_nlt_f32_e32 vcc, s59, v17
	s_nop 1
	v_cndmask_b32_e32 v17, v223, v25, vcc
	v_mul_f32_e32 v25, 0x3fb8aa3b, v24
	v_fma_f32 v27, v24, s43, -v25
	v_rndne_f32_e32 v108, v25
	v_fmac_f32_e32 v27, 0x32a5705f, v24
	v_sub_f32_e32 v25, v25, v108
	v_add_f32_e32 v25, v25, v27
	v_exp_f32_e32 v25, v25
	v_cvt_i32_f32_e32 v27, v108
	v_cmp_ngt_f32_e32 vcc, s58, v24
	v_add_f32_e32 v5, v17, v5
	v_ldexp_f32 v25, v25, v27
	v_cndmask_b32_e32 v25, 0, v25, vcc
	v_cmp_nlt_f32_e32 vcc, s59, v24
	s_nop 1
	v_cndmask_b32_e32 v24, v223, v25, vcc
	v_mul_f32_e32 v25, 0x3fb8aa3b, v15
	v_fma_f32 v27, v15, s43, -v25
	v_rndne_f32_e32 v108, v25
	v_fmac_f32_e32 v27, 0x32a5705f, v15
	v_sub_f32_e32 v25, v25, v108
	v_add_f32_e32 v25, v25, v27
	v_exp_f32_e32 v25, v25
	v_cvt_i32_f32_e32 v27, v108
	v_cmp_ngt_f32_e32 vcc, s58, v15
	v_add_f32_e32 v5, v24, v5
	v_ldexp_f32 v25, v25, v27
	v_cndmask_b32_e32 v25, 0, v25, vcc
	v_cmp_nlt_f32_e32 vcc, s59, v15
	v_mul_f32_e32 v15, 0x3fb8aa3b, v13
	v_fma_f32 v27, v13, s43, -v15
	v_rndne_f32_e32 v108, v15
	v_fmac_f32_e32 v27, 0x32a5705f, v13
	v_sub_f32_e32 v15, v15, v108
	v_add_f32_e32 v15, v15, v27
	v_exp_f32_e32 v15, v15
	v_cvt_i32_f32_e32 v27, v108
	v_cndmask_b32_e32 v25, v223, v25, vcc
	v_cmp_ngt_f32_e32 vcc, s58, v13
	v_add_f32_e32 v5, v25, v5
	v_ldexp_f32 v15, v15, v27
	v_cndmask_b32_e32 v15, 0, v15, vcc
	v_cmp_nlt_f32_e32 vcc, s59, v13
	v_mul_f32_e32 v13, 0x3fb8aa3b, v11
	v_rndne_f32_e32 v27, v13
	v_cndmask_b32_e32 v108, v223, v15, vcc
	v_fma_f32 v15, v11, s43, -v13
	v_fmac_f32_e32 v15, 0x32a5705f, v11
	v_sub_f32_e32 v13, v13, v27
	v_add_f32_e32 v13, v13, v15
	v_exp_f32_e32 v13, v13
	v_cvt_i32_f32_e32 v15, v27
	v_cmp_ngt_f32_e32 vcc, s58, v11
	v_add_f32_e32 v5, v108, v5
	v_ldexp_f32 v13, v13, v15
	v_cndmask_b32_e32 v13, 0, v13, vcc
	v_cmp_nlt_f32_e32 vcc, s59, v11
	v_mul_f32_e32 v11, 0x3fb8aa3b, v10
	v_rndne_f32_e32 v15, v11
	v_cndmask_b32_e32 v109, v223, v13, vcc
	v_fma_f32 v13, v10, s43, -v11
	v_fmac_f32_e32 v13, 0x32a5705f, v10
	v_sub_f32_e32 v11, v11, v15
	v_add_f32_e32 v11, v11, v13
	v_exp_f32_e32 v11, v11
	v_cvt_i32_f32_e32 v13, v15
	;; [unrolled: 14-line block ×4, first 2 shown]
	v_cmp_ngt_f32_e32 vcc, s58, v8
	v_add_f32_e32 v5, v111, v5
	v_ldexp_f32 v9, v9, v10
	v_cndmask_b32_e32 v9, 0, v9, vcc
	v_cmp_nlt_f32_e32 vcc, s59, v8
	v_sub_f32_e32 v8, v14, v18
	s_nop 0
	v_cndmask_b32_e32 v113, v223, v9, vcc
	v_mul_f32_e32 v9, 0x3fb8aa3b, v8
	v_fma_f32 v10, v8, s43, -v9
	v_rndne_f32_e32 v11, v9
	v_fmac_f32_e32 v10, 0x32a5705f, v8
	v_sub_f32_e32 v9, v9, v11
	v_add_f32_e32 v9, v9, v10
	v_exp_f32_e32 v9, v9
	v_cvt_i32_f32_e32 v10, v11
	v_cmp_ngt_f32_e32 vcc, s58, v8
	v_add_f32_e32 v5, v113, v5
	v_ldexp_f32 v9, v9, v10
	v_cndmask_b32_e32 v9, 0, v9, vcc
	v_cmp_nlt_f32_e32 vcc, s59, v8
	v_sub_f32_e32 v8, v12, v18
	s_nop 0
	v_cndmask_b32_e32 v112, v223, v9, vcc
	v_mul_f32_e32 v9, 0x3fb8aa3b, v8
	v_fma_f32 v10, v8, s43, -v9
	v_rndne_f32_e32 v11, v9
	v_fmac_f32_e32 v10, 0x32a5705f, v8
	v_sub_f32_e32 v9, v9, v11
	v_add_f32_e32 v9, v9, v10
	v_exp_f32_e32 v9, v9
	v_cvt_i32_f32_e32 v10, v11
	;; [unrolled: 16-line block ×3, first 2 shown]
	v_cmp_ngt_f32_e32 vcc, s58, v8
	v_add_f32_e32 v5, v114, v5
	v_ldexp_f32 v9, v9, v10
	v_cndmask_b32_e32 v9, 0, v9, vcc
	v_cmp_nlt_f32_e32 vcc, s59, v8
	v_mul_f32_e32 v8, 0x3fb8aa3b, v4
	v_rndne_f32_e32 v10, v8
	v_cndmask_b32_e32 v115, v223, v9, vcc
	v_fma_f32 v9, v4, s43, -v8
	v_fmac_f32_e32 v9, 0x32a5705f, v4
	v_sub_f32_e32 v8, v8, v10
	v_add_f32_e32 v8, v8, v9
	v_exp_f32_e32 v8, v8
	v_cvt_i32_f32_e32 v9, v10
	v_cmp_ngt_f32_e32 vcc, s58, v4
	v_add_f32_e32 v5, v115, v5
	v_ldexp_f32 v8, v8, v9
	v_cndmask_b32_e32 v8, 0, v8, vcc
	v_cmp_nlt_f32_e32 vcc, s59, v4
	v_sub_f32_e32 v4, v236, v18
	s_nop 0
	v_cndmask_b32_e32 v116, v223, v8, vcc
	v_add_f32_e32 v27, v116, v5
	v_mul_f32_e32 v5, 0x3fb8aa3b, v4
	v_fma_f32 v8, v4, s43, -v5
	v_rndne_f32_e32 v9, v5
	v_fmac_f32_e32 v8, 0x32a5705f, v4
	v_sub_f32_e32 v5, v5, v9
	v_add_f32_e32 v5, v5, v8
	v_exp_f32_e32 v5, v5
	v_cvt_i32_f32_e32 v8, v9
	v_cmp_ngt_f32_e32 vcc, s58, v4
	v_ldexp_f32 v5, v5, v8
	s_nop 0
	v_cndmask_b32_e32 v5, 0, v5, vcc
	v_cmp_nlt_f32_e32 vcc, s59, v4
	s_nop 1
	v_cndmask_b32_e32 v5, v223, v5, vcc
	v_cmp_le_f32_e32 vcc, s62, v4
	s_nop 1
	v_cndmask_b32_e32 v4, 0, v5, vcc
	v_fmac_f32_e32 v27, v237, v4
	v_cvt_f16_f32_e32 v4, v4
	v_cmp_eq_u64_e32 vcc, 0, v[106:107]
	s_and_b64 vcc, exec, vcc
	v_mul_u32_u24_e32 v4, 0x10001, v4
	v_pk_mul_f16 v119, v145, v4
	v_pk_mul_f16 v21, v144, v4
	;; [unrolled: 1-line block ×14, first 2 shown]
	v_lshl_add_u64 v[4:5], v[64:65], 2, v[2:3]
	v_lshl_add_u64 v[4:5], v[4:5], 0, v[42:43]
	global_load_dwordx4 v[28:31], v[4:5], off offset:128
	v_lshl_add_u64 v[4:5], v[62:63], 2, v[2:3]
	v_lshl_add_u64 v[2:3], v[60:61], 2, v[2:3]
	;; [unrolled: 1-line block ×4, first 2 shown]
	s_waitcnt vmcnt(0)
	ds_write_b128 v69, v[28:31]
	global_load_dwordx4 v[28:31], v[4:5], off
	s_waitcnt vmcnt(0)
	ds_write_b128 v91, v[28:31]
	global_load_dwordx4 v[2:5], v[2:3], off
	s_waitcnt vmcnt(0)
	ds_write_b128 v95, v[2:5]
	s_waitcnt lgkmcnt(0)
	s_barrier
	ds_read_u16 v22, v151 offset:240
	v_cvt_f32_f16_e32 v4, v21
	v_cvt_f32_f16_sdwa v5, v21 dst_sel:DWORD dst_unused:UNUSED_PAD src0_sel:WORD_1
	ds_read_u16 v21, v152
	ds_read_u16 v29, v152 offset:32
	ds_read_u16 v23, v153
	ds_read_u16 v30, v153 offset:32
	v_cvt_f32_f16_e32 v2, v119
	v_cvt_f32_f16_sdwa v3, v119 dst_sel:DWORD dst_unused:UNUSED_PAD src0_sel:WORD_1
	s_waitcnt lgkmcnt(1)
	v_perm_b32 v23, v23, v21, s63
	ds_read_u16 v21, v151
	ds_read_u16 v32, v151 offset:32
	s_waitcnt lgkmcnt(2)
	v_perm_b32 v31, v30, v29, s63
	s_waitcnt lgkmcnt(1)
	v_perm_b32 v22, v22, v21, s63
	v_cvt_pk_f16_f32 v21, v16, v20
	v_cvt_pk_f16_f32 v20, v6, v7
	s_nop 1
	v_mfma_f32_16x16x16_f16 v[2:5], v[22:23], v[20:21], v[2:5]
	ds_read_u16 v6, v151 offset:3840
	ds_read_u16 v16, v151 offset:4080
	;; [unrolled: 1-line block ×4, first 2 shown]
	v_cvt_pk_f16_f32 v23, v25, v108
	v_cvt_pk_f16_f32 v25, v111, v113
	s_nop 1
	v_cvt_f16_f32_e32 v2, v2
	v_cvt_f16_f32_e32 v3, v3
	;; [unrolled: 1-line block ×4, first 2 shown]
	s_waitcnt lgkmcnt(0)
	v_perm_b32 v7, v22, v7, s63
	v_perm_b32 v6, v16, v6, s63
	v_cvt_f32_f16_e32 v2, v2
	v_cvt_f32_f16_e32 v3, v3
	;; [unrolled: 1-line block ×4, first 2 shown]
	v_cvt_pk_f16_f32 v22, v17, v24
	v_cvt_pk_f16_f32 v24, v109, v110
	v_cvt_f32_f16_e32 v108, v9
	v_mfma_f32_16x16x16_f16 v[2:5], v[6:7], v[22:23], v[2:5]
	ds_read_u16 v6, v151 offset:7680
	ds_read_u16 v16, v151 offset:7920
	;; [unrolled: 1-line block ×4, first 2 shown]
	v_cvt_f32_f16_sdwa v109, v9 dst_sel:DWORD dst_unused:UNUSED_PAD src0_sel:WORD_1
	v_cvt_f32_f16_e32 v110, v8
	s_nop 1
	v_cvt_f16_f32_e32 v2, v2
	v_cvt_f16_f32_e32 v3, v3
	;; [unrolled: 1-line block ×4, first 2 shown]
	s_waitcnt lgkmcnt(0)
	v_perm_b32 v7, v17, v7, s63
	v_perm_b32 v6, v16, v6, s63
	v_cvt_f32_f16_e32 v2, v2
	v_cvt_f32_f16_e32 v3, v3
	v_cvt_f32_f16_e32 v4, v4
	v_cvt_f32_f16_e32 v5, v5
	v_cvt_f32_f16_sdwa v111, v8 dst_sel:DWORD dst_unused:UNUSED_PAD src0_sel:WORD_1
	s_nop 0
	v_mfma_f32_16x16x16_f16 v[2:5], v[6:7], v[24:25], v[2:5]
	ds_read_u16 v6, v151 offset:11520
	ds_read_u16 v16, v151 offset:11760
	;; [unrolled: 1-line block ×5, first 2 shown]
	s_nop 2
	v_cvt_f16_f32_e32 v2, v2
	v_cvt_f16_f32_e32 v3, v3
	;; [unrolled: 1-line block ×4, first 2 shown]
	s_waitcnt lgkmcnt(1)
	v_perm_b32 v7, v17, v7, s63
	v_perm_b32 v6, v16, v6, s63
	v_cvt_f32_f16_e32 v2, v2
	v_cvt_f32_f16_e32 v3, v3
	;; [unrolled: 1-line block ×4, first 2 shown]
	v_cvt_pk_f16_f32 v17, v115, v116
	v_cvt_pk_f16_f32 v16, v112, v114
	s_waitcnt lgkmcnt(0)
	v_perm_b32 v30, v35, v32, s63
	v_mfma_f32_16x16x16_f16 v[2:5], v[6:7], v[16:17], v[2:5]
	v_cvt_f32_f16_e32 v6, v117
	v_cvt_f32_f16_sdwa v7, v117 dst_sel:DWORD dst_unused:UNUSED_PAD src0_sel:WORD_1
	s_nop 5
	v_cvt_f16_f32_e32 v4, v4
	v_cvt_f16_f32_e32 v5, v5
	v_perm_b32 v28, v5, v4, s63
	v_cvt_f32_f16_e32 v4, v118
	v_cvt_f32_f16_sdwa v5, v118 dst_sel:DWORD dst_unused:UNUSED_PAD src0_sel:WORD_1
	s_nop 1
	v_mfma_f32_16x16x16_f16 v[4:7], v[30:31], v[20:21], v[4:7]
	ds_read_u16 v29, v151 offset:3872
	ds_read_u16 v30, v151 offset:4112
	ds_read_u16 v31, v152 offset:3872
	ds_read_u16 v32, v153 offset:3872
	s_nop 3
	v_cvt_f16_f32_e32 v4, v4
	v_cvt_f16_f32_e32 v5, v5
	v_cvt_f16_f32_e32 v6, v6
	v_cvt_f16_f32_e32 v7, v7
	s_waitcnt lgkmcnt(0)
	v_perm_b32 v31, v32, v31, s63
	v_perm_b32 v30, v30, v29, s63
	v_cvt_f32_f16_e32 v4, v4
	v_cvt_f32_f16_e32 v5, v5
	v_cvt_f32_f16_e32 v6, v6
	v_cvt_f32_f16_e32 v7, v7
	s_nop 1
	v_mfma_f32_16x16x16_f16 v[4:7], v[30:31], v[22:23], v[4:7]
	ds_read_u16 v29, v151 offset:7712
	ds_read_u16 v30, v151 offset:7952
	ds_read_u16 v31, v152 offset:7712
	ds_read_u16 v32, v153 offset:7712
	s_nop 3
	v_cvt_f16_f32_e32 v4, v4
	v_cvt_f16_f32_e32 v5, v5
	v_cvt_f16_f32_e32 v6, v6
	v_cvt_f16_f32_e32 v7, v7
	s_waitcnt lgkmcnt(0)
	v_perm_b32 v31, v32, v31, s63
	v_perm_b32 v30, v30, v29, s63
	v_cvt_f32_f16_e32 v4, v4
	v_cvt_f32_f16_e32 v5, v5
	v_cvt_f32_f16_e32 v6, v6
	v_cvt_f32_f16_e32 v7, v7
	;; [unrolled: 18-line block ×3, first 2 shown]
	s_nop 1
	v_mfma_f32_16x16x16_f16 v[4:7], v[30:31], v[16:17], v[4:7]
	s_nop 7
	v_cvt_f16_f32_e32 v6, v6
	v_cvt_f16_f32_e32 v7, v7
	v_perm_b32 v29, v7, v6, s63
	ds_read_u16 v6, v151 offset:64
	ds_read_u16 v30, v151 offset:304
	;; [unrolled: 1-line block ×4, first 2 shown]
	s_waitcnt lgkmcnt(2)
	v_perm_b32 v6, v30, v6, s63
	s_waitcnt lgkmcnt(0)
	v_perm_b32 v7, v31, v7, s63
	ds_read_u16 v30, v151 offset:3904
	ds_read_u16 v32, v151 offset:4144
	;; [unrolled: 1-line block ×4, first 2 shown]
	v_mfma_f32_16x16x16_f16 v[6:9], v[6:7], v[20:21], v[108:111]
	s_waitcnt lgkmcnt(0)
	v_perm_b32 v31, v35, v31, s63
	v_perm_b32 v30, v32, v30, s63
	v_cvt_f32_f16_e32 v108, v11
	s_nop 3
	v_cvt_f16_f32_e32 v6, v6
	v_cvt_f16_f32_e32 v7, v7
	;; [unrolled: 1-line block ×4, first 2 shown]
	v_cvt_f32_f16_e32 v6, v6
	v_cvt_f32_f16_e32 v7, v7
	v_cvt_f32_f16_e32 v8, v8
	v_cvt_f32_f16_e32 v9, v9
	v_cvt_f32_f16_sdwa v109, v11 dst_sel:DWORD dst_unused:UNUSED_PAD src0_sel:WORD_1
	v_cvt_f32_f16_e32 v110, v10
	v_mfma_f32_16x16x16_f16 v[6:9], v[30:31], v[22:23], v[6:9]
	ds_read_u16 v30, v151 offset:7744
	ds_read_u16 v32, v151 offset:7984
	;; [unrolled: 1-line block ×4, first 2 shown]
	v_cvt_f32_f16_sdwa v111, v10 dst_sel:DWORD dst_unused:UNUSED_PAD src0_sel:WORD_1
	s_nop 2
	v_cvt_f16_f32_e32 v6, v6
	v_cvt_f16_f32_e32 v7, v7
	;; [unrolled: 1-line block ×4, first 2 shown]
	s_waitcnt lgkmcnt(0)
	v_perm_b32 v31, v35, v31, s63
	v_perm_b32 v30, v32, v30, s63
	v_cvt_f32_f16_e32 v6, v6
	v_cvt_f32_f16_e32 v7, v7
	;; [unrolled: 1-line block ×4, first 2 shown]
	s_nop 1
	v_mfma_f32_16x16x16_f16 v[6:9], v[30:31], v[24:25], v[6:9]
	ds_read_u16 v30, v151 offset:11584
	ds_read_u16 v32, v151 offset:11824
	ds_read_u16 v31, v152 offset:11584
	ds_read_u16 v35, v153 offset:11584
	s_nop 3
	v_cvt_f16_f32_e32 v6, v6
	v_cvt_f16_f32_e32 v7, v7
	;; [unrolled: 1-line block ×4, first 2 shown]
	s_waitcnt lgkmcnt(0)
	v_perm_b32 v31, v35, v31, s63
	v_perm_b32 v30, v32, v30, s63
	v_cvt_f32_f16_e32 v6, v6
	v_cvt_f32_f16_e32 v7, v7
	;; [unrolled: 1-line block ×4, first 2 shown]
	s_nop 1
	v_mfma_f32_16x16x16_f16 v[6:9], v[30:31], v[16:17], v[6:9]
	s_nop 7
	v_cvt_f16_f32_e32 v8, v8
	v_cvt_f16_f32_e32 v9, v9
	v_perm_b32 v30, v9, v8, s63
	ds_read_u16 v8, v151 offset:96
	ds_read_u16 v31, v151 offset:336
	;; [unrolled: 1-line block ×4, first 2 shown]
	s_waitcnt lgkmcnt(2)
	v_perm_b32 v8, v31, v8, s63
	s_waitcnt lgkmcnt(0)
	v_perm_b32 v9, v32, v9, s63
	ds_read_u16 v31, v151 offset:3936
	ds_read_u16 v32, v151 offset:4176
	;; [unrolled: 1-line block ×4, first 2 shown]
	v_mfma_f32_16x16x16_f16 v[8:11], v[8:9], v[20:21], v[108:111]
	s_waitcnt lgkmcnt(0)
	v_perm_b32 v37, v36, v35, s63
	v_perm_b32 v36, v32, v31, s63
	v_cvt_f32_f16_e32 v108, v13
	s_nop 3
	v_cvt_f16_f32_e32 v8, v8
	v_cvt_f16_f32_e32 v9, v9
	;; [unrolled: 1-line block ×4, first 2 shown]
	v_cvt_f32_f16_e32 v8, v8
	v_cvt_f32_f16_e32 v9, v9
	;; [unrolled: 1-line block ×4, first 2 shown]
	v_cvt_f32_f16_sdwa v109, v13 dst_sel:DWORD dst_unused:UNUSED_PAD src0_sel:WORD_1
	v_cvt_f32_f16_e32 v110, v12
	v_mfma_f32_16x16x16_f16 v[8:11], v[36:37], v[22:23], v[8:11]
	ds_read_u16 v31, v151 offset:7776
	ds_read_u16 v32, v151 offset:8016
	;; [unrolled: 1-line block ×4, first 2 shown]
	v_cvt_f32_f16_sdwa v111, v12 dst_sel:DWORD dst_unused:UNUSED_PAD src0_sel:WORD_1
	s_nop 2
	v_cvt_f16_f32_e32 v8, v8
	v_cvt_f16_f32_e32 v9, v9
	;; [unrolled: 1-line block ×4, first 2 shown]
	s_waitcnt lgkmcnt(0)
	v_perm_b32 v37, v36, v35, s63
	v_perm_b32 v36, v32, v31, s63
	v_cvt_f32_f16_e32 v8, v8
	v_cvt_f32_f16_e32 v9, v9
	;; [unrolled: 1-line block ×4, first 2 shown]
	s_nop 1
	v_mfma_f32_16x16x16_f16 v[8:11], v[36:37], v[24:25], v[8:11]
	ds_read_u16 v31, v151 offset:11616
	ds_read_u16 v32, v151 offset:11856
	;; [unrolled: 1-line block ×4, first 2 shown]
	s_nop 3
	v_cvt_f16_f32_e32 v8, v8
	v_cvt_f16_f32_e32 v9, v9
	;; [unrolled: 1-line block ×4, first 2 shown]
	s_waitcnt lgkmcnt(0)
	v_perm_b32 v37, v36, v35, s63
	v_perm_b32 v36, v32, v31, s63
	v_cvt_f32_f16_e32 v8, v8
	v_cvt_f32_f16_e32 v9, v9
	;; [unrolled: 1-line block ×4, first 2 shown]
	s_nop 1
	v_mfma_f32_16x16x16_f16 v[8:11], v[36:37], v[16:17], v[8:11]
	s_nop 7
	v_cvt_f16_f32_e32 v10, v10
	v_cvt_f16_f32_e32 v11, v11
	v_perm_b32 v31, v11, v10, s63
	ds_read_u16 v10, v151 offset:128
	ds_read_u16 v32, v151 offset:368
	;; [unrolled: 1-line block ×4, first 2 shown]
	s_waitcnt lgkmcnt(2)
	v_perm_b32 v10, v32, v10, s63
	s_waitcnt lgkmcnt(0)
	v_perm_b32 v11, v35, v11, s63
	ds_read_u16 v32, v151 offset:3968
	ds_read_u16 v35, v151 offset:4208
	;; [unrolled: 1-line block ×4, first 2 shown]
	v_mfma_f32_16x16x16_f16 v[10:13], v[10:11], v[20:21], v[108:111]
	s_waitcnt lgkmcnt(0)
	v_perm_b32 v37, v37, v36, s63
	v_perm_b32 v36, v35, v32, s63
	v_cvt_f32_f16_e32 v108, v15
	s_nop 3
	v_cvt_f16_f32_e32 v10, v10
	v_cvt_f16_f32_e32 v11, v11
	;; [unrolled: 1-line block ×4, first 2 shown]
	v_cvt_f32_f16_e32 v10, v10
	v_cvt_f32_f16_e32 v11, v11
	;; [unrolled: 1-line block ×4, first 2 shown]
	v_cvt_f32_f16_sdwa v109, v15 dst_sel:DWORD dst_unused:UNUSED_PAD src0_sel:WORD_1
	v_cvt_f32_f16_e32 v110, v14
	v_mfma_f32_16x16x16_f16 v[10:13], v[36:37], v[22:23], v[10:13]
	ds_read_u16 v32, v151 offset:7808
	ds_read_u16 v35, v151 offset:8048
	ds_read_u16 v36, v152 offset:7808
	ds_read_u16 v37, v153 offset:7808
	v_cvt_f32_f16_sdwa v111, v14 dst_sel:DWORD dst_unused:UNUSED_PAD src0_sel:WORD_1
	s_nop 2
	v_cvt_f16_f32_e32 v10, v10
	v_cvt_f16_f32_e32 v11, v11
	;; [unrolled: 1-line block ×4, first 2 shown]
	s_waitcnt lgkmcnt(0)
	v_perm_b32 v37, v37, v36, s63
	v_perm_b32 v36, v35, v32, s63
	v_cvt_f32_f16_e32 v10, v10
	v_cvt_f32_f16_e32 v11, v11
	;; [unrolled: 1-line block ×4, first 2 shown]
	s_nop 1
	v_mfma_f32_16x16x16_f16 v[10:13], v[36:37], v[24:25], v[10:13]
	ds_read_u16 v32, v151 offset:11648
	ds_read_u16 v35, v151 offset:11888
	;; [unrolled: 1-line block ×4, first 2 shown]
	s_nop 3
	v_cvt_f16_f32_e32 v10, v10
	v_cvt_f16_f32_e32 v11, v11
	;; [unrolled: 1-line block ×4, first 2 shown]
	s_waitcnt lgkmcnt(0)
	v_perm_b32 v37, v37, v36, s63
	v_perm_b32 v36, v35, v32, s63
	v_cvt_f32_f16_e32 v10, v10
	v_cvt_f32_f16_e32 v11, v11
	;; [unrolled: 1-line block ×4, first 2 shown]
	s_nop 1
	v_mfma_f32_16x16x16_f16 v[10:13], v[36:37], v[16:17], v[10:13]
	s_nop 7
	v_cvt_f16_f32_e32 v12, v12
	v_cvt_f16_f32_e32 v13, v13
	v_perm_b32 v32, v13, v12, s63
	ds_read_u16 v12, v151 offset:160
	ds_read_u16 v35, v151 offset:400
	;; [unrolled: 1-line block ×4, first 2 shown]
	s_waitcnt lgkmcnt(2)
	v_perm_b32 v12, v35, v12, s63
	s_waitcnt lgkmcnt(0)
	v_perm_b32 v13, v36, v13, s63
	ds_read_u16 v35, v151 offset:4000
	ds_read_u16 v36, v151 offset:4240
	ds_read_u16 v37, v152 offset:4000
	ds_read_u16 v42, v153 offset:4000
	v_mfma_f32_16x16x16_f16 v[12:15], v[12:13], v[20:21], v[108:111]
	s_waitcnt lgkmcnt(0)
	v_perm_b32 v37, v42, v37, s63
	v_perm_b32 v36, v36, v35, s63
	v_cvt_f32_f16_e32 v108, v34
	s_nop 3
	v_cvt_f16_f32_e32 v12, v12
	v_cvt_f16_f32_e32 v13, v13
	v_cvt_f16_f32_e32 v14, v14
	v_cvt_f16_f32_e32 v15, v15
	v_cvt_f32_f16_e32 v12, v12
	v_cvt_f32_f16_e32 v13, v13
	;; [unrolled: 1-line block ×4, first 2 shown]
	v_cvt_f32_f16_sdwa v109, v34 dst_sel:DWORD dst_unused:UNUSED_PAD src0_sel:WORD_1
	v_cvt_f32_f16_e32 v110, v33
	v_mfma_f32_16x16x16_f16 v[12:15], v[36:37], v[22:23], v[12:15]
	ds_read_u16 v35, v151 offset:7840
	ds_read_u16 v36, v151 offset:8080
	;; [unrolled: 1-line block ×4, first 2 shown]
	v_cvt_f32_f16_sdwa v111, v33 dst_sel:DWORD dst_unused:UNUSED_PAD src0_sel:WORD_1
	s_nop 2
	v_cvt_f16_f32_e32 v12, v12
	v_cvt_f16_f32_e32 v13, v13
	;; [unrolled: 1-line block ×4, first 2 shown]
	s_waitcnt lgkmcnt(0)
	v_perm_b32 v37, v42, v37, s63
	v_perm_b32 v36, v36, v35, s63
	v_cvt_f32_f16_e32 v12, v12
	v_cvt_f32_f16_e32 v13, v13
	;; [unrolled: 1-line block ×4, first 2 shown]
	s_nop 1
	v_mfma_f32_16x16x16_f16 v[12:15], v[36:37], v[24:25], v[12:15]
	ds_read_u16 v35, v151 offset:11680
	ds_read_u16 v36, v151 offset:11920
	;; [unrolled: 1-line block ×4, first 2 shown]
	s_nop 3
	v_cvt_f16_f32_e32 v12, v12
	v_cvt_f16_f32_e32 v13, v13
	;; [unrolled: 1-line block ×4, first 2 shown]
	s_waitcnt lgkmcnt(0)
	v_perm_b32 v37, v42, v37, s63
	v_perm_b32 v36, v36, v35, s63
	v_cvt_f32_f16_e32 v12, v12
	v_cvt_f32_f16_e32 v13, v13
	;; [unrolled: 1-line block ×4, first 2 shown]
	s_nop 1
	v_mfma_f32_16x16x16_f16 v[12:15], v[36:37], v[16:17], v[12:15]
	s_nop 7
	v_cvt_f16_f32_e32 v14, v14
	v_cvt_f16_f32_e32 v15, v15
	v_perm_b32 v35, v15, v14, s63
	ds_read_u16 v14, v151 offset:192
	ds_read_u16 v36, v151 offset:432
	;; [unrolled: 1-line block ×4, first 2 shown]
	s_waitcnt lgkmcnt(2)
	v_perm_b32 v14, v36, v14, s63
	s_waitcnt lgkmcnt(0)
	v_perm_b32 v15, v37, v15, s63
	ds_read_u16 v33, v151 offset:4032
	ds_read_u16 v34, v151 offset:4272
	;; [unrolled: 1-line block ×4, first 2 shown]
	v_mfma_f32_16x16x16_f16 v[108:111], v[14:15], v[20:21], v[108:111]
	s_nop 7
	v_cvt_f16_f32_e32 v14, v108
	v_cvt_f16_f32_e32 v15, v109
	;; [unrolled: 1-line block ×4, first 2 shown]
	v_cvt_f32_f16_e32 v108, v14
	v_cvt_f32_f16_e32 v109, v15
	s_waitcnt lgkmcnt(0)
	v_perm_b32 v15, v37, v36, s63
	v_perm_b32 v14, v34, v33, s63
	v_cvt_f32_f16_e32 v110, v20
	v_cvt_f32_f16_e32 v111, v21
	ds_read_u16 v33, v151 offset:7872
	ds_read_u16 v34, v151 offset:8112
	;; [unrolled: 1-line block ×4, first 2 shown]
	v_mfma_f32_16x16x16_f16 v[20:23], v[14:15], v[22:23], v[108:111]
	s_nop 7
	v_cvt_f16_f32_e32 v14, v20
	v_cvt_f16_f32_e32 v15, v21
	;; [unrolled: 1-line block ×4, first 2 shown]
	v_cvt_f32_f16_e32 v20, v14
	v_cvt_f32_f16_e32 v21, v15
	s_waitcnt lgkmcnt(0)
	v_perm_b32 v15, v37, v36, s63
	v_perm_b32 v14, v34, v33, s63
	v_cvt_f32_f16_e32 v22, v22
	v_cvt_f32_f16_e32 v23, v23
	s_nop 1
	v_mfma_f32_16x16x16_f16 v[20:23], v[14:15], v[24:25], v[20:23]
	ds_read_u16 v14, v151 offset:11712
	ds_read_u16 v15, v151 offset:11952
	;; [unrolled: 1-line block ×4, first 2 shown]
	s_waitcnt lgkmcnt(0)
	s_barrier
	s_nop 1
	v_cvt_f16_f32_e32 v20, v20
	v_cvt_f16_f32_e32 v21, v21
	;; [unrolled: 1-line block ×4, first 2 shown]
	v_perm_b32 v25, v25, v24, s63
	v_perm_b32 v24, v15, v14, s63
	v_cvt_f32_f16_e32 v20, v20
	v_cvt_f32_f16_e32 v21, v21
	v_cvt_f32_f16_e32 v22, v22
	v_cvt_f32_f16_e32 v23, v23
	s_nop 1
	v_mfma_f32_16x16x16_f16 v[14:17], v[24:25], v[16:17], v[20:23]
	s_nop 7
	v_cvt_f16_f32_e32 v16, v16
	v_cvt_f16_f32_e32 v17, v17
	v_perm_b32 v16, v17, v16, s63
	ds_bpermute_b32 v17, v26, v27
	s_waitcnt lgkmcnt(0)
	v_add_f32_e32 v17, v27, v17
	ds_bpermute_b32 v19, v19, v17
	s_waitcnt lgkmcnt(0)
	v_add_f32_e32 v19, v17, v19
	s_cbranch_vccnz .LBB19_228
; %bb.227:                              ;   in Loop: Header=BB19_11 Depth=1
	v_cvt_pk_f16_f32 v3, v2, v3
	v_lshlrev_b32_e32 v2, 2, v74
	v_readfirstlane_b32 s4, v106
	v_readfirstlane_b32 s5, v107
	v_cvt_pk_f16_f32 v4, v4, v5
	v_cvt_pk_f16_f32 v5, v6, v7
	;; [unrolled: 1-line block ×3, first 2 shown]
	v_max_f32_e32 v8, v18, v18
	v_cvt_pk_f16_f32 v10, v10, v11
	global_load_dword v7, v2, s[4:5]
	v_cvt_pk_f16_f32 v11, v12, v13
	v_cvt_pk_f16_f32 v12, v14, v15
	s_waitcnt vmcnt(0)
	v_max_f32_e32 v2, v7, v7
	v_max_f32_e32 v2, v8, v2
	v_sub_f32_e32 v8, v18, v2
	v_mul_f32_e32 v9, 0x3fb8aa3b, v8
	v_fma_f32 v13, v8, s43, -v9
	v_rndne_f32_e32 v14, v9
	v_fmac_f32_e32 v13, 0x32a5705f, v8
	v_sub_f32_e32 v9, v9, v14
	v_add_f32_e32 v9, v9, v13
	v_exp_f32_e32 v9, v9
	v_cvt_i32_f32_e32 v13, v14
	v_cmp_ngt_f32_e32 vcc, s58, v8
	v_sub_f32_e32 v14, v7, v2
	v_ldexp_f32 v9, v9, v13
	v_cndmask_b32_e32 v9, 0, v9, vcc
	v_cmp_nlt_f32_e32 vcc, s59, v8
	s_nop 1
	v_cndmask_b32_e32 v9, v223, v9, vcc
	v_cmp_le_f32_e32 vcc, s62, v8
	s_nop 1
	v_cndmask_b32_e32 v13, 0, v9, vcc
	v_cvt_f16_f32_e32 v7, v13
	v_cmp_ngt_f32_e32 vcc, s58, v14
	v_mul_u32_u24_e32 v15, 0x10001, v7
	v_pk_mul_f16 v9, v3, v15
	v_mul_f32_e32 v3, 0x3fb8aa3b, v14
	v_pk_mul_f16 v8, v4, v15
	v_pk_mul_f16 v7, v5, v15
	;; [unrolled: 1-line block ×5, first 2 shown]
	v_fma_f32 v11, v14, s43, -v3
	v_rndne_f32_e32 v12, v3
	v_fmac_f32_e32 v11, 0x32a5705f, v14
	v_sub_f32_e32 v3, v3, v12
	v_add_f32_e32 v3, v3, v11
	v_exp_f32_e32 v3, v3
	v_cvt_i32_f32_e32 v11, v12
	v_pk_mul_f16 v28, v28, v15
	v_pk_mul_f16 v29, v29, v15
	;; [unrolled: 1-line block ×3, first 2 shown]
	v_ldexp_f32 v3, v3, v11
	v_cndmask_b32_e32 v3, 0, v3, vcc
	v_cmp_nlt_f32_e32 vcc, s59, v14
	v_pk_mul_f16 v6, v6, v15
	v_pk_mul_f16 v31, v31, v15
	v_cndmask_b32_e32 v3, v223, v3, vcc
	v_fmac_f32_e32 v3, v19, v13
	v_pk_mul_f16 v32, v32, v15
	v_pk_mul_f16 v35, v35, v15
	v_pk_mul_f16 v16, v16, v15
	v_mov_b64_e32 v[18:19], v[2:3]
	s_branch .LBB19_229
.LBB19_228:                             ;   in Loop: Header=BB19_11 Depth=1
	v_cvt_f16_f32_e32 v2, v2
	v_cvt_f16_f32_e32 v3, v3
	;; [unrolled: 1-line block ×14, first 2 shown]
	v_perm_b32 v4, v9, v4, s63
	v_perm_b32 v5, v10, v5, s63
	;; [unrolled: 1-line block ×7, first 2 shown]
.LBB19_229:                             ;   in Loop: Header=BB19_11 Depth=1
	s_mov_b64 s[98:99], exec
	v_readlane_b32 s4, v250, 13
	v_readlane_b32 s5, v250, 14
	s_and_b64 s[4:5], s[98:99], s[4:5]
	s_mov_b64 exec, s[4:5]
; %bb.230:                              ;   in Loop: Header=BB19_11 Depth=1
	ds_write2_b32 v194, v18, v19 offset0:56 offset1:57
; %bb.231:                              ;   in Loop: Header=BB19_11 Depth=1
	s_or_b64 exec, exec, s[98:99]
	v_add_u32_e32 v2, v97, v175
	s_waitcnt lgkmcnt(0)
	s_barrier
	ds_write2_b32 v2, v9, v28 offset1:1
	ds_write2_b32 v2, v8, v29 offset0:8 offset1:9
	ds_write2_b32 v2, v7, v30 offset0:16 offset1:17
	;; [unrolled: 1-line block ×6, first 2 shown]
	v_mov_b32_e32 v2, 50
	s_waitcnt lgkmcnt(0)
	s_barrier
	s_and_saveexec_b64 s[98:99], s[96:97]
	s_cbranch_execz .LBB19_233
; %bb.232:                              ;   in Loop: Header=BB19_11 Depth=1
	ds_read_b32 v6, v209 offset:228
	ds_read_b32 v4, v210
	v_mad_u64_u32 v[2:3], s[4:5], v224, s29, v[100:101]
	v_mad_u64_u32 v[2:3], s[4:5], v2, 56, v[38:39]
	s_waitcnt lgkmcnt(0)
	v_cvt_f32_f16_sdwa v5, v4 dst_sel:DWORD dst_unused:UNUSED_PAD src0_sel:WORD_1
	v_cvt_f32_f16_e32 v4, v4
	v_ashrrev_i32_e32 v3, 31, v2
	v_lshl_add_u64 v[2:3], v[2:3], 3, v[104:105]
	v_pk_add_f32 v[4:5], v[4:5], 0 op_sel_hi:[1,0]
	s_nop 0
	v_div_scale_f32 v7, s[4:5], v6, v6, v5
	v_rcp_f32_e32 v8, v7
	s_nop 0
	v_fma_f32 v9, -v7, v8, 1.0
	v_fmac_f32_e32 v8, v9, v8
	v_div_scale_f32 v9, vcc, v5, v6, v5
	v_mul_f32_e32 v10, v9, v8
	v_fma_f32 v11, -v7, v10, v9
	v_fmac_f32_e32 v10, v11, v8
	v_fma_f32 v7, -v7, v10, v9
	v_div_fmas_f32 v7, v7, v8, v10
	v_div_fixup_f32 v5, v7, v6, v5
	v_div_scale_f32 v7, s[4:5], v6, v6, v4
	v_rcp_f32_e32 v8, v7
	s_nop 0
	v_fma_f32 v9, -v7, v8, 1.0
	v_fmac_f32_e32 v8, v9, v8
	v_div_scale_f32 v9, vcc, v4, v6, v4
	v_mul_f32_e32 v10, v9, v8
	v_fma_f32 v11, -v7, v10, v9
	v_fmac_f32_e32 v10, v11, v8
	v_fma_f32 v7, -v7, v10, v9
	v_div_fmas_f32 v7, v7, v8, v10
	v_div_fixup_f32 v4, v7, v6, v4
	global_store_dwordx2 v[2:3], v[4:5], off
	v_mov_b32_e32 v2, 0
.LBB19_233:                             ;   in Loop: Header=BB19_11 Depth=1
	s_or_b64 exec, exec, s[98:99]
	v_cmp_gt_i32_e32 vcc, 50, v2
	s_mov_b64 s[98:99], -1
	s_and_saveexec_b64 s[96:97], vcc
; %bb.234:                              ;   in Loop: Header=BB19_11 Depth=1
	v_cmp_eq_u32_e32 vcc, 0, v2
	s_orn2_b64 s[98:99], vcc, exec
; %bb.235:                              ;   in Loop: Header=BB19_11 Depth=1
	s_or_b64 exec, exec, s[96:97]
	s_and_saveexec_b64 s[96:97], s[98:99]
	s_cbranch_execz .LBB19_268
; %bb.236:                              ;   in Loop: Header=BB19_11 Depth=1
	v_mov_b32_e32 v2, 50
	s_and_saveexec_b64 s[98:99], s[94:95]
	s_cbranch_execz .LBB19_238
; %bb.237:                              ;   in Loop: Header=BB19_11 Depth=1
	ds_read_b32 v6, v211 offset:228
	ds_read_b32 v4, v212
	v_mad_u64_u32 v[2:3], s[4:5], v235, s29, v[100:101]
	v_mad_u64_u32 v[2:3], s[4:5], v2, 56, v[38:39]
	s_waitcnt lgkmcnt(0)
	v_cvt_f32_f16_sdwa v5, v4 dst_sel:DWORD dst_unused:UNUSED_PAD src0_sel:WORD_1
	v_cvt_f32_f16_e32 v4, v4
	v_ashrrev_i32_e32 v3, 31, v2
	v_lshl_add_u64 v[2:3], v[2:3], 3, v[104:105]
	v_pk_add_f32 v[4:5], v[4:5], 0 op_sel_hi:[1,0]
	s_nop 0
	v_div_scale_f32 v7, s[4:5], v6, v6, v5
	v_rcp_f32_e32 v8, v7
	s_nop 0
	v_fma_f32 v9, -v7, v8, 1.0
	v_fmac_f32_e32 v8, v9, v8
	v_div_scale_f32 v9, vcc, v5, v6, v5
	v_mul_f32_e32 v10, v9, v8
	v_fma_f32 v11, -v7, v10, v9
	v_fmac_f32_e32 v10, v11, v8
	v_fma_f32 v7, -v7, v10, v9
	v_div_fmas_f32 v7, v7, v8, v10
	v_div_fixup_f32 v5, v7, v6, v5
	v_div_scale_f32 v7, s[4:5], v6, v6, v4
	v_rcp_f32_e32 v8, v7
	s_nop 0
	v_fma_f32 v9, -v7, v8, 1.0
	v_fmac_f32_e32 v8, v9, v8
	v_div_scale_f32 v9, vcc, v4, v6, v4
	v_mul_f32_e32 v10, v9, v8
	v_fma_f32 v11, -v7, v10, v9
	v_fmac_f32_e32 v10, v11, v8
	v_fma_f32 v7, -v7, v10, v9
	v_div_fmas_f32 v7, v7, v8, v10
	v_div_fixup_f32 v4, v7, v6, v4
	global_store_dwordx2 v[2:3], v[4:5], off
	v_mov_b32_e32 v2, 0
.LBB19_238:                             ;   in Loop: Header=BB19_11 Depth=1
	s_or_b64 exec, exec, s[98:99]
	v_cmp_gt_i32_e32 vcc, 50, v2
	s_mov_b64 s[94:95], -1
	s_and_saveexec_b64 s[98:99], vcc
; %bb.239:                              ;   in Loop: Header=BB19_11 Depth=1
	v_cmp_eq_u32_e32 vcc, 0, v2
	s_orn2_b64 s[94:95], vcc, exec
; %bb.240:                              ;   in Loop: Header=BB19_11 Depth=1
	s_or_b64 exec, exec, s[98:99]
	s_and_b64 exec, exec, s[94:95]
	s_cbranch_execz .LBB19_268
; %bb.241:                              ;   in Loop: Header=BB19_11 Depth=1
	v_mov_b32_e32 v2, 50
	s_and_saveexec_b64 s[94:95], s[92:93]
	s_cbranch_execz .LBB19_243
; %bb.242:                              ;   in Loop: Header=BB19_11 Depth=1
	ds_read_b32 v6, v176 offset:228
	ds_read_b32 v4, v213
	v_mad_u64_u32 v[2:3], s[4:5], v234, s29, v[100:101]
	v_mad_u64_u32 v[2:3], s[4:5], v2, 56, v[38:39]
	s_waitcnt lgkmcnt(0)
	v_cvt_f32_f16_sdwa v5, v4 dst_sel:DWORD dst_unused:UNUSED_PAD src0_sel:WORD_1
	v_cvt_f32_f16_e32 v4, v4
	v_ashrrev_i32_e32 v3, 31, v2
	v_lshl_add_u64 v[2:3], v[2:3], 3, v[104:105]
	v_pk_add_f32 v[4:5], v[4:5], 0 op_sel_hi:[1,0]
	s_nop 0
	v_div_scale_f32 v7, s[4:5], v6, v6, v5
	v_rcp_f32_e32 v8, v7
	s_nop 0
	v_fma_f32 v9, -v7, v8, 1.0
	v_fmac_f32_e32 v8, v9, v8
	v_div_scale_f32 v9, vcc, v5, v6, v5
	v_mul_f32_e32 v10, v9, v8
	v_fma_f32 v11, -v7, v10, v9
	v_fmac_f32_e32 v10, v11, v8
	v_fma_f32 v7, -v7, v10, v9
	v_div_fmas_f32 v7, v7, v8, v10
	v_div_fixup_f32 v5, v7, v6, v5
	v_div_scale_f32 v7, s[4:5], v6, v6, v4
	v_rcp_f32_e32 v8, v7
	s_nop 0
	v_fma_f32 v9, -v7, v8, 1.0
	v_fmac_f32_e32 v8, v9, v8
	v_div_scale_f32 v9, vcc, v4, v6, v4
	v_mul_f32_e32 v10, v9, v8
	v_fma_f32 v11, -v7, v10, v9
	v_fmac_f32_e32 v10, v11, v8
	v_fma_f32 v7, -v7, v10, v9
	v_div_fmas_f32 v7, v7, v8, v10
	v_div_fixup_f32 v4, v7, v6, v4
	global_store_dwordx2 v[2:3], v[4:5], off
	v_mov_b32_e32 v2, 0
.LBB19_243:                             ;   in Loop: Header=BB19_11 Depth=1
	s_or_b64 exec, exec, s[94:95]
	v_cmp_gt_i32_e32 vcc, 50, v2
	s_mov_b64 s[92:93], -1
	s_and_saveexec_b64 s[94:95], vcc
; %bb.244:                              ;   in Loop: Header=BB19_11 Depth=1
	v_cmp_eq_u32_e32 vcc, 0, v2
	s_orn2_b64 s[92:93], vcc, exec
; %bb.245:                              ;   in Loop: Header=BB19_11 Depth=1
	s_or_b64 exec, exec, s[94:95]
	s_and_b64 exec, exec, s[92:93]
	;; [unrolled: 54-line block ×6, first 2 shown]
	s_cbranch_execz .LBB19_268
; %bb.266:                              ;   in Loop: Header=BB19_11 Depth=1
	s_and_b64 exec, exec, s[82:83]
	s_cbranch_execz .LBB19_268
; %bb.267:                              ;   in Loop: Header=BB19_11 Depth=1
	ds_read_b32 v6, v220 offset:228
	ds_read_b32 v4, v221
	v_mad_u64_u32 v[2:3], s[4:5], v229, s29, v[100:101]
	v_mad_u64_u32 v[2:3], s[4:5], v2, 56, v[38:39]
	s_waitcnt lgkmcnt(0)
	v_cvt_f32_f16_sdwa v5, v4 dst_sel:DWORD dst_unused:UNUSED_PAD src0_sel:WORD_1
	v_cvt_f32_f16_e32 v4, v4
	v_ashrrev_i32_e32 v3, 31, v2
	v_lshl_add_u64 v[2:3], v[2:3], 3, v[104:105]
	v_pk_add_f32 v[4:5], v[4:5], 0 op_sel_hi:[1,0]
	s_nop 0
	v_div_scale_f32 v7, s[4:5], v6, v6, v5
	v_rcp_f32_e32 v8, v7
	s_nop 0
	v_fma_f32 v9, -v7, v8, 1.0
	v_fmac_f32_e32 v8, v9, v8
	v_div_scale_f32 v9, vcc, v5, v6, v5
	v_mul_f32_e32 v10, v9, v8
	v_fma_f32 v11, -v7, v10, v9
	v_fmac_f32_e32 v10, v11, v8
	v_fma_f32 v7, -v7, v10, v9
	v_div_fmas_f32 v7, v7, v8, v10
	v_div_fixup_f32 v5, v7, v6, v5
	v_div_scale_f32 v7, s[4:5], v6, v6, v4
	v_rcp_f32_e32 v8, v7
	s_nop 0
	v_fma_f32 v9, -v7, v8, 1.0
	v_fmac_f32_e32 v8, v9, v8
	v_div_scale_f32 v9, vcc, v4, v6, v4
	v_mul_f32_e32 v10, v9, v8
	v_fma_f32 v11, -v7, v10, v9
	v_fmac_f32_e32 v10, v11, v8
	v_fma_f32 v7, -v7, v10, v9
	v_div_fmas_f32 v7, v7, v8, v10
	v_div_fixup_f32 v4, v7, v6, v4
	global_store_dwordx2 v[2:3], v[4:5], off
.LBB19_268:                             ;   in Loop: Header=BB19_11 Depth=1
	s_or_b64 exec, exec, s[96:97]
	v_mov_b32_e32 v2, 50
	s_and_saveexec_b64 s[82:83], s[80:81]
	s_cbranch_execz .LBB19_270
; %bb.269:                              ;   in Loop: Header=BB19_11 Depth=1
	ds_read_b32 v2, v183 offset:128
	ds_read_b32 v6, v165 offset:228
	v_mad_u64_u32 v[4:5], s[4:5], v228, s29, v[96:97]
	v_mul_lo_u32 v4, v4, 56
	s_waitcnt lgkmcnt(1)
	v_cvt_f32_f16_sdwa v3, v2 dst_sel:DWORD dst_unused:UNUSED_PAD src0_sel:WORD_1
	v_cvt_f32_f16_e32 v2, v2
	v_ashrrev_i32_e32 v5, 31, v4
	v_lshl_add_u64 v[4:5], v[4:5], 0, v[40:41]
	v_lshl_add_u64 v[4:5], v[4:5], 3, v[104:105]
	v_pk_add_f32 v[2:3], v[2:3], 0 op_sel_hi:[1,0]
	s_waitcnt lgkmcnt(0)
	v_div_scale_f32 v7, s[4:5], v6, v6, v3
	v_rcp_f32_e32 v8, v7
	s_nop 0
	v_fma_f32 v9, -v7, v8, 1.0
	v_fmac_f32_e32 v8, v9, v8
	v_div_scale_f32 v9, vcc, v3, v6, v3
	v_mul_f32_e32 v10, v9, v8
	v_fma_f32 v11, -v7, v10, v9
	v_fmac_f32_e32 v10, v11, v8
	v_fma_f32 v7, -v7, v10, v9
	v_div_scale_f32 v9, s[4:5], v6, v6, v2
	v_rcp_f32_e32 v11, v9
	v_div_fmas_f32 v7, v7, v8, v10
	v_div_fixup_f32 v3, v7, v6, v3
	v_fma_f32 v7, -v9, v11, 1.0
	v_fmac_f32_e32 v11, v7, v11
	v_div_scale_f32 v7, vcc, v2, v6, v2
	v_mul_f32_e32 v8, v7, v11
	v_fma_f32 v10, -v9, v8, v7
	v_fmac_f32_e32 v8, v10, v11
	v_fma_f32 v7, -v9, v8, v7
	v_div_fmas_f32 v7, v7, v11, v8
	v_div_fixup_f32 v2, v7, v6, v2
	global_store_dwordx2 v[4:5], v[2:3], off offset:256
	v_mov_b32_e32 v2, 0
.LBB19_270:                             ;   in Loop: Header=BB19_11 Depth=1
	s_or_b64 exec, exec, s[82:83]
	v_cmp_gt_i32_e32 vcc, 50, v2
	s_mov_b64 s[82:83], -1
	s_and_saveexec_b64 s[80:81], vcc
; %bb.271:                              ;   in Loop: Header=BB19_11 Depth=1
	v_cmp_eq_u32_e32 vcc, 0, v2
	s_orn2_b64 s[82:83], vcc, exec
; %bb.272:                              ;   in Loop: Header=BB19_11 Depth=1
	s_or_b64 exec, exec, s[80:81]
	s_and_saveexec_b64 s[80:81], s[82:83]
	s_cbranch_execz .LBB19_285
; %bb.273:                              ;   in Loop: Header=BB19_11 Depth=1
	v_mov_b32_e32 v2, 50
	s_and_saveexec_b64 s[82:83], s[78:79]
	s_cbranch_execz .LBB19_275
; %bb.274:                              ;   in Loop: Header=BB19_11 Depth=1
	ds_read_b32 v2, v184 offset:128
	ds_read_b32 v6, v179 offset:228
	v_mad_u64_u32 v[4:5], s[4:5], v227, s29, v[96:97]
	v_mul_lo_u32 v4, v4, 56
	s_waitcnt lgkmcnt(1)
	v_cvt_f32_f16_sdwa v3, v2 dst_sel:DWORD dst_unused:UNUSED_PAD src0_sel:WORD_1
	v_cvt_f32_f16_e32 v2, v2
	v_ashrrev_i32_e32 v5, 31, v4
	v_lshl_add_u64 v[4:5], v[4:5], 0, v[40:41]
	v_lshl_add_u64 v[4:5], v[4:5], 3, v[104:105]
	v_pk_add_f32 v[2:3], v[2:3], 0 op_sel_hi:[1,0]
	s_waitcnt lgkmcnt(0)
	v_div_scale_f32 v7, s[4:5], v6, v6, v3
	v_rcp_f32_e32 v8, v7
	s_nop 0
	v_fma_f32 v9, -v7, v8, 1.0
	v_fmac_f32_e32 v8, v9, v8
	v_div_scale_f32 v9, vcc, v3, v6, v3
	v_mul_f32_e32 v10, v9, v8
	v_fma_f32 v11, -v7, v10, v9
	v_fmac_f32_e32 v10, v11, v8
	v_fma_f32 v7, -v7, v10, v9
	v_div_scale_f32 v9, s[4:5], v6, v6, v2
	v_rcp_f32_e32 v11, v9
	v_div_fmas_f32 v7, v7, v8, v10
	v_div_fixup_f32 v3, v7, v6, v3
	v_fma_f32 v7, -v9, v11, 1.0
	v_fmac_f32_e32 v11, v7, v11
	v_div_scale_f32 v7, vcc, v2, v6, v2
	v_mul_f32_e32 v8, v7, v11
	v_fma_f32 v10, -v9, v8, v7
	v_fmac_f32_e32 v8, v10, v11
	v_fma_f32 v7, -v9, v8, v7
	v_div_fmas_f32 v7, v7, v11, v8
	v_div_fixup_f32 v2, v7, v6, v2
	global_store_dwordx2 v[4:5], v[2:3], off offset:256
	v_mov_b32_e32 v2, 0
.LBB19_275:                             ;   in Loop: Header=BB19_11 Depth=1
	s_or_b64 exec, exec, s[82:83]
	v_cmp_gt_i32_e32 vcc, 50, v2
	s_mov_b64 s[78:79], -1
	s_and_saveexec_b64 s[82:83], vcc
; %bb.276:                              ;   in Loop: Header=BB19_11 Depth=1
	v_cmp_eq_u32_e32 vcc, 0, v2
	s_orn2_b64 s[78:79], vcc, exec
; %bb.277:                              ;   in Loop: Header=BB19_11 Depth=1
	s_or_b64 exec, exec, s[82:83]
	s_and_b64 exec, exec, s[78:79]
	s_cbranch_execz .LBB19_285
; %bb.278:                              ;   in Loop: Header=BB19_11 Depth=1
	v_mov_b32_e32 v2, 50
	s_and_saveexec_b64 s[78:79], s[76:77]
	s_cbranch_execz .LBB19_280
; %bb.279:                              ;   in Loop: Header=BB19_11 Depth=1
	ds_read_b32 v2, v185 offset:128
	ds_read_b32 v6, v180 offset:228
	v_mad_u64_u32 v[4:5], s[4:5], v226, s29, v[96:97]
	v_mul_lo_u32 v4, v4, 56
	s_waitcnt lgkmcnt(1)
	v_cvt_f32_f16_sdwa v3, v2 dst_sel:DWORD dst_unused:UNUSED_PAD src0_sel:WORD_1
	v_cvt_f32_f16_e32 v2, v2
	v_ashrrev_i32_e32 v5, 31, v4
	v_lshl_add_u64 v[4:5], v[4:5], 0, v[40:41]
	v_lshl_add_u64 v[4:5], v[4:5], 3, v[104:105]
	v_pk_add_f32 v[2:3], v[2:3], 0 op_sel_hi:[1,0]
	s_waitcnt lgkmcnt(0)
	v_div_scale_f32 v7, s[4:5], v6, v6, v3
	v_rcp_f32_e32 v8, v7
	s_nop 0
	v_fma_f32 v9, -v7, v8, 1.0
	v_fmac_f32_e32 v8, v9, v8
	v_div_scale_f32 v9, vcc, v3, v6, v3
	v_mul_f32_e32 v10, v9, v8
	v_fma_f32 v11, -v7, v10, v9
	v_fmac_f32_e32 v10, v11, v8
	v_fma_f32 v7, -v7, v10, v9
	v_div_scale_f32 v9, s[4:5], v6, v6, v2
	v_rcp_f32_e32 v11, v9
	v_div_fmas_f32 v7, v7, v8, v10
	v_div_fixup_f32 v3, v7, v6, v3
	v_fma_f32 v7, -v9, v11, 1.0
	v_fmac_f32_e32 v11, v7, v11
	v_div_scale_f32 v7, vcc, v2, v6, v2
	v_mul_f32_e32 v8, v7, v11
	v_fma_f32 v10, -v9, v8, v7
	v_fmac_f32_e32 v8, v10, v11
	v_fma_f32 v7, -v9, v8, v7
	v_div_fmas_f32 v7, v7, v11, v8
	v_div_fixup_f32 v2, v7, v6, v2
	global_store_dwordx2 v[4:5], v[2:3], off offset:256
	v_mov_b32_e32 v2, 0
.LBB19_280:                             ;   in Loop: Header=BB19_11 Depth=1
	s_or_b64 exec, exec, s[78:79]
	v_cmp_gt_i32_e32 vcc, 50, v2
	s_mov_b64 s[76:77], -1
	s_and_saveexec_b64 s[78:79], vcc
; %bb.281:                              ;   in Loop: Header=BB19_11 Depth=1
	v_cmp_eq_u32_e32 vcc, 0, v2
	s_orn2_b64 s[76:77], vcc, exec
; %bb.282:                              ;   in Loop: Header=BB19_11 Depth=1
	s_or_b64 exec, exec, s[78:79]
	s_and_b64 exec, exec, s[76:77]
	s_cbranch_execz .LBB19_285
; %bb.283:                              ;   in Loop: Header=BB19_11 Depth=1
	s_and_b64 exec, exec, s[74:75]
	s_cbranch_execz .LBB19_285
; %bb.284:                              ;   in Loop: Header=BB19_11 Depth=1
	ds_read_b32 v2, v186 offset:128
	ds_read_b32 v6, v181 offset:228
	v_mad_u64_u32 v[4:5], s[4:5], v225, s29, v[96:97]
	v_mul_lo_u32 v4, v4, 56
	s_waitcnt lgkmcnt(1)
	v_cvt_f32_f16_sdwa v3, v2 dst_sel:DWORD dst_unused:UNUSED_PAD src0_sel:WORD_1
	v_cvt_f32_f16_e32 v2, v2
	v_ashrrev_i32_e32 v5, 31, v4
	v_lshl_add_u64 v[4:5], v[4:5], 0, v[40:41]
	v_lshl_add_u64 v[4:5], v[4:5], 3, v[104:105]
	v_pk_add_f32 v[2:3], v[2:3], 0 op_sel_hi:[1,0]
	s_waitcnt lgkmcnt(0)
	v_div_scale_f32 v7, s[4:5], v6, v6, v3
	v_rcp_f32_e32 v8, v7
	s_nop 0
	v_fma_f32 v9, -v7, v8, 1.0
	v_fmac_f32_e32 v8, v9, v8
	v_div_scale_f32 v9, vcc, v3, v6, v3
	v_mul_f32_e32 v10, v9, v8
	v_fma_f32 v11, -v7, v10, v9
	v_fmac_f32_e32 v10, v11, v8
	v_fma_f32 v7, -v7, v10, v9
	v_div_scale_f32 v9, s[4:5], v6, v6, v2
	v_rcp_f32_e32 v11, v9
	v_div_fmas_f32 v7, v7, v8, v10
	v_div_fixup_f32 v3, v7, v6, v3
	v_fma_f32 v7, -v9, v11, 1.0
	v_fmac_f32_e32 v11, v7, v11
	v_div_scale_f32 v7, vcc, v2, v6, v2
	v_mul_f32_e32 v8, v7, v11
	v_fma_f32 v10, -v9, v8, v7
	v_fmac_f32_e32 v8, v10, v11
	v_fma_f32 v7, -v9, v8, v7
	v_div_fmas_f32 v7, v7, v11, v8
	v_div_fixup_f32 v2, v7, v6, v2
	global_store_dwordx2 v[4:5], v[2:3], off offset:256
.LBB19_285:                             ;   in Loop: Header=BB19_11 Depth=1
	s_or_b64 exec, exec, s[80:81]
	v_mov_b32_e32 v2, 50
	s_and_saveexec_b64 s[74:75], s[72:73]
	s_cbranch_execz .LBB19_287
; %bb.286:                              ;   in Loop: Header=BB19_11 Depth=1
	ds_read_b32 v2, v173 offset:192
	ds_read_b32 v6, v75 offset:228
	v_mad_u64_u32 v[4:5], s[4:5], v125, s29, v[90:91]
	v_mul_lo_u32 v4, v4, 56
	s_waitcnt lgkmcnt(1)
	v_cvt_f32_f16_sdwa v3, v2 dst_sel:DWORD dst_unused:UNUSED_PAD src0_sel:WORD_1
	v_cvt_f32_f16_e32 v2, v2
	v_ashrrev_i32_e32 v5, 31, v4
	v_or_b32_e32 v4, v4, v68
	v_lshl_add_u64 v[4:5], v[4:5], 3, v[104:105]
	v_pk_add_f32 v[2:3], v[2:3], 0 op_sel_hi:[1,0]
	s_waitcnt lgkmcnt(0)
	v_div_scale_f32 v7, s[4:5], v6, v6, v3
	v_rcp_f32_e32 v8, v7
	s_nop 0
	v_fma_f32 v9, -v7, v8, 1.0
	v_fmac_f32_e32 v8, v9, v8
	v_div_scale_f32 v9, vcc, v3, v6, v3
	v_mul_f32_e32 v10, v9, v8
	v_fma_f32 v11, -v7, v10, v9
	v_fmac_f32_e32 v10, v11, v8
	v_fma_f32 v7, -v7, v10, v9
	v_div_scale_f32 v9, s[4:5], v6, v6, v2
	v_rcp_f32_e32 v11, v9
	v_div_fmas_f32 v7, v7, v8, v10
	v_div_fixup_f32 v3, v7, v6, v3
	v_fma_f32 v7, -v9, v11, 1.0
	v_fmac_f32_e32 v11, v7, v11
	v_div_scale_f32 v7, vcc, v2, v6, v2
	v_mul_f32_e32 v8, v7, v11
	v_fma_f32 v10, -v9, v8, v7
	v_fmac_f32_e32 v8, v10, v11
	v_fma_f32 v7, -v9, v8, v7
	v_div_fmas_f32 v7, v7, v11, v8
	v_div_fixup_f32 v2, v7, v6, v2
	global_store_dwordx2 v[4:5], v[2:3], off offset:384
	v_mov_b32_e32 v2, 0
.LBB19_287:                             ;   in Loop: Header=BB19_11 Depth=1
	s_or_b64 exec, exec, s[74:75]
	v_cmp_gt_i32_e32 vcc, 50, v2
	s_mov_b64 s[74:75], -1
	s_and_saveexec_b64 s[72:73], vcc
; %bb.288:                              ;   in Loop: Header=BB19_11 Depth=1
	v_cmp_eq_u32_e32 vcc, 0, v2
	s_orn2_b64 s[74:75], vcc, exec
; %bb.289:                              ;   in Loop: Header=BB19_11 Depth=1
	s_or_b64 exec, exec, s[72:73]
                                        ; implicit-def: $vgpr2_vgpr3
	s_and_saveexec_b64 s[72:73], s[74:75]
	s_cbranch_execz .LBB19_293
; %bb.290:                              ;   in Loop: Header=BB19_11 Depth=1
	s_mov_b64 s[76:77], s[8:9]
                                        ; implicit-def: $vgpr2_vgpr3
	s_and_saveexec_b64 s[74:75], s[6:7]
	s_cbranch_execz .LBB19_292
; %bb.291:                              ;   in Loop: Header=BB19_11 Depth=1
	ds_read_b32 v2, v174 offset:192
	ds_read_b32 v4, v93 offset:228
	s_or_b64 s[76:77], s[8:9], exec
	s_waitcnt lgkmcnt(1)
	v_cvt_f32_f16_sdwa v3, v2 dst_sel:DWORD dst_unused:UNUSED_PAD src0_sel:WORD_1
	v_cvt_f32_f16_e32 v2, v2
	v_pk_add_f32 v[2:3], v[2:3], 0 op_sel_hi:[1,0]
	s_waitcnt lgkmcnt(0)
	v_div_scale_f32 v5, s[4:5], v4, v4, v3
	v_rcp_f32_e32 v7, v5
	v_div_scale_f32 v6, s[4:5], v4, v4, v2
	v_div_scale_f32 v9, vcc, v3, v4, v3
	v_fma_f32 v10, -v5, v7, 1.0
	v_fmac_f32_e32 v7, v10, v7
	v_rcp_f32_e32 v8, v6
	v_mul_f32_e32 v10, v9, v7
	v_fma_f32 v12, -v5, v10, v9
	v_fmac_f32_e32 v10, v12, v7
	v_fma_f32 v5, -v5, v10, v9
	v_fma_f32 v11, -v6, v8, 1.0
	v_div_fmas_f32 v5, v5, v7, v10
	v_div_fixup_f32 v3, v5, v4, v3
	v_fmac_f32_e32 v8, v11, v8
	v_div_scale_f32 v5, vcc, v2, v4, v2
	v_mul_f32_e32 v7, v5, v8
	v_fma_f32 v9, -v6, v7, v5
	v_fmac_f32_e32 v7, v9, v8
	v_fma_f32 v5, -v6, v7, v5
	v_div_fmas_f32 v5, v5, v8, v7
	v_div_fixup_f32 v2, v5, v4, v2
.LBB19_292:                             ;   in Loop: Header=BB19_11 Depth=1
	s_or_b64 exec, exec, s[74:75]
	s_andn2_b64 s[4:5], s[8:9], exec
	s_and_b64 s[6:7], s[76:77], exec
	s_or_b64 s[8:9], s[4:5], s[6:7]
.LBB19_293:                             ;   in Loop: Header=BB19_11 Depth=1
	s_or_b64 exec, exec, s[72:73]
.LBB19_294:                             ;   in Loop: Header=BB19_11 Depth=1
	s_and_saveexec_b64 s[6:7], s[8:9]
	s_cbranch_execz .LBB19_10
; %bb.295:                              ;   in Loop: Header=BB19_11 Depth=1
	v_mad_u64_u32 v[4:5], s[4:5], v103, s29, v[90:91]
	v_mul_lo_u32 v4, v4, 56
	v_ashrrev_i32_e32 v5, 31, v4
	v_or_b32_e32 v4, v4, v68
	v_lshl_add_u64 v[4:5], v[4:5], 3, v[104:105]
	global_store_dwordx2 v[4:5], v[2:3], off offset:384
	s_branch .LBB19_10
.LBB19_296:
	v_readlane_b32 s8, v250, 11
	v_readlane_b32 s9, v250, 12
	s_andn2_b64 vcc, exec, s[6:7]
	s_cbranch_vccnz .LBB19_8
.LBB19_297:
	s_abs_i32 s0, s11
	v_cvt_f32_u32_e32 v2, s0
	s_sub_i32 s3, 0, s0
	s_abs_i32 s2, s52
	s_xor_b32 s1, s52, s11
	v_rcp_iflag_f32_e32 v2, v2
	s_ashr_i32 s1, s1, 31
	v_mov_b32_e32 v12, s38
	v_mul_f32_e32 v2, 0x4f7ffffe, v2
	v_cvt_u32_f32_e32 v2, v2
	s_nop 0
	v_readfirstlane_b32 s4, v2
	s_mul_i32 s3, s3, s4
	s_mul_hi_u32 s3, s4, s3
	s_add_i32 s4, s4, s3
	s_mul_hi_u32 s3, s2, s4
	s_mul_i32 s4, s3, s0
	s_sub_i32 s2, s2, s4
	s_add_i32 s5, s3, 1
	s_sub_i32 s4, s2, s0
	s_cmp_ge_u32 s2, s0
	s_cselect_b32 s3, s5, s3
	s_cselect_b32 s2, s4, s2
	s_add_i32 s4, s3, 1
	s_cmp_ge_u32 s2, s0
	s_cselect_b32 s0, s4, s3
	s_abs_i32 s3, s10
	v_cvt_f32_u32_e32 v2, s3
	s_xor_b32 s0, s0, s1
	s_sub_i32 s4, 0, s3
	s_sub_i32 s2, s0, s1
	v_rcp_iflag_f32_e32 v2, v2
	s_mul_i32 s0, s2, s11
	s_sub_i32 s0, s52, s0
	s_abs_i32 s5, s0
	v_mul_f32_e32 v2, 0x4f7ffffe, v2
	v_cvt_u32_f32_e32 v2, v2
	s_xor_b32 s1, s0, s10
	s_ashr_i32 s1, s1, 31
	v_readfirstlane_b32 s6, v2
	s_mul_i32 s4, s4, s6
	s_mul_hi_u32 s4, s6, s4
	s_add_i32 s6, s6, s4
	s_mul_hi_u32 s4, s5, s6
	s_mul_i32 s6, s4, s3
	s_sub_i32 s5, s5, s6
	s_add_i32 s7, s4, 1
	s_sub_i32 s6, s5, s3
	s_cmp_ge_u32 s5, s3
	s_cselect_b32 s4, s7, s4
	s_cselect_b32 s5, s6, s5
	s_add_i32 s6, s4, 1
	s_cmp_ge_u32 s5, s3
	s_cselect_b32 s3, s6, s4
	s_abs_i32 s4, s55
	v_cvt_f32_u32_e32 v2, s4
	s_xor_b32 s3, s3, s1
	s_sub_i32 s5, 0, s4
	s_sub_i32 s3, s3, s1
	v_rcp_iflag_f32_e32 v2, v2
	s_mul_i32 s1, s3, s10
	s_sub_i32 s1, s0, s1
	s_abs_i32 s6, s1
	v_mul_f32_e32 v2, 0x4f7ffffe, v2
	v_cvt_u32_f32_e32 v2, v2
	s_xor_b32 s0, s1, s55
	s_ashr_i32 s0, s0, 31
	s_mov_b32 s10, s8
	v_readfirstlane_b32 s7, v2
	s_mul_i32 s5, s5, s7
	s_mul_hi_u32 s5, s7, s5
	s_add_i32 s7, s7, s5
	s_mul_hi_u32 s5, s6, s7
	s_mul_i32 s7, s5, s4
	s_sub_i32 s6, s6, s7
	s_add_i32 s8, s5, 1
	s_sub_i32 s7, s6, s4
	s_cmp_ge_u32 s6, s4
	s_cselect_b32 s5, s8, s5
	s_cselect_b32 s6, s7, s6
	s_add_i32 s7, s5, 1
	s_cmp_ge_u32 s6, s4
	s_cselect_b32 s4, s7, s5
	s_xor_b32 s4, s4, s0
	s_sub_i32 s0, s4, s0
	s_mul_i32 s4, s0, s55
	s_sub_i32 s1, s1, s4
	s_ashr_i32 s4, s1, 31
	v_readlane_b32 s5, v250, 7
	s_abs_i32 s1, s1
	s_xor_b32 s4, s4, s5
	s_mul_hi_u32 s5, s1, s48
	s_mul_i32 s6, s5, s57
	s_sub_i32 s1, s1, s6
	s_add_i32 s6, s5, 1
	s_sub_i32 s7, s1, s57
	s_cmp_ge_u32 s1, s57
	s_cselect_b32 s5, s6, s5
	s_cselect_b32 s1, s7, s1
	s_add_i32 s6, s5, 1
	s_cmp_ge_u32 s1, s57
	s_cselect_b32 s1, s6, s5
	s_abs_i32 s9, s10
	v_cvt_f32_u32_e32 v2, s9
	s_xor_b32 s1, s1, s4
	s_sub_i32 s1, s1, s4
	s_cmp_eq_u64 s[22:23], 0
	v_rcp_iflag_f32_e32 v2, v2
	s_nop 0
	v_mul_f32_e32 v2, 0x4f7ffffe, v2
	v_cvt_u32_f32_e32 v2, v2
	s_nop 0
	v_readfirstlane_b32 s10, v2
	s_cbranch_scc1 .LBB19_299
; %bb.298:
	v_readlane_b32 s4, v250, 0
	s_mul_i32 s4, s2, s4
	s_add_i32 s4, s1, s4
	s_ashr_i32 s5, s4, 31
	s_lshl_b64 s[4:5], s[4:5], 2
	s_add_u32 s4, s22, s4
	s_addc_u32 s5, s23, s5
	v_mov_b32_e32 v2, 0
	global_load_dword v2, v2, s[4:5]
	s_waitcnt vmcnt(0)
	v_ashrrev_i32_e32 v3, 31, v2
	v_lshrrev_b32_e32 v3, 26, v3
	v_add_u32_e32 v2, v2, v3
	v_ashrrev_i32_e32 v2, 6, v2
	v_min_i32_e32 v12, s38, v2
.LBB19_299:
	s_mul_i32 s4, s3, s33
	s_lshl_b32 s11, s0, 2
	s_add_i32 s0, s11, s4
	s_mul_i32 s4, s2, s51
	s_ashr_i32 s5, s4, 31
	s_add_u32 s4, s12, s4
	s_mul_i32 s0, s0, s50
	s_addc_u32 s5, s13, s5
	s_ashr_i32 s7, s0, 31
	s_add_u32 s6, s4, s0
	s_addc_u32 s7, s5, s7
	s_lshl_b32 s8, s1, 4
	v_lshrrev_b32_e32 v3, 2, v39
	v_and_b32_e32 v2, 3, v39
	v_add_u32_e32 v3, s8, v3
	v_or_b32_e32 v4, s11, v2
	v_cmp_le_i32_e64 s[0:1], s28, v3
	v_cmp_le_i32_e64 s[4:5], s33, v4
	s_mov_b32 s12, 0x10001
	v_lshl_add_u32 v66, v38, 2, 0
	v_cmp_gt_i32_e32 vcc, s33, v4
	s_or_b64 s[0:1], s[0:1], s[4:5]
	s_and_saveexec_b64 s[4:5], s[0:1]
	s_xor_b64 s[0:1], exec, s[4:5]
; %bb.300:
	s_movk_i32 s4, 0xf0
	v_mad_u32_u24 v3, v39, s4, v66
	v_mov_b32_e32 v4, 0
	ds_write_b32 v3, v4
                                        ; implicit-def: $vgpr3
; %bb.301:
	s_or_saveexec_b64 s[0:1], s[0:1]
	v_mul_lo_u32 v1, v1, s12
	v_readlane_b32 s22, v250, 8
	s_xor_b64 exec, exec, s[0:1]
	s_cbranch_execz .LBB19_303
; %bb.302:
	v_mul_lo_u32 v3, v3, s53
	v_mul_lo_u32 v4, v2, s22
	v_add3_u32 v4, v4, v38, v3
	v_ashrrev_i32_e32 v5, 31, v4
	v_lshl_add_u64 v[4:5], v[4:5], 3, s[6:7]
	global_load_dwordx2 v[4:5], v[4:5], off
	s_movk_i32 s4, 0xf0
	s_waitcnt vmcnt(0)
	v_cvt_pk_f16_f32 v3, v4, v5
	v_pk_mul_f16 v3, v3, v1
	v_mad_u32_u24 v4, v39, s4, v66
	ds_write_b32 v4, v3
.LBB19_303:
	s_or_b64 exec, exec, s[0:1]
	v_add_u32_e32 v14, 8, v39
	v_lshrrev_b32_e32 v3, 2, v14
	v_add_u32_e32 v3, s8, v3
	v_cmp_le_i32_e64 s[0:1], s28, v3
	s_xor_b64 s[4:5], vcc, -1
	s_or_b64 s[0:1], s[0:1], s[4:5]
	s_and_saveexec_b64 s[12:13], s[0:1]
	s_xor_b64 s[0:1], exec, s[12:13]
; %bb.304:
	s_movk_i32 s12, 0xf0
	v_mad_u32_u24 v3, v14, s12, v66
	v_mov_b32_e32 v4, 0
	ds_write_b32 v3, v4
                                        ; implicit-def: $vgpr3
; %bb.305:
	s_andn2_saveexec_b64 s[0:1], s[0:1]
	s_cbranch_execz .LBB19_307
; %bb.306:
	v_mul_lo_u32 v3, v3, s53
	v_mul_lo_u32 v4, v2, s22
	v_add3_u32 v4, v4, v38, v3
	v_ashrrev_i32_e32 v5, 31, v4
	v_lshl_add_u64 v[4:5], v[4:5], 3, s[6:7]
	global_load_dwordx2 v[4:5], v[4:5], off
	s_movk_i32 s12, 0xf0
	s_waitcnt vmcnt(0)
	v_cvt_pk_f16_f32 v3, v4, v5
	v_pk_mul_f16 v3, v3, v1
	v_mad_u32_u24 v4, v14, s12, v66
	ds_write_b32 v4, v3
.LBB19_307:
	s_or_b64 exec, exec, s[0:1]
	v_add_u32_e32 v67, 16, v39
	v_lshrrev_b32_e32 v3, 2, v67
	v_add_u32_e32 v3, s8, v3
	v_cmp_le_i32_e32 vcc, s28, v3
	s_or_b64 s[0:1], vcc, s[4:5]
	s_and_saveexec_b64 s[12:13], s[0:1]
	s_xor_b64 s[0:1], exec, s[12:13]
; %bb.308:
	s_movk_i32 s12, 0xf0
	v_mad_u32_u24 v3, v67, s12, v66
	v_mov_b32_e32 v4, 0
	ds_write_b32 v3, v4
                                        ; implicit-def: $vgpr3
; %bb.309:
	s_andn2_saveexec_b64 s[0:1], s[0:1]
	s_cbranch_execz .LBB19_311
; %bb.310:
	v_mul_lo_u32 v3, v3, s53
	v_mul_lo_u32 v4, v2, s22
	v_add3_u32 v4, v4, v38, v3
	v_ashrrev_i32_e32 v5, 31, v4
	v_lshl_add_u64 v[4:5], v[4:5], 3, s[6:7]
	global_load_dwordx2 v[4:5], v[4:5], off
	s_movk_i32 s12, 0xf0
	s_waitcnt vmcnt(0)
	v_cvt_pk_f16_f32 v3, v4, v5
	v_pk_mul_f16 v3, v3, v1
	v_mad_u32_u24 v4, v67, s12, v66
	ds_write_b32 v4, v3
.LBB19_311:
	s_or_b64 exec, exec, s[0:1]
	v_add_u32_e32 v3, 24, v39
	v_lshrrev_b32_e32 v4, 2, v3
	v_add_u32_e32 v4, s8, v4
	v_cmp_le_i32_e32 vcc, s28, v4
	s_or_b64 s[0:1], vcc, s[4:5]
	s_and_saveexec_b64 s[12:13], s[0:1]
	s_xor_b64 s[0:1], exec, s[12:13]
; %bb.312:
	s_movk_i32 s12, 0xf0
	v_mad_u32_u24 v3, v3, s12, v66
	v_mov_b32_e32 v4, 0
	ds_write_b32 v3, v4
                                        ; implicit-def: $vgpr4
                                        ; implicit-def: $vgpr3
; %bb.313:
	s_andn2_saveexec_b64 s[0:1], s[0:1]
	s_cbranch_execz .LBB19_315
; %bb.314:
	v_mul_lo_u32 v4, v4, s53
	v_mul_lo_u32 v5, v2, s22
	v_add3_u32 v4, v5, v38, v4
	v_ashrrev_i32_e32 v5, 31, v4
	v_lshl_add_u64 v[4:5], v[4:5], 3, s[6:7]
	global_load_dwordx2 v[4:5], v[4:5], off
	s_movk_i32 s12, 0xf0
	v_mad_u32_u24 v3, v3, s12, v66
	s_waitcnt vmcnt(0)
	v_cvt_pk_f16_f32 v4, v4, v5
	v_pk_mul_f16 v4, v4, v1
	ds_write_b32 v3, v4
.LBB19_315:
	s_or_b64 exec, exec, s[0:1]
	v_add_u32_e32 v68, 32, v39
	v_lshrrev_b32_e32 v3, 2, v68
	v_add_u32_e32 v3, s8, v3
	v_cmp_le_i32_e32 vcc, s28, v3
	s_or_b64 s[0:1], vcc, s[4:5]
	s_and_saveexec_b64 s[12:13], s[0:1]
	s_xor_b64 s[0:1], exec, s[12:13]
; %bb.316:
	s_movk_i32 s12, 0xf0
	v_mad_u32_u24 v3, v68, s12, v66
	v_mov_b32_e32 v4, 0
	ds_write_b32 v3, v4
                                        ; implicit-def: $vgpr3
; %bb.317:
	s_andn2_saveexec_b64 s[0:1], s[0:1]
	s_cbranch_execz .LBB19_319
; %bb.318:
	v_mul_lo_u32 v3, v3, s53
	v_mul_lo_u32 v4, v2, s22
	v_add3_u32 v4, v4, v38, v3
	v_ashrrev_i32_e32 v5, 31, v4
	v_lshl_add_u64 v[4:5], v[4:5], 3, s[6:7]
	global_load_dwordx2 v[4:5], v[4:5], off
	s_movk_i32 s12, 0xf0
	s_waitcnt vmcnt(0)
	v_cvt_pk_f16_f32 v3, v4, v5
	v_pk_mul_f16 v3, v3, v1
	v_mad_u32_u24 v4, v68, s12, v66
	ds_write_b32 v4, v3
.LBB19_319:
	s_or_b64 exec, exec, s[0:1]
	v_add_u32_e32 v3, 40, v39
	v_lshrrev_b32_e32 v4, 2, v3
	v_add_u32_e32 v4, s8, v4
	v_cmp_le_i32_e32 vcc, s28, v4
	s_or_b64 s[0:1], vcc, s[4:5]
	s_and_saveexec_b64 s[12:13], s[0:1]
	s_xor_b64 s[0:1], exec, s[12:13]
; %bb.320:
	s_movk_i32 s12, 0xf0
	v_mad_u32_u24 v3, v3, s12, v66
	v_mov_b32_e32 v4, 0
	ds_write_b32 v3, v4
                                        ; implicit-def: $vgpr4
                                        ; implicit-def: $vgpr3
; %bb.321:
	s_andn2_saveexec_b64 s[0:1], s[0:1]
	s_cbranch_execz .LBB19_323
; %bb.322:
	v_mul_lo_u32 v4, v4, s53
	v_mul_lo_u32 v5, v2, s22
	v_add3_u32 v4, v5, v38, v4
	v_ashrrev_i32_e32 v5, 31, v4
	v_lshl_add_u64 v[4:5], v[4:5], 3, s[6:7]
	global_load_dwordx2 v[4:5], v[4:5], off
	s_movk_i32 s12, 0xf0
	v_mad_u32_u24 v3, v3, s12, v66
	s_waitcnt vmcnt(0)
	v_cvt_pk_f16_f32 v4, v4, v5
	v_pk_mul_f16 v4, v4, v1
	ds_write_b32 v3, v4
.LBB19_323:
	s_or_b64 exec, exec, s[0:1]
	v_add_u32_e32 v71, 48, v39
	v_lshrrev_b32_e32 v3, 2, v71
	v_add_u32_e32 v3, s8, v3
	v_cmp_le_i32_e32 vcc, s28, v3
	s_or_b64 s[0:1], vcc, s[4:5]
	s_and_saveexec_b64 s[12:13], s[0:1]
	s_xor_b64 s[0:1], exec, s[12:13]
; %bb.324:
	s_movk_i32 s12, 0xf0
	v_mad_u32_u24 v3, v71, s12, v66
	v_mov_b32_e32 v4, 0
	ds_write_b32 v3, v4
                                        ; implicit-def: $vgpr3
; %bb.325:
	s_andn2_saveexec_b64 s[0:1], s[0:1]
	s_cbranch_execz .LBB19_327
; %bb.326:
	v_mul_lo_u32 v3, v3, s53
	v_mul_lo_u32 v4, v2, s22
	v_add3_u32 v4, v4, v38, v3
	v_ashrrev_i32_e32 v5, 31, v4
	v_lshl_add_u64 v[4:5], v[4:5], 3, s[6:7]
	global_load_dwordx2 v[4:5], v[4:5], off
	s_movk_i32 s12, 0xf0
	s_waitcnt vmcnt(0)
	v_cvt_pk_f16_f32 v3, v4, v5
	v_pk_mul_f16 v3, v3, v1
	v_mad_u32_u24 v4, v71, s12, v66
	ds_write_b32 v4, v3
.LBB19_327:
	s_or_b64 exec, exec, s[0:1]
	v_add_u32_e32 v3, 56, v39
	v_lshrrev_b32_e32 v4, 2, v3
	v_add_u32_e32 v4, s8, v4
	v_cmp_le_i32_e32 vcc, s28, v4
	s_or_b64 s[0:1], vcc, s[4:5]
	s_and_saveexec_b64 s[4:5], s[0:1]
	s_xor_b64 s[0:1], exec, s[4:5]
; %bb.328:
	s_movk_i32 s4, 0xf0
	v_mad_u32_u24 v2, v3, s4, v66
	v_mov_b32_e32 v3, 0
	ds_write_b32 v2, v3
                                        ; implicit-def: $vgpr4
                                        ; implicit-def: $vgpr2
                                        ; implicit-def: $vgpr3
; %bb.329:
	s_or_saveexec_b64 s[0:1], s[0:1]
	v_and_b32_e32 v79, 0x3ff, v0
	s_xor_b64 exec, exec, s[0:1]
	s_cbranch_execz .LBB19_331
; %bb.330:
	v_mul_lo_u32 v0, v4, s53
	v_mul_lo_u32 v2, v2, s22
	v_add3_u32 v4, v2, v38, v0
	v_ashrrev_i32_e32 v5, 31, v4
	v_lshl_add_u64 v[4:5], v[4:5], 3, s[6:7]
	global_load_dwordx2 v[4:5], v[4:5], off
	s_movk_i32 s4, 0xf0
	v_mad_u32_u24 v2, v3, s4, v66
	s_waitcnt vmcnt(0)
	v_cvt_pk_f16_f32 v0, v4, v5
	v_pk_mul_f16 v0, v0, v1
	ds_write_b32 v2, v0
.LBB19_331:
	s_or_b64 exec, exec, s[0:1]
	v_lshrrev_b32_e32 v0, 4, v79
	v_lshl_add_u32 v69, v49, 2, v0
	v_and_b32_e32 v0, 3, v0
	v_lshrrev_b32_e32 v2, 2, v69
	v_add_u32_e32 v3, s8, v2
	v_or_b32_e32 v2, s11, v0
	v_cmp_le_i32_e64 s[0:1], s28, v3
	v_cmp_le_i32_e64 s[4:5], s33, v2
	v_and_b32_e32 v70, 15, v79
	v_cmp_gt_i32_e32 vcc, s33, v2
	s_or_b64 s[0:1], s[0:1], s[4:5]
	s_and_saveexec_b64 s[4:5], s[0:1]
	s_xor_b64 s[0:1], exec, s[4:5]
; %bb.332:
	v_mul_u32_u24_e32 v2, 0xf0, v69
	v_lshlrev_b32_e32 v3, 2, v70
	v_add3_u32 v2, 0, v2, v3
	v_mov_b32_e32 v3, 0
	ds_write_b32 v2, v3 offset:128
                                        ; implicit-def: $vgpr3
; %bb.333:
	s_or_saveexec_b64 s[0:1], s[0:1]
	v_or_b32_e32 v2, 32, v70
	v_lshl_add_u32 v72, v70, 2, 0
	s_xor_b64 exec, exec, s[0:1]
	s_cbranch_execz .LBB19_335
; %bb.334:
	v_mul_lo_u32 v3, v3, s53
	v_mul_lo_u32 v4, v0, s22
	v_add3_u32 v4, v4, v2, v3
	v_ashrrev_i32_e32 v5, 31, v4
	v_lshl_add_u64 v[4:5], v[4:5], 3, s[6:7]
	global_load_dwordx2 v[4:5], v[4:5], off
	s_movk_i32 s4, 0xf0
	s_waitcnt vmcnt(0)
	v_cvt_pk_f16_f32 v3, v4, v5
	v_pk_mul_f16 v3, v3, v1
	v_mad_u32_u24 v4, v69, s4, v72
	ds_write_b32 v4, v3 offset:128
.LBB19_335:
	s_or_b64 exec, exec, s[0:1]
	v_add_u32_e32 v73, 16, v69
	v_lshrrev_b32_e32 v3, 2, v73
	v_add_u32_e32 v3, s8, v3
	v_cmp_le_i32_e64 s[0:1], s28, v3
	s_xor_b64 s[4:5], vcc, -1
	s_or_b64 s[0:1], s[0:1], s[4:5]
	s_and_saveexec_b64 s[12:13], s[0:1]
	s_xor_b64 s[0:1], exec, s[12:13]
; %bb.336:
	v_mul_u32_u24_e32 v3, 0xf0, v73
	v_lshlrev_b32_e32 v4, 2, v70
	v_add3_u32 v3, 0, v3, v4
	v_mov_b32_e32 v4, 0
	ds_write_b32 v3, v4 offset:128
                                        ; implicit-def: $vgpr3
; %bb.337:
	s_andn2_saveexec_b64 s[0:1], s[0:1]
	s_cbranch_execz .LBB19_339
; %bb.338:
	v_mul_lo_u32 v3, v3, s53
	v_mul_lo_u32 v4, v0, s22
	v_add3_u32 v4, v4, v2, v3
	v_ashrrev_i32_e32 v5, 31, v4
	v_lshl_add_u64 v[4:5], v[4:5], 3, s[6:7]
	global_load_dwordx2 v[4:5], v[4:5], off
	s_movk_i32 s12, 0xf0
	s_waitcnt vmcnt(0)
	v_cvt_pk_f16_f32 v3, v4, v5
	v_pk_mul_f16 v3, v3, v1
	v_mad_u32_u24 v4, v73, s12, v72
	ds_write_b32 v4, v3 offset:128
.LBB19_339:
	s_or_b64 exec, exec, s[0:1]
	v_add_u32_e32 v76, 32, v69
	v_lshrrev_b32_e32 v3, 2, v76
	v_add_u32_e32 v3, s8, v3
	v_cmp_le_i32_e32 vcc, s28, v3
	s_or_b64 s[0:1], vcc, s[4:5]
	s_and_saveexec_b64 s[12:13], s[0:1]
	s_xor_b64 s[0:1], exec, s[12:13]
; %bb.340:
	v_mul_u32_u24_e32 v3, 0xf0, v76
	v_lshlrev_b32_e32 v4, 2, v70
	v_add3_u32 v3, 0, v3, v4
	v_mov_b32_e32 v4, 0
	ds_write_b32 v3, v4 offset:128
                                        ; implicit-def: $vgpr3
; %bb.341:
	s_andn2_saveexec_b64 s[0:1], s[0:1]
	s_cbranch_execz .LBB19_343
; %bb.342:
	v_mul_lo_u32 v3, v3, s53
	v_mul_lo_u32 v4, v0, s22
	v_add3_u32 v4, v4, v2, v3
	v_ashrrev_i32_e32 v5, 31, v4
	v_lshl_add_u64 v[4:5], v[4:5], 3, s[6:7]
	global_load_dwordx2 v[4:5], v[4:5], off
	s_movk_i32 s12, 0xf0
	s_waitcnt vmcnt(0)
	v_cvt_pk_f16_f32 v3, v4, v5
	v_pk_mul_f16 v3, v3, v1
	v_mad_u32_u24 v4, v76, s12, v72
	ds_write_b32 v4, v3 offset:128
.LBB19_343:
	s_or_b64 exec, exec, s[0:1]
	v_add_u32_e32 v77, 48, v69
	v_lshrrev_b32_e32 v3, 2, v77
	v_add_u32_e32 v3, s8, v3
	v_cmp_le_i32_e32 vcc, s28, v3
	s_sub_i32 s12, 0, s9
	s_or_b64 s[0:1], vcc, s[4:5]
	s_and_saveexec_b64 s[4:5], s[0:1]
	s_xor_b64 s[0:1], exec, s[4:5]
; %bb.344:
	v_mul_u32_u24_e32 v0, 0xf0, v77
	v_lshlrev_b32_e32 v2, 2, v70
	v_add3_u32 v0, 0, v0, v2
	v_mov_b32_e32 v2, 0
	ds_write_b32 v0, v2 offset:128
                                        ; implicit-def: $vgpr3
                                        ; implicit-def: $vgpr0
                                        ; implicit-def: $vgpr2
; %bb.345:
	s_or_saveexec_b64 s[0:1], s[0:1]
	s_mul_i32 s12, s12, s10
	s_xor_b64 exec, exec, s[0:1]
	s_cbranch_execz .LBB19_347
; %bb.346:
	v_mul_lo_u32 v3, v3, s53
	v_mul_lo_u32 v0, v0, s22
	v_add3_u32 v2, v0, v2, v3
	v_ashrrev_i32_e32 v3, 31, v2
	v_lshl_add_u64 v[2:3], v[2:3], 3, s[6:7]
	global_load_dwordx2 v[2:3], v[2:3], off
	s_movk_i32 s4, 0xf0
	s_waitcnt vmcnt(0)
	v_cvt_pk_f16_f32 v0, v2, v3
	v_pk_mul_f16 v0, v0, v1
	v_mad_u32_u24 v2, v77, s4, v72
	ds_write_b32 v2, v0 offset:128
.LBB19_347:
	s_or_b64 exec, exec, s[0:1]
	v_lshrrev_b32_e32 v15, 3, v79
	v_and_b32_e32 v0, 3, v15
	v_lshl_add_u32 v74, v49, 3, v15
	v_or_b32_e32 v2, s11, v0
	v_cmp_gt_i32_e32 vcc, s33, v2
	v_cmp_le_i32_e64 s[0:1], s33, v2
	v_lshrrev_b32_e32 v2, 2, v74
	v_add_u32_e32 v2, s8, v2
	v_cmp_le_i32_e64 s[4:5], s28, v2
	s_mul_hi_u32 s12, s10, s12
	v_and_b32_e32 v75, 7, v79
	v_mul_lo_u32 v0, s22, v0
	s_or_b64 s[0:1], s[4:5], s[0:1]
	s_and_saveexec_b64 s[4:5], s[0:1]
	s_xor_b64 s[0:1], exec, s[4:5]
; %bb.348:
	v_mul_u32_u24_e32 v2, 0xf0, v74
	v_lshlrev_b32_e32 v3, 2, v75
	v_add3_u32 v2, 0, v2, v3
	v_mov_b32_e32 v3, 0
	ds_write_b32 v2, v3 offset:192
                                        ; implicit-def: $vgpr2
; %bb.349:
	s_or_saveexec_b64 s[0:1], s[0:1]
	s_abs_i32 s11, s2
	s_add_i32 s10, s10, s12
	v_add3_u32 v0, v0, v75, 48
	v_lshl_add_u32 v78, v75, 2, 0
	s_xor_b64 exec, exec, s[0:1]
	s_cbranch_execz .LBB19_351
; %bb.350:
	v_mad_u64_u32 v[2:3], s[4:5], v2, s53, v[0:1]
	v_ashrrev_i32_e32 v3, 31, v2
	v_lshl_add_u64 v[2:3], v[2:3], 3, s[6:7]
	global_load_dwordx2 v[2:3], v[2:3], off
	s_movk_i32 s4, 0xf0
	s_waitcnt vmcnt(0)
	v_cvt_pk_f16_f32 v2, v2, v3
	v_pk_mul_f16 v2, v2, v1
	v_mad_u32_u24 v3, v74, s4, v78
	ds_write_b32 v3, v2 offset:192
.LBB19_351:
	s_or_b64 exec, exec, s[0:1]
	v_add_u32_e32 v92, 32, v74
	v_lshrrev_b32_e32 v2, 2, v92
	v_add_u32_e32 v2, s8, v2
	v_cmp_le_i32_e64 s[0:1], s28, v2
	s_xor_b64 s[4:5], vcc, -1
	s_mul_hi_u32 s10, s11, s10
	s_or_b64 s[0:1], s[0:1], s[4:5]
	s_and_saveexec_b64 s[4:5], s[0:1]
	s_xor_b64 s[0:1], exec, s[4:5]
; %bb.352:
	v_mul_u32_u24_e32 v0, 0xf0, v92
	v_lshlrev_b32_e32 v1, 2, v75
	v_add3_u32 v0, 0, v0, v1
	v_mov_b32_e32 v1, 0
	ds_write_b32 v0, v1 offset:192
                                        ; implicit-def: $vgpr0
                                        ; implicit-def: $vgpr2
                                        ; implicit-def: $vgpr1
; %bb.353:
	s_or_saveexec_b64 s[0:1], s[0:1]
	s_ashr_i32 s12, s2, 31
	s_xor_b64 exec, exec, s[0:1]
	s_cbranch_execz .LBB19_355
; %bb.354:
	v_mad_u64_u32 v[2:3], s[4:5], v2, s53, v[0:1]
	v_ashrrev_i32_e32 v3, 31, v2
	v_lshl_add_u64 v[2:3], v[2:3], 3, s[6:7]
	global_load_dwordx2 v[2:3], v[2:3], off
	s_movk_i32 s4, 0xf0
	s_waitcnt vmcnt(0)
	v_cvt_pk_f16_f32 v0, v2, v3
	v_pk_mul_f16 v0, v0, v1
	v_mad_u32_u24 v1, v92, s4, v78
	ds_write_b32 v1, v0 offset:192
.LBB19_355:
	s_or_b64 exec, exec, s[0:1]
	s_mul_hi_u32 s0, s36, s2
	s_mul_i32 s1, s36, s12
	s_add_i32 s0, s0, s1
	s_mul_i32 s1, s37, s2
	v_readlane_b32 s4, v250, 5
	s_add_i32 s0, s0, s1
	s_mul_i32 s1, s36, s2
	v_readlane_b32 s5, v250, 6
	s_add_u32 s1, s14, s1
	s_mul_i32 s4, s3, s5
	s_addc_u32 s0, s15, s0
	s_ashr_i32 s5, s4, 31
	s_add_u32 s4, s1, s4
	s_mul_i32 s10, s10, s9
	s_addc_u32 s5, s0, s5
	s_sub_i32 s0, s11, s10
	s_sub_i32 s1, s0, s9
	s_cmp_ge_u32 s0, s9
	s_cselect_b32 s0, s1, s0
	s_sub_i32 s1, s0, s9
	s_cmp_ge_u32 s0, s9
	s_cselect_b32 s0, s1, s0
	s_xor_b32 s0, s0, s12
	s_sub_i32 s0, s0, s12
	s_ashr_i32 s1, s0, 31
	s_mul_i32 s1, s46, s1
	s_mul_hi_u32 s6, s46, s0
	s_add_i32 s1, s6, s1
	s_mul_i32 s6, s47, s0
	s_add_i32 s1, s1, s6
	s_mul_i32 s0, s46, s0
	s_add_u32 s6, s18, s0
	s_addc_u32 s7, s19, s1
	s_mul_hi_u32 s0, s44, s2
	s_mul_i32 s1, s44, s12
	s_add_i32 s0, s0, s1
	s_mul_i32 s1, s45, s2
	s_add_i32 s0, s0, s1
	s_mul_i32 s1, s44, s2
	s_add_u32 s1, s16, s1
	s_mul_i32 s3, s3, s39
	s_addc_u32 s0, s17, s0
	s_ashr_i32 s9, s3, 31
	s_add_u32 s2, s1, s3
	s_addc_u32 s3, s0, s9
	s_movk_i32 s0, 0xf00
	v_and_b32_e32 v1, 0x7e, v15
	v_mad_u32_u24 v0, v49, s0, 0
	v_mul_u32_u24_e32 v98, 0xf0, v70
	v_lshlrev_b32_e32 v80, 2, v1
	v_add3_u32 v13, v0, v98, v80
	s_waitcnt lgkmcnt(0)
	s_barrier
	ds_read2_b64 v[8:11], v13 offset1:4
	ds_read2_b64 v[4:7], v13 offset0:8 offset1:12
	ds_read2_b64 v[0:3], v13 offset0:16 offset1:20
	ds_read_b64 v[24:25], v13 offset:192
	v_add_u32_e32 v107, -1, v12
	v_cmp_lt_i32_e32 vcc, s72, v107
	v_lshlrev_b32_e32 v12, 1, v79
	s_movk_i32 s0, 0xf0
	v_and_b32_e32 v16, 62, v12
	v_mov_b32_e32 v57, 0
	s_waitcnt lgkmcnt(0)
	s_barrier
	s_cbranch_vccnz .LBB19_359
; %bb.356:
	v_add_u32_e32 v12, s8, v39
	v_mul_hi_u32 v13, s40, v12
	v_add_u32_e32 v13, v12, v13
	v_lshrrev_b32_e32 v13, s41, v13
	v_mul_lo_u32 v13, v13, s28
	v_sub_u32_e32 v12, v12, v13
	v_mad_i64_i32 v[32:33], s[10:11], v12, s42, 0
	v_add_u32_e32 v12, s8, v14
	v_mul_hi_u32 v13, s40, v12
	v_add_u32_e32 v13, v12, v13
	v_lshrrev_b32_e32 v13, s41, v13
	v_mul_lo_u32 v13, v13, s28
	v_sub_u32_e32 v12, v12, v13
	v_lshlrev_b32_e32 v81, 4, v49
	v_lshrrev_b32_e32 v99, 2, v79
	v_mad_i64_i32 v[40:41], s[10:11], v12, s42, 0
	v_lshrrev_b32_e32 v12, 1, v79
	v_add_u32_e32 v95, v81, v99
	v_mul_lo_u32 v34, s34, v74
	s_movk_i32 s1, 0x90
	v_mov_b32_e32 v13, 0x480
	s_ashr_i32 s35, s34, 31
	v_lshl_add_u32 v96, v49, 5, v12
	v_mul_lo_u32 v28, s34, v95
	v_lshlrev_b32_e32 v106, 2, v79
	v_mov_b32_e32 v21, 0
	v_mov_b32_e32 v12, 0x1e00
	v_lshl_add_u32 v36, s34, 5, v34
	v_mul_u32_u24_e32 v103, 0x90, v39
	v_mad_u32_u24 v105, v39, s1, v13
	v_mul_u32_u24_e32 v101, 0xf0, v95
	v_ashrrev_i32_e32 v29, 31, v28
	v_and_or_b32 v20, v106, 12, 32
	v_mul_u32_u24_e32 v102, 0xf0, v74
	v_and_b32_e32 v30, 28, v106
	v_mov_b32_e32 v31, v21
	v_ashrrev_i32_e32 v35, 31, v34
	v_mad_u32_u24 v104, v74, s0, v12
	v_ashrrev_i32_e32 v37, 31, v36
	s_mov_b64 s[0:1], 0
	v_mov_b64_e32 v[12:13], s[34:35]
	s_branch .LBB19_360
.LBB19_357:
                                        ; implicit-def: $sgpr52_sgpr53
	s_load_dwordx2 s[50:51], s[0:1], 0x74
	v_cvt_f32_u32_e32 v1, s27
	s_branch .LBB19_2
.LBB19_358:
                                        ; implicit-def: $sgpr56_sgpr57
	s_load_dwordx2 s[40:41], s[0:1], 0x5c
	s_branch .LBB19_5
.LBB19_359:
	s_mov_b64 s[0:1], -1
                                        ; implicit-def: $vgpr103
                                        ; implicit-def: $vgpr32_vgpr33
                                        ; implicit-def: $vgpr105
                                        ; implicit-def: $vgpr40_vgpr41
                                        ; implicit-def: $vgpr12_vgpr13
                                        ; implicit-def: $vgpr96
                                        ; implicit-def: $vgpr81
                                        ; implicit-def: $vgpr99
                                        ; implicit-def: $vgpr95
                                        ; implicit-def: $vgpr101
                                        ; implicit-def: $vgpr28_vgpr29
                                        ; implicit-def: $vgpr106
                                        ; implicit-def: $vgpr20
                                        ; implicit-def: $vgpr102
                                        ; implicit-def: $vgpr30
                                        ; implicit-def: $vgpr34_vgpr35
                                        ; implicit-def: $vgpr104
                                        ; implicit-def: $vgpr36_vgpr37
.LBB19_360:
	v_mul_lo_u32 v22, s30, v74
	s_andn2_b64 vcc, exec, s[0:1]
	v_lshlrev_b32_e32 v26, 1, v16
	v_lshl_or_b32 v100, v15, 2, 4
	v_lshlrev_b32_e32 v94, 1, v15
	v_ashrrev_i32_e32 v23, 31, v22
	v_lshlrev_b32_e32 v93, 1, v70
	s_cbranch_vccnz .LBB19_368
; %bb.361:
	v_add_u32_e32 v12, s8, v39
	v_mul_hi_u32 v15, s40, v12
	v_add_u32_e32 v15, v12, v15
	v_lshrrev_b32_e32 v15, s41, v15
	v_mul_lo_u32 v15, v15, s28
	v_sub_u32_e32 v12, v12, v15
	v_mad_i64_i32 v[32:33], s[0:1], v12, s42, 0
	v_add_u32_e32 v12, s8, v14
	v_mul_hi_u32 v14, s40, v12
	v_add_u32_e32 v14, v12, v14
	v_lshrrev_b32_e32 v14, s41, v14
	v_mul_lo_u32 v14, v14, s28
	s_movk_i32 s9, 0x90
	v_sub_u32_e32 v12, v12, v14
	v_mov_b32_e32 v14, 0x480
	v_lshlrev_b32_e32 v81, 4, v49
	v_lshrrev_b32_e32 v99, 2, v79
	v_lshlrev_b32_e32 v106, 2, v79
	v_mov_b32_e32 v43, 0
	v_mad_u32_u24 v105, v39, s9, v14
	v_add_u32_e32 v95, v81, v99
	s_movk_i32 s8, 0xf0
	v_and_b32_e32 v14, 12, v106
	v_mov_b32_e32 v27, v43
	v_mad_u32_u24 v15, v95, s8, 0
	v_lshlrev_b32_e32 v16, 2, v14
	s_movk_i32 s10, 0x80
	v_and_b32_e32 v30, 28, v106
	v_lshl_add_u64 v[44:45], s[6:7], 0, v[26:27]
	v_mad_i64_i32 v[40:41], s[0:1], v12, s42, 0
	v_lshrrev_b32_e32 v12, 1, v79
	v_add3_u32 v27, v15, v16, s10
	v_mul_u32_u24_e32 v102, 0xf0, v74
	v_lshlrev_b32_e32 v15, 2, v30
	v_lshl_add_u32 v96, v49, 5, v12
	v_add3_u32 v108, 0, v102, v15
	v_mov_b32_e32 v15, 0x1e00
	v_and_b32_e32 v46, 4, v106
	v_mad_u32_u24 v104, v74, s8, v15
	v_mad_u32_u24 v15, v96, s8, 0
	v_lshlrev_b32_e32 v16, 2, v46
	s_movk_i32 s8, 0xc0
	v_add3_u32 v111, v15, v16, s8
	v_and_or_b32 v15, v79, 12, v81
	v_lshrrev_b32_e32 v15, 2, v15
	v_mad_u32_u24 v15, v15, s9, 0
	v_and_b32_e32 v12, 0x1f8, v12
	v_add_u32_e32 v112, v15, v12
	v_mbcnt_hi_u32_b32 v12, -1, v47
	v_and_b32_e32 v18, 64, v12
	v_add_u32_e32 v18, 64, v18
	v_xor_b32_e32 v19, 32, v12
	v_cmp_lt_i32_e32 vcc, v19, v18
	v_mul_lo_u32 v34, s34, v74
	v_add_u32_e32 v13, 0, v26
	v_cndmask_b32_e32 v19, v12, v19, vcc
	v_lshlrev_b32_e32 v114, 2, v19
	v_xor_b32_e32 v19, 16, v12
	v_cmp_lt_i32_e32 vcc, v19, v18
	v_or_b32_e32 v18, 2, v94
	v_mul_u32_u24_e32 v103, 0x90, v39
	v_cndmask_b32_e32 v12, v12, v19, vcc
	v_lshlrev_b32_e32 v115, 2, v12
	v_or_b32_e32 v12, 3, v94
	v_and_b32_e32 v19, 0xfc, v94
	v_mul_lo_u32 v28, s34, v95
	v_lshl_add_u32 v36, s34, 5, v34
	v_mul_lo_u32 v48, s34, v96
	v_add_u32_e32 v113, v15, v100
	v_add_u32_e32 v15, 32, v112
	;; [unrolled: 1-line block ×4, first 2 shown]
	v_mul_lo_u32 v50, s30, v96
	v_mul_u32_u24_e32 v12, 0xf0, v12
	v_mul_u32_u24_e32 v18, 0xf0, v18
	v_mul_u32_u24_e32 v19, 0xf0, v19
	v_mul_lo_u32 v52, s30, v92
	v_mul_lo_u32 v54, s30, v95
	v_readlane_b32 s22, v250, 1
	s_ashr_i32 s35, s34, 31
	v_cmp_gt_u32_e64 s[0:1], 64, v96
	v_mul_u32_u24_e32 v101, 0xf0, v95
	v_ashrrev_i32_e32 v29, 31, v28
	v_or_b32_e32 v20, 32, v14
	v_mov_b32_e32 v21, v43
	v_mov_b32_e32 v31, v43
	v_ashrrev_i32_e32 v35, 31, v34
	v_add_u32_e32 v109, 0x1e00, v108
	v_ashrrev_i32_e32 v37, 31, v36
	v_add3_u32 v110, 0, v98, v80
	v_ashrrev_i32_e32 v49, 31, v48
	v_ashrrev_i32_e32 v51, 31, v50
	;; [unrolled: 1-line block ×4, first 2 shown]
	v_add3_u32 v116, 0, v19, v93
	v_add3_u32 v117, 0, v18, v93
	;; [unrolled: 1-line block ×3, first 2 shown]
	s_lshl_b32 s8, s72, 6
	v_mov_b32_e32 v12, 0xfeffffff
	v_add_u32_e32 v119, v13, v103
	v_lshlrev_b32_e32 v42, 2, v14
	v_lshlrev_b32_e32 v56, 2, v30
	v_add_u32_e32 v120, 0x3c00, v15
	v_add_u32_e32 v121, 0x3c00, v16
	;; [unrolled: 1-line block ×3, first 2 shown]
	s_mov_b32 s10, 0x3fb8aa3b
	s_mov_b32 s11, 0xc2ce8ed0
	;; [unrolled: 1-line block ×5, first 2 shown]
	v_mov_b32_e32 v123, 0x7f800000
	v_mov_b32_e32 v124, v43
	;; [unrolled: 1-line block ×16, first 2 shown]
	v_readlane_b32 s19, v250, 3
	v_readlane_b32 s23, v250, 2
.LBB19_362:                             ; =>This Inner Loop Header: Depth=1
	s_ashr_i32 s9, s8, 31
	v_lshl_add_u64 v[14:15], s[8:9], 1, v[44:45]
	v_lshl_add_u64 v[58:59], v[32:33], 1, v[14:15]
	;; [unrolled: 1-line block ×3, first 2 shown]
	global_load_dword v13, v[58:59], off
	global_load_dword v57, v[14:15], off
	s_mul_hi_i32 s13, s8, s34
	s_mul_i32 s12, s8, s34
	s_lshl_b64 s[12:13], s[12:13], 2
	s_add_u32 s12, s4, s12
	s_addc_u32 s13, s5, s13
	s_waitcnt vmcnt(1)
	ds_write_b32 v119, v13 offset:15360
	s_waitcnt vmcnt(0)
	ds_write_b32 v119, v57 offset:16512
	s_and_saveexec_b64 s[14:15], s[0:1]
	s_cbranch_execz .LBB19_364
; %bb.363:                              ;   in Loop: Header=BB19_362 Depth=1
	v_lshl_add_u64 v[14:15], v[48:49], 2, s[12:13]
	v_lshlrev_b32_e32 v58, 2, v46
	v_mov_b32_e32 v59, v43
	v_lshl_add_u64 v[14:15], v[14:15], 0, v[58:59]
	global_load_dwordx4 v[58:61], v[14:15], off offset:192
	s_waitcnt vmcnt(0)
	ds_write_b128 v111, v[58:61]
.LBB19_364:                             ;   in Loop: Header=BB19_362 Depth=1
	s_or_b64 exec, exec, s[14:15]
	v_lshl_add_u64 v[58:59], v[34:35], 2, s[12:13]
	v_mov_b32_e32 v57, v43
	v_lshl_add_u64 v[14:15], v[28:29], 2, s[12:13]
	v_lshl_add_u64 v[126:127], v[58:59], 0, v[56:57]
	;; [unrolled: 1-line block ×5, first 2 shown]
	global_load_dwordx4 v[58:61], v[14:15], off offset:128
	global_load_dwordx4 v[62:65], v[126:127], off
                                        ; kill: killed $vgpr126_vgpr127
                                        ; kill: killed $vgpr14_vgpr15
	s_nop 0
	global_load_dwordx4 v[126:129], v[128:129], off
	v_add_u32_e32 v13, 0x800, v110
	v_add_u32_e32 v14, 0x1800, v110
	;; [unrolled: 1-line block ×3, first 2 shown]
	s_mul_hi_i32 s13, s8, s30
	s_mul_i32 s12, s8, s30
	s_lshl_b64 s[12:13], s[12:13], 2
	s_add_u32 s12, s2, s12
	s_addc_u32 s13, s3, s13
	s_waitcnt vmcnt(2)
	ds_write_b128 v27, v[58:61]
	s_waitcnt vmcnt(1)
	ds_write_b128 v108, v[62:65]
	s_waitcnt vmcnt(0)
	ds_write_b128 v109, v[126:129]
	s_waitcnt lgkmcnt(0)
	s_barrier
	ds_read2_b64 v[58:61], v110 offset1:4
	ds_read2_b64 v[126:129], v13 offset0:224 offset1:228
	ds_read2_b64 v[134:137], v14 offset0:192 offset1:196
	;; [unrolled: 1-line block ×3, first 2 shown]
	s_waitcnt lgkmcnt(3)
	v_mfma_f32_16x16x16_f16 v[62:65], v[58:59], v[8:9], 0
	s_waitcnt lgkmcnt(2)
	v_mfma_f32_16x16x16_f16 v[130:133], v[126:127], v[8:9], 0
	;; [unrolled: 2-line block ×4, first 2 shown]
	v_mfma_f32_16x16x16_f16 v[58:61], v[60:61], v[10:11], v[62:65]
	v_mfma_f32_16x16x16_f16 v[62:65], v[128:129], v[10:11], v[130:133]
	;; [unrolled: 1-line block ×3, first 2 shown]
	ds_read2_b64 v[134:137], v110 offset0:8 offset1:12
	s_nop 1
	ds_read2_b64 v[138:141], v13 offset0:232 offset1:236
	v_mfma_f32_16x16x16_f16 v[130:133], v[144:145], v[10:11], v[146:149]
	ds_read2_b64 v[142:145], v14 offset0:200 offset1:204
	s_nop 1
	ds_read2_b64 v[146:149], v15 offset0:168 offset1:172
	s_waitcnt lgkmcnt(3)
	v_mfma_f32_16x16x16_f16 v[58:61], v[134:135], v[4:5], v[58:61]
	s_waitcnt lgkmcnt(2)
	v_mfma_f32_16x16x16_f16 v[62:65], v[138:139], v[4:5], v[62:65]
	;; [unrolled: 2-line block ×3, first 2 shown]
	v_mfma_f32_16x16x16_f16 v[126:129], v[142:143], v[4:5], v[126:129]
	v_mfma_f32_16x16x16_f16 v[58:61], v[136:137], v[6:7], v[58:61]
	ds_read2_b64 v[134:137], v110 offset0:16 offset1:20
	v_mfma_f32_16x16x16_f16 v[62:65], v[140:141], v[6:7], v[62:65]
	ds_read2_b64 v[138:141], v13 offset0:240 offset1:244
	;; [unrolled: 2-line block ×4, first 2 shown]
	s_waitcnt lgkmcnt(3)
	v_mfma_f32_16x16x16_f16 v[58:61], v[134:135], v[0:1], v[58:61]
	s_waitcnt lgkmcnt(2)
	v_mfma_f32_16x16x16_f16 v[62:65], v[138:139], v[0:1], v[62:65]
	s_waitcnt lgkmcnt(1)
	v_mfma_f32_16x16x16_f16 v[130:133], v[146:147], v[0:1], v[130:133]
	s_waitcnt lgkmcnt(0)
	v_mfma_f32_16x16x16_f16 v[126:129], v[142:143], v[0:1], v[126:129]
	ds_read_b64 v[14:15], v110 offset:192
	ds_read_b64 v[134:135], v110 offset:4032
	ds_read_b64 v[138:139], v110 offset:7872
	ds_read_b64 v[142:143], v110 offset:11712
	s_waitcnt lgkmcnt(0)
	s_barrier
	v_mfma_f32_16x16x16_f16 v[58:61], v[136:137], v[2:3], v[58:61]
	v_mfma_f32_16x16x16_f16 v[62:65], v[140:141], v[2:3], v[62:65]
	ds_read_b32 v13, v112 offset:15360
	ds_read_b32 v97, v113 offset:15360
	ds_read2_b32 v[136:137], v120 offset1:1
	ds_read2_b32 v[140:141], v121 offset1:1
	;; [unrolled: 1-line block ×3, first 2 shown]
	s_waitcnt lgkmcnt(4)
	v_cvt_f32_f16_e32 v125, v13
	v_cvt_f32_f16_sdwa v13, v13 dst_sel:DWORD dst_unused:UNUSED_PAD src0_sel:WORD_1
	v_mfma_f32_16x16x16_f16 v[130:133], v[148:149], v[2:3], v[130:133]
	s_waitcnt lgkmcnt(2)
	v_cvt_f32_f16_sdwa v148, v136 dst_sel:DWORD dst_unused:UNUSED_PAD src0_sel:WORD_1
	s_waitcnt lgkmcnt(0)
	v_cvt_f32_f16_e32 v153, v146
	v_cvt_f32_f16_e32 v149, v137
	v_mfma_f32_16x16x16_f16 v[126:129], v[144:145], v[2:3], v[126:129]
	v_cvt_f32_f16_e32 v144, v97
	v_cvt_f32_f16_sdwa v97, v97 dst_sel:DWORD dst_unused:UNUSED_PAD src0_sel:WORD_1
	v_cvt_f32_f16_e32 v145, v136
	v_mfma_f32_16x16x16_f16 v[58:61], v[14:15], v[24:25], v[58:61]
	v_cvt_f32_f16_sdwa v14, v137 dst_sel:DWORD dst_unused:UNUSED_PAD src0_sel:WORD_1
	v_cvt_f32_f16_e32 v15, v140
	v_cvt_f32_f16_sdwa v150, v140 dst_sel:DWORD dst_unused:UNUSED_PAD src0_sel:WORD_1
	v_mfma_f32_16x16x16_f16 v[130:133], v[142:143], v[24:25], v[130:133]
	v_cvt_f32_f16_e32 v151, v141
	v_cvt_f32_f16_sdwa v152, v141 dst_sel:DWORD dst_unused:UNUSED_PAD src0_sel:WORD_1
	v_cvt_f32_f16_sdwa v146, v146 dst_sel:DWORD dst_unused:UNUSED_PAD src0_sel:WORD_1
	v_mfma_f32_16x16x16_f16 v[134:137], v[134:135], v[24:25], v[62:65]
	v_cvt_f32_f16_e32 v154, v147
	v_cvt_f32_f16_sdwa v147, v147 dst_sel:DWORD dst_unused:UNUSED_PAD src0_sel:WORD_1
	v_mfma_f32_16x16x16_f16 v[138:141], v[138:139], v[24:25], v[126:129]
	s_nop 2
	v_add_f32_e32 v129, v58, v125
	v_add_f32_e32 v125, v59, v13
	;; [unrolled: 1-line block ×15, first 2 shown]
	v_max3_f32 v97, v12, v97, v130
	v_add_f32_e32 v64, v136, v149
	v_add_f32_e32 v13, v133, v147
	;; [unrolled: 1-line block ×4, first 2 shown]
	v_max3_f32 v97, v97, v131, v132
	v_add_f32_e32 v61, v139, v150
	v_add_f32_e32 v135, 0x40051340, v64
	;; [unrolled: 1-line block ×3, first 2 shown]
	v_max3_f32 v97, v97, v133, v134
	v_add_f32_e32 v60, v140, v151
	v_add_f32_e32 v59, v141, v152
	;; [unrolled: 1-line block ×4, first 2 shown]
	v_max3_f32 v97, v97, v135, v136
	v_add_f32_e32 v139, 0x40051340, v60
	v_add_f32_e32 v140, 0x40051340, v59
	v_max3_f32 v97, v97, v137, v138
	v_add_f32_e32 v141, 0x40051340, v58
	v_add_f32_e32 v142, 0x40051340, v15
	;; [unrolled: 3-line block ×3, first 2 shown]
	v_max3_f32 v97, v97, v141, v142
	v_max3_f32 v97, v97, v143, v144
	ds_bpermute_b32 v130, v114, v97
	s_waitcnt lgkmcnt(0)
	v_max_f32_e32 v130, v130, v130
	v_max_f32_e32 v97, v97, v130
	ds_bpermute_b32 v130, v115, v97
	s_and_saveexec_b64 s[14:15], s[0:1]
	s_cbranch_execz .LBB19_366
; %bb.365:                              ;   in Loop: Header=BB19_362 Depth=1
	v_lshl_add_u64 v[132:133], v[50:51], 2, s[12:13]
	v_lshlrev_b32_e32 v134, 2, v46
	v_mov_b32_e32 v135, v43
	v_lshl_add_u64 v[132:133], v[132:133], 0, v[134:135]
	global_load_dwordx4 v[132:135], v[132:133], off offset:192
	s_waitcnt vmcnt(0)
	ds_write_b128 v111, v[132:135]
.LBB19_366:                             ;   in Loop: Header=BB19_362 Depth=1
	s_or_b64 exec, exec, s[14:15]
	s_waitcnt lgkmcnt(0)
	v_max_f32_e32 v130, v130, v130
	v_max_f32_e32 v97, v97, v97
	;; [unrolled: 1-line block ×3, first 2 shown]
	v_sub_f32_e32 v129, v129, v97
	v_mul_f32_e32 v130, 0x3fb8aa3b, v129
	v_fma_f32 v131, v129, s10, -v130
	v_rndne_f32_e32 v132, v130
	v_fmac_f32_e32 v131, 0x32a5705f, v129
	v_sub_f32_e32 v130, v130, v132
	v_add_f32_e32 v130, v130, v131
	v_exp_f32_e32 v130, v130
	v_cvt_i32_f32_e32 v131, v132
	v_cmp_ngt_f32_e32 vcc, s11, v129
	v_sub_f32_e32 v65, v65, v97
	v_sub_f32_e32 v64, v64, v97
	v_ldexp_f32 v130, v130, v131
	v_sub_f32_e32 v131, v125, v97
	v_mul_f32_e32 v125, 0x3fb8aa3b, v131
	v_fma_f32 v132, v131, s10, -v125
	v_rndne_f32_e32 v133, v125
	v_fmac_f32_e32 v132, 0x32a5705f, v131
	v_sub_f32_e32 v125, v125, v133
	v_add_f32_e32 v125, v125, v132
	v_exp_f32_e32 v132, v125
	v_cvt_i32_f32_e32 v133, v133
	v_cndmask_b32_e32 v125, 0, v130, vcc
	v_sub_f32_e32 v130, v126, v97
	v_mul_f32_e32 v126, 0x3fb8aa3b, v130
	v_cmp_nlt_f32_e32 vcc, s16, v129
	v_ldexp_f32 v129, v132, v133
	v_fma_f32 v132, v130, s10, -v126
	v_rndne_f32_e32 v133, v126
	v_fmac_f32_e32 v132, 0x32a5705f, v130
	v_sub_f32_e32 v126, v126, v133
	v_add_f32_e32 v126, v126, v132
	v_exp_f32_e32 v132, v126
	v_cvt_i32_f32_e32 v133, v133
	v_cndmask_b32_e32 v125, v123, v125, vcc
	v_cmp_ngt_f32_e32 vcc, s11, v131
	v_sub_f32_e32 v63, v63, v97
	v_sub_f32_e32 v62, v62, v97
	v_cndmask_b32_e32 v126, 0, v129, vcc
	v_cmp_nlt_f32_e32 vcc, s16, v131
	v_sub_f32_e32 v131, v127, v97
	v_mul_f32_e32 v127, 0x3fb8aa3b, v131
	v_ldexp_f32 v129, v132, v133
	v_fma_f32 v132, v131, s10, -v127
	v_rndne_f32_e32 v133, v127
	v_fmac_f32_e32 v132, 0x32a5705f, v131
	v_sub_f32_e32 v127, v127, v133
	v_add_f32_e32 v127, v127, v132
	v_exp_f32_e32 v132, v127
	v_cvt_i32_f32_e32 v133, v133
	v_cndmask_b32_e32 v126, v123, v126, vcc
	v_cmp_ngt_f32_e32 vcc, s11, v130
	v_sub_f32_e32 v61, v61, v97
	v_sub_f32_e32 v60, v60, v97
	v_cndmask_b32_e32 v127, 0, v129, vcc
	v_cmp_nlt_f32_e32 vcc, s16, v130
	v_sub_f32_e32 v130, v128, v97
	v_mul_f32_e32 v128, 0x3fb8aa3b, v130
	v_ldexp_f32 v129, v132, v133
	v_fma_f32 v132, v130, s10, -v128
	v_rndne_f32_e32 v133, v128
	v_fmac_f32_e32 v132, 0x32a5705f, v130
	v_sub_f32_e32 v128, v128, v133
	v_add_f32_e32 v128, v128, v132
	v_exp_f32_e32 v132, v128
	v_cvt_i32_f32_e32 v133, v133
	v_cndmask_b32_e32 v127, v123, v127, vcc
	v_cmp_ngt_f32_e32 vcc, s11, v131
	v_sub_f32_e32 v59, v59, v97
	v_sub_f32_e32 v58, v58, v97
	v_cndmask_b32_e32 v128, 0, v129, vcc
	v_cmp_nlt_f32_e32 vcc, s16, v131
	v_mul_f32_e32 v131, 0x3fb8aa3b, v65
	v_ldexp_f32 v129, v132, v133
	v_fma_f32 v132, v65, s10, -v131
	v_rndne_f32_e32 v133, v131
	v_fmac_f32_e32 v132, 0x32a5705f, v65
	v_sub_f32_e32 v131, v131, v133
	v_add_f32_e32 v131, v131, v132
	v_exp_f32_e32 v131, v131
	v_cvt_i32_f32_e32 v132, v133
	v_cndmask_b32_e32 v128, v123, v128, vcc
	v_cmp_ngt_f32_e32 vcc, s11, v130
	v_sub_f32_e32 v15, v15, v97
	v_sub_f32_e32 v14, v14, v97
	v_cndmask_b32_e32 v129, 0, v129, vcc
	v_cmp_nlt_f32_e32 vcc, s16, v130
	v_ldexp_f32 v130, v131, v132
	v_mul_f32_e32 v131, 0x3fb8aa3b, v64
	v_fma_f32 v132, v64, s10, -v131
	v_rndne_f32_e32 v133, v131
	v_fmac_f32_e32 v132, 0x32a5705f, v64
	v_sub_f32_e32 v131, v131, v133
	v_add_f32_e32 v131, v131, v132
	v_exp_f32_e32 v131, v131
	v_cvt_i32_f32_e32 v132, v133
	v_cndmask_b32_e32 v129, v123, v129, vcc
	v_cmp_ngt_f32_e32 vcc, s11, v65
	v_sub_f32_e32 v12, v12, v97
	s_add_i32 s72, s72, 1
	v_cndmask_b32_e32 v130, 0, v130, vcc
	v_cmp_nlt_f32_e32 vcc, s16, v65
	v_ldexp_f32 v65, v131, v132
	v_mul_f32_e32 v131, 0x3fb8aa3b, v63
	v_fma_f32 v132, v63, s10, -v131
	v_rndne_f32_e32 v133, v131
	v_fmac_f32_e32 v132, 0x32a5705f, v63
	v_sub_f32_e32 v131, v131, v133
	v_add_f32_e32 v131, v131, v132
	v_exp_f32_e32 v132, v131
	v_cvt_i32_f32_e32 v133, v133
	v_cndmask_b32_e32 v130, v123, v130, vcc
	v_cmp_ngt_f32_e32 vcc, s11, v64
	s_add_i32 s8, s8, 64
	s_nop 0
	v_cndmask_b32_e32 v65, 0, v65, vcc
	v_cmp_nlt_f32_e32 vcc, s16, v64
	v_ldexp_f32 v64, v132, v133
	s_nop 0
	v_cndmask_b32_e32 v131, v123, v65, vcc
	v_mul_f32_e32 v65, 0x3fb8aa3b, v62
	v_fma_f32 v132, v62, s10, -v65
	v_rndne_f32_e32 v133, v65
	v_fmac_f32_e32 v132, 0x32a5705f, v62
	v_sub_f32_e32 v65, v65, v133
	v_add_f32_e32 v65, v65, v132
	v_exp_f32_e32 v65, v65
	v_cvt_i32_f32_e32 v133, v133
	v_cmp_ngt_f32_e32 vcc, s11, v63
	s_nop 1
	v_cndmask_b32_e32 v64, 0, v64, vcc
	v_cmp_nlt_f32_e32 vcc, s16, v63
	v_ldexp_f32 v63, v65, v133
	s_nop 0
	v_cndmask_b32_e32 v132, v123, v64, vcc
	v_mul_f32_e32 v64, 0x3fb8aa3b, v61
	v_fma_f32 v65, v61, s10, -v64
	v_rndne_f32_e32 v133, v64
	v_fmac_f32_e32 v65, 0x32a5705f, v61
	v_sub_f32_e32 v64, v64, v133
	v_add_f32_e32 v64, v64, v65
	v_exp_f32_e32 v64, v64
	v_cvt_i32_f32_e32 v65, v133
	v_cmp_ngt_f32_e32 vcc, s11, v62
	;; [unrolled: 15-line block ×3, first 2 shown]
	s_nop 1
	v_cndmask_b32_e32 v62, 0, v62, vcc
	v_cmp_nlt_f32_e32 vcc, s16, v61
	v_ldexp_f32 v61, v63, v64
	s_nop 0
	v_cndmask_b32_e32 v134, v123, v62, vcc
	v_cmp_ngt_f32_e32 vcc, s11, v60
	s_nop 1
	v_cndmask_b32_e32 v61, 0, v61, vcc
	v_cmp_nlt_f32_e32 vcc, s16, v60
	v_mul_f32_e32 v60, 0x3fb8aa3b, v59
	v_rndne_f32_e32 v62, v60
	v_cndmask_b32_e32 v135, v123, v61, vcc
	v_fma_f32 v61, v59, s10, -v60
	v_fmac_f32_e32 v61, 0x32a5705f, v59
	v_sub_f32_e32 v60, v60, v62
	v_add_f32_e32 v60, v60, v61
	v_exp_f32_e32 v138, v60
	v_lshl_add_u64 v[60:61], v[54:55], 2, s[12:13]
	v_cvt_i32_f32_e32 v139, v62
	v_lshl_add_u64 v[60:61], v[60:61], 0, v[42:43]
	v_lshl_add_u64 v[62:63], v[22:23], 2, s[12:13]
	v_lshl_add_u64 v[136:137], v[62:63], 0, v[56:57]
	global_load_dwordx4 v[62:65], v[60:61], off offset:128
	global_load_dwordx4 v[142:145], v[136:137], off
	v_lshl_add_u64 v[60:61], v[52:53], 2, s[12:13]
	v_lshl_add_u64 v[60:61], v[60:61], 0, v[56:57]
	global_load_dwordx4 v[146:149], v[60:61], off
	v_mul_f32_e32 v60, 0x3fb8aa3b, v58
	v_fma_f32 v61, v58, s10, -v60
	v_rndne_f32_e32 v136, v60
	v_fmac_f32_e32 v61, 0x32a5705f, v58
	v_sub_f32_e32 v60, v60, v136
	v_add_f32_e32 v60, v60, v61
	v_exp_f32_e32 v60, v60
	v_cvt_i32_f32_e32 v61, v136
	v_ldexp_f32 v57, v138, v139
	v_cmp_ngt_f32_e32 vcc, s11, v59
	s_waitcnt vmcnt(2)
	ds_write_b128 v27, v[62:65]
	s_waitcnt vmcnt(1)
	ds_write_b128 v108, v[142:145]
	s_waitcnt vmcnt(0)
	ds_write_b128 v109, v[146:149]
	v_cndmask_b32_e32 v57, 0, v57, vcc
	v_cmp_nlt_f32_e32 vcc, s16, v59
	v_ldexp_f32 v59, v60, v61
	v_mul_f32_e32 v60, 0x3fb8aa3b, v15
	v_fma_f32 v61, v15, s10, -v60
	v_rndne_f32_e32 v136, v60
	v_fmac_f32_e32 v61, 0x32a5705f, v15
	v_sub_f32_e32 v60, v60, v136
	v_add_f32_e32 v60, v60, v61
	v_exp_f32_e32 v60, v60
	v_cvt_i32_f32_e32 v61, v136
	v_cndmask_b32_e32 v57, v123, v57, vcc
	v_cmp_ngt_f32_e32 vcc, s11, v58
	s_waitcnt lgkmcnt(0)
	s_barrier
	v_cndmask_b32_e32 v59, 0, v59, vcc
	v_cmp_nlt_f32_e32 vcc, s16, v58
	v_ldexp_f32 v58, v60, v61
	s_nop 0
	v_cndmask_b32_e32 v136, v123, v59, vcc
	v_mul_f32_e32 v59, 0x3fb8aa3b, v14
	v_fma_f32 v60, v14, s10, -v59
	v_rndne_f32_e32 v61, v59
	v_fmac_f32_e32 v60, 0x32a5705f, v14
	v_sub_f32_e32 v59, v59, v61
	v_add_f32_e32 v59, v59, v60
	v_exp_f32_e32 v59, v59
	v_cvt_i32_f32_e32 v60, v61
	v_mul_f32_e32 v61, 0x3fb8aa3b, v12
	v_fma_f32 v138, v12, s10, -v61
	v_rndne_f32_e32 v139, v61
	v_fmac_f32_e32 v138, 0x32a5705f, v12
	v_sub_f32_e32 v61, v61, v139
	v_cmp_ngt_f32_e32 vcc, s11, v15
	v_add_f32_e32 v61, v61, v138
	v_exp_f32_e32 v61, v61
	v_cndmask_b32_e32 v58, 0, v58, vcc
	v_cmp_nlt_f32_e32 vcc, s16, v15
	v_ldexp_f32 v15, v59, v60
	v_sub_f32_e32 v60, v13, v97
	v_cvt_i32_f32_e32 v138, v139
	v_mul_f32_e32 v13, 0x3fb8aa3b, v60
	v_cndmask_b32_e32 v137, v123, v58, vcc
	v_fma_f32 v58, v60, s10, -v13
	v_rndne_f32_e32 v59, v13
	v_cmp_ngt_f32_e32 vcc, s11, v14
	v_fmac_f32_e32 v58, 0x32a5705f, v60
	v_sub_f32_e32 v13, v13, v59
	v_cndmask_b32_e32 v15, 0, v15, vcc
	v_add_f32_e32 v13, v13, v58
	v_cvt_i32_f32_e32 v58, v59
	v_ldexp_f32 v59, v61, v138
	v_cmp_ngt_f32_e32 vcc, s11, v12
	v_exp_f32_e32 v13, v13
	s_nop 0
	v_cndmask_b32_e32 v59, 0, v59, vcc
	v_cmp_nlt_f32_e32 vcc, s16, v12
	v_ldexp_f32 v58, v13, v58
	s_nop 0
	v_cndmask_b32_e32 v59, v123, v59, vcc
	v_cmp_le_f32_e32 vcc, s17, v12
	s_nop 1
	v_cndmask_b32_e32 v138, 0, v59, vcc
	v_cvt_f16_f32_e32 v12, v138
	v_cmp_nlt_f32_e32 vcc, s16, v14
	v_mul_u32_u24_e32 v140, 0x10001, v12
	s_nop 0
	v_cndmask_b32_e32 v139, v123, v15, vcc
	v_pk_mul_f16 v13, v19, v140
	v_pk_mul_f16 v15, v18, v140
	ds_read_u16 v59, v117
	ds_read_u16 v18, v117 offset:32
	ds_read_u16 v19, v117 offset:3840
	;; [unrolled: 1-line block ×7, first 2 shown]
	ds_read_u16 v61, v118
	ds_read_u16 v143, v118 offset:32
	ds_read_u16 v148, v118 offset:64
	;; [unrolled: 1-line block ×4, first 2 shown]
	s_waitcnt lgkmcnt(4)
	v_perm_b32 v63, v61, v59, s18
	ds_read_u16 v59, v116 offset:240
	ds_read_u16 v61, v116
	ds_read_u16 v150, v116 offset:32
	ds_read_u16 v155, v116 offset:64
	;; [unrolled: 1-line block ×6, first 2 shown]
	s_waitcnt lgkmcnt(6)
	v_perm_b32 v62, v59, v61, s18
	v_cvt_f32_f16_e32 v12, v13
	v_cvt_f32_f16_sdwa v13, v13 dst_sel:DWORD dst_unused:UNUSED_PAD src0_sel:WORD_1
	v_cvt_f32_f16_e32 v14, v15
	v_cvt_f32_f16_sdwa v15, v15 dst_sel:DWORD dst_unused:UNUSED_PAD src0_sel:WORD_1
	v_cmp_ngt_f32_e32 vcc, s11, v60
	v_cvt_pk_f16_f32 v59, v127, v128
	v_pk_mul_f16 v17, v17, v140
	v_cndmask_b32_e32 v61, 0, v58, vcc
	v_cvt_pk_f16_f32 v58, v125, v126
	v_cmp_nlt_f32_e32 vcc, s16, v60
	v_cvt_pk_f16_f32 v60, v129, v130
	v_mfma_f32_16x16x16_f16 v[12:15], v[62:63], v[58:59], v[12:15]
	ds_read_u16 v62, v116 offset:4080
	ds_read_u16 v63, v118 offset:3840
	;; [unrolled: 1-line block ×7, first 2 shown]
	s_waitcnt lgkmcnt(5)
	v_perm_b32 v63, v63, v19, s18
	v_cvt_f16_f32_e32 v12, v12
	v_cvt_f16_f32_e32 v13, v13
	v_cvt_f16_f32_e32 v14, v14
	v_cvt_f16_f32_e32 v15, v15
	ds_read_u16 v19, v116 offset:3840
	ds_read_u16 v165, v116 offset:272
	;; [unrolled: 1-line block ×11, first 2 shown]
	s_waitcnt lgkmcnt(10)
	v_perm_b32 v62, v62, v19, s18
	v_cvt_f32_f16_e32 v12, v12
	v_cvt_f32_f16_e32 v13, v13
	;; [unrolled: 1-line block ×4, first 2 shown]
	v_cndmask_b32_e32 v175, v123, v61, vcc
	v_cvt_pk_f16_f32 v61, v131, v132
	v_pk_mul_f16 v16, v16, v140
	v_pk_mul_f16 v91, v91, v140
	v_mfma_f32_16x16x16_f16 v[12:15], v[62:63], v[60:61], v[12:15]
	ds_read_u16 v19, v117 offset:7680
	ds_read_u16 v176, v117 offset:7712
	ds_read_u16 v177, v117 offset:4032
	ds_read_u16 v62, v118 offset:7680
	ds_read_u16 v178, v118 offset:7712
	ds_read_u16 v179, v118 offset:7744
	ds_read_u16 v180, v118 offset:7776
	ds_read_u16 v181, v118 offset:7808
	ds_read_u16 v182, v118 offset:7840
	ds_read_u16 v183, v118 offset:4032
	s_waitcnt lgkmcnt(6)
	v_perm_b32 v65, v62, v19, s18
	ds_read_u16 v19, v116 offset:7680
	ds_read_u16 v184, v116 offset:7712
	;; [unrolled: 1-line block ×11, first 2 shown]
	v_cvt_f16_f32_e32 v12, v12
	v_cvt_f16_f32_e32 v13, v13
	;; [unrolled: 1-line block ×4, first 2 shown]
	s_waitcnt lgkmcnt(5)
	v_perm_b32 v64, v62, v19, s18
	v_cvt_f32_f16_e32 v12, v12
	v_cvt_f32_f16_e32 v13, v13
	v_cvt_f32_f16_e32 v14, v14
	v_cvt_f32_f16_e32 v15, v15
	v_cvt_pk_f16_f32 v63, v135, v57
	v_cvt_pk_f16_f32 v62, v133, v134
	v_cvt_f32_f16_e32 v146, v16
	v_cvt_f32_f16_sdwa v147, v16 dst_sel:DWORD dst_unused:UNUSED_PAD src0_sel:WORD_1
	v_mfma_f32_16x16x16_f16 v[12:15], v[64:65], v[62:63], v[12:15]
	ds_read_u16 v19, v117 offset:11520
	ds_read_u16 v193, v117 offset:11552
	;; [unrolled: 1-line block ×12, first 2 shown]
	s_waitcnt lgkmcnt(7)
	v_perm_b32 v145, v64, v19, s18
	ds_read_u16 v19, v116 offset:11520
	ds_read_u16 v203, v116 offset:11552
	;; [unrolled: 1-line block ×15, first 2 shown]
	v_cvt_f16_f32_e32 v12, v12
	v_cvt_f16_f32_e32 v13, v13
	;; [unrolled: 1-line block ×4, first 2 shown]
	s_waitcnt lgkmcnt(7)
	v_perm_b32 v144, v64, v19, s18
	v_cvt_f32_f16_e32 v12, v12
	v_cvt_f32_f16_e32 v13, v13
	;; [unrolled: 1-line block ×4, first 2 shown]
	v_cvt_pk_f16_f32 v65, v139, v175
	v_cvt_pk_f16_f32 v64, v136, v137
	v_perm_b32 v16, v165, v150, s18
	v_pk_mul_f16 v90, v90, v140
	v_mfma_f32_16x16x16_f16 v[12:15], v[144:145], v[64:65], v[12:15]
	v_cvt_f32_f16_e32 v144, v17
	v_cvt_f32_f16_sdwa v145, v17 dst_sel:DWORD dst_unused:UNUSED_PAD src0_sel:WORD_1
	v_perm_b32 v17, v143, v18, s18
	ds_read_u16 v143, v117 offset:3872
	ds_read_u16 v150, v117 offset:3904
	;; [unrolled: 1-line block ×5, first 2 shown]
	v_mfma_f32_16x16x16_f16 v[16:19], v[16:17], v[58:59], v[144:147]
	s_waitcnt lgkmcnt(4)
	s_nop 1
	v_perm_b32 v145, v160, v143, s18
	v_perm_b32 v144, v172, v166, s18
	v_cvt_f32_f16_e32 v146, v90
	s_nop 1
	v_cvt_f16_f32_e32 v16, v16
	v_cvt_f16_f32_e32 v17, v17
	;; [unrolled: 1-line block ×4, first 2 shown]
	v_cvt_f32_f16_e32 v16, v16
	v_cvt_f32_f16_e32 v17, v17
	v_cvt_f32_f16_e32 v18, v18
	v_cvt_f32_f16_e32 v19, v19
	v_cvt_f32_f16_sdwa v147, v90 dst_sel:DWORD dst_unused:UNUSED_PAD src0_sel:WORD_1
	v_perm_b32 v90, v167, v155, s18
	v_mfma_f32_16x16x16_f16 v[16:19], v[144:145], v[60:61], v[16:19]
	v_perm_b32 v145, v178, v176, s18
	v_perm_b32 v144, v188, v184, s18
	v_pk_mul_f16 v89, v89, v140
	v_pk_mul_f16 v87, v87, v140
	s_nop 3
	v_cvt_f16_f32_e32 v16, v16
	v_cvt_f16_f32_e32 v17, v17
	;; [unrolled: 1-line block ×4, first 2 shown]
	v_cvt_f32_f16_e32 v16, v16
	v_cvt_f32_f16_e32 v17, v17
	;; [unrolled: 1-line block ×4, first 2 shown]
	v_pk_mul_f16 v172, v86, v140
	v_perm_b32 v86, v169, v157, s18
	v_mfma_f32_16x16x16_f16 v[16:19], v[144:145], v[62:63], v[16:19]
	v_perm_b32 v145, v196, v193, s18
	v_perm_b32 v144, v209, v203, s18
	v_pk_mul_f16 v85, v85, v140
	v_add_f32_e32 v125, v125, v126
	s_nop 3
	v_cvt_f16_f32_e32 v16, v16
	v_cvt_f16_f32_e32 v17, v17
	;; [unrolled: 1-line block ×4, first 2 shown]
	v_cvt_f32_f16_e32 v16, v16
	v_cvt_f32_f16_e32 v17, v17
	;; [unrolled: 1-line block ×4, first 2 shown]
	v_add_f32_e32 v125, v127, v125
	v_perm_b32 v126, v213, v207, s18
	v_mfma_f32_16x16x16_f16 v[16:19], v[144:145], v[64:65], v[16:19]
	v_cvt_f32_f16_e32 v144, v91
	v_cvt_f32_f16_sdwa v145, v91 dst_sel:DWORD dst_unused:UNUSED_PAD src0_sel:WORD_1
	v_perm_b32 v91, v148, v141, s18
	ds_read_u16 v141, v116 offset:3904
	ds_read_u16 v148, v116 offset:3936
	;; [unrolled: 1-line block ×4, first 2 shown]
	v_mfma_f32_16x16x16_f16 v[144:147], v[90:91], v[58:59], v[144:147]
	v_add_f32_e32 v125, v128, v125
	v_pk_mul_f16 v83, v83, v140
	v_add_f32_e32 v125, v129, v125
	s_nop 4
	v_cvt_f16_f32_e32 v90, v144
	v_cvt_f16_f32_e32 v91, v145
	v_cvt_f16_f32_e32 v143, v146
	v_cvt_f16_f32_e32 v147, v147
	v_cvt_f32_f16_e32 v144, v90
	v_cvt_f32_f16_e32 v145, v91
	s_waitcnt lgkmcnt(7)
	v_perm_b32 v91, v161, v150, s18
	s_waitcnt lgkmcnt(3)
	v_perm_b32 v90, v173, v141, s18
	v_cvt_f32_f16_e32 v146, v143
	v_cvt_f32_f16_e32 v147, v147
	ds_read_u16 v141, v117 offset:7744
	ds_read_u16 v150, v117 offset:7776
	;; [unrolled: 1-line block ×4, first 2 shown]
	v_mfma_f32_16x16x16_f16 v[144:147], v[90:91], v[60:61], v[144:147]
	v_pk_mul_f16 v129, v82, v140
	v_perm_b32 v82, v171, v159, s18
	v_cvt_f32_f16_e32 v128, v129
	s_nop 4
	v_cvt_f16_f32_e32 v90, v144
	v_cvt_f16_f32_e32 v91, v145
	;; [unrolled: 1-line block ×4, first 2 shown]
	v_cvt_f32_f16_e32 v144, v90
	v_cvt_f32_f16_e32 v145, v91
	s_waitcnt lgkmcnt(3)
	v_perm_b32 v91, v179, v141, s18
	v_perm_b32 v90, v189, v185, s18
	v_cvt_f32_f16_e32 v146, v143
	v_cvt_f32_f16_e32 v147, v147
	v_cvt_f32_f16_sdwa v129, v129 dst_sel:DWORD dst_unused:UNUSED_PAD src0_sel:WORD_1
	v_add_f32_e32 v125, v130, v125
	v_mfma_f32_16x16x16_f16 v[144:147], v[90:91], v[62:63], v[144:147]
	v_add_f32_e32 v125, v131, v125
	v_add_f32_e32 v125, v132, v125
	v_cmp_lt_i32_e32 vcc, s72, v107
	v_cvt_pk_f16_f32 v17, v16, v17
	s_nop 3
	v_cvt_f16_f32_e32 v90, v144
	v_cvt_f16_f32_e32 v91, v145
	;; [unrolled: 1-line block ×4, first 2 shown]
	v_cvt_f32_f16_e32 v144, v90
	v_cvt_f32_f16_e32 v145, v91
	v_perm_b32 v91, v197, v194, s18
	v_perm_b32 v90, v210, v204, s18
	v_cvt_f32_f16_e32 v146, v141
	v_cvt_f32_f16_e32 v147, v143
	v_pk_mul_f16 v141, v88, v140
	v_perm_b32 v143, v149, v142, s18
	v_perm_b32 v142, v168, v156, s18
	v_mfma_f32_16x16x16_f16 v[144:147], v[90:91], v[64:65], v[144:147]
	v_cvt_f32_f16_e32 v88, v89
	v_cvt_f32_f16_sdwa v89, v89 dst_sel:DWORD dst_unused:UNUSED_PAD src0_sel:WORD_1
	v_cvt_f32_f16_e32 v90, v141
	v_cvt_f32_f16_sdwa v91, v141 dst_sel:DWORD dst_unused:UNUSED_PAD src0_sel:WORD_1
	ds_read_u16 v141, v116 offset:4176
	ds_read_u16 v156, v116 offset:4208
	;; [unrolled: 1-line block ×3, first 2 shown]
	v_mfma_f32_16x16x16_f16 v[88:91], v[142:143], v[58:59], v[88:91]
	v_perm_b32 v143, v162, v165, s18
	s_waitcnt lgkmcnt(2)
	v_perm_b32 v142, v141, v148, s18
	ds_read_u16 v141, v117 offset:11616
	ds_read_u16 v162, v117 offset:11648
	;; [unrolled: 1-line block ×3, first 2 shown]
	s_nop 1
	v_cvt_f16_f32_e32 v88, v88
	v_cvt_f16_f32_e32 v89, v89
	;; [unrolled: 1-line block ×4, first 2 shown]
	v_cvt_f32_f16_e32 v88, v88
	v_cvt_f32_f16_e32 v89, v89
	;; [unrolled: 1-line block ×5, first 2 shown]
	v_cvt_f32_f16_sdwa v149, v87 dst_sel:DWORD dst_unused:UNUSED_PAD src0_sel:WORD_1
	v_mfma_f32_16x16x16_f16 v[88:91], v[142:143], v[60:61], v[88:91]
	v_perm_b32 v143, v180, v150, s18
	v_perm_b32 v142, v190, v186, s18
	v_cvt_f32_f16_e32 v150, v172
	s_waitcnt lgkmcnt(0)
	v_perm_b32 v127, v200, v165, s18
	s_nop 2
	v_cvt_f16_f32_e32 v88, v88
	v_cvt_f16_f32_e32 v89, v89
	;; [unrolled: 1-line block ×4, first 2 shown]
	v_cvt_f32_f16_e32 v88, v88
	v_cvt_f32_f16_e32 v89, v89
	;; [unrolled: 1-line block ×4, first 2 shown]
	v_cvt_pk_f16_f32 v16, v18, v19
	v_cvt_pk_f16_f32 v19, v12, v13
	v_mfma_f32_16x16x16_f16 v[88:91], v[142:143], v[62:63], v[88:91]
	v_perm_b32 v143, v198, v141, s18
	ds_read_u16 v141, v118 offset:128
	ds_read_u16 v168, v118 offset:160
	v_perm_b32 v142, v211, v205, s18
	s_nop 3
	v_cvt_f16_f32_e32 v88, v88
	v_cvt_f16_f32_e32 v89, v89
	s_waitcnt lgkmcnt(1)
	v_perm_b32 v87, v141, v151, s18
	v_cvt_f32_f16_sdwa v151, v172 dst_sel:DWORD dst_unused:UNUSED_PAD src0_sel:WORD_1
	v_cvt_f16_f32_e32 v90, v90
	v_cvt_f16_f32_e32 v91, v91
	v_mfma_f32_16x16x16_f16 v[148:151], v[86:87], v[58:59], v[148:151]
	v_cvt_f32_f16_e32 v88, v88
	v_cvt_f32_f16_e32 v89, v89
	;; [unrolled: 1-line block ×4, first 2 shown]
	s_nop 3
	v_cvt_f16_f32_e32 v86, v148
	v_cvt_f16_f32_e32 v87, v149
	v_mfma_f32_16x16x16_f16 v[88:91], v[142:143], v[64:65], v[88:91]
	v_cvt_f16_f32_e32 v141, v150
	v_cvt_f16_f32_e32 v142, v151
	v_cvt_f32_f16_e32 v148, v86
	v_cvt_f32_f16_e32 v149, v87
	v_perm_b32 v87, v163, v216, s18
	v_perm_b32 v86, v156, v155, s18
	v_cvt_f32_f16_e32 v150, v141
	v_cvt_f32_f16_e32 v151, v142
	ds_read_u16 v141, v116 offset:7808
	ds_read_u16 v155, v116 offset:7840
	v_mfma_f32_16x16x16_f16 v[148:151], v[86:87], v[60:61], v[148:151]
	v_cvt_pk_f16_f32 v89, v88, v89
	v_cvt_pk_f16_f32 v88, v90, v91
	;; [unrolled: 1-line block ×3, first 2 shown]
	s_nop 4
	v_cvt_f16_f32_e32 v86, v148
	v_cvt_f16_f32_e32 v87, v149
	;; [unrolled: 1-line block ×4, first 2 shown]
	v_cvt_f32_f16_e32 v148, v86
	v_cvt_f32_f16_e32 v149, v87
	v_perm_b32 v87, v181, v161, s18
	s_waitcnt lgkmcnt(1)
	v_perm_b32 v86, v191, v141, s18
	v_cvt_f32_f16_e32 v150, v142
	v_cvt_f32_f16_e32 v151, v143
	v_perm_b32 v143, v168, v152, s18
	v_cvt_pk_f16_f32 v90, v146, v147
	v_mfma_f32_16x16x16_f16 v[148:151], v[86:87], v[62:63], v[148:151]
	v_cvt_pk_f16_f32 v18, v14, v15
	s_and_b64 vcc, exec, vcc
	s_nop 5
	v_cvt_f16_f32_e32 v86, v148
	v_cvt_f16_f32_e32 v87, v149
	;; [unrolled: 1-line block ×4, first 2 shown]
	v_cvt_f32_f16_e32 v148, v86
	v_cvt_f32_f16_e32 v149, v87
	v_perm_b32 v87, v199, v162, s18
	v_perm_b32 v86, v212, v206, s18
	v_cvt_f32_f16_e32 v150, v141
	v_cvt_f32_f16_e32 v151, v142
	v_pk_mul_f16 v141, v84, v140
	v_perm_b32 v142, v170, v158, s18
	v_mfma_f32_16x16x16_f16 v[148:151], v[86:87], v[64:65], v[148:151]
	v_cvt_f32_f16_e32 v84, v85
	v_cvt_f32_f16_sdwa v85, v85 dst_sel:DWORD dst_unused:UNUSED_PAD src0_sel:WORD_1
	v_cvt_f32_f16_e32 v86, v141
	v_cvt_f32_f16_sdwa v87, v141 dst_sel:DWORD dst_unused:UNUSED_PAD src0_sel:WORD_1
	ds_read_u16 v141, v118 offset:4000
	s_nop 0
	v_mfma_f32_16x16x16_f16 v[84:87], v[142:143], v[58:59], v[84:87]
	v_perm_b32 v142, v167, v160, s18
	s_waitcnt lgkmcnt(0)
	v_perm_b32 v143, v141, v217, s18
	ds_read_u16 v141, v116 offset:8080
	s_waitcnt lgkmcnt(0)
	s_nop 2
	v_cvt_f16_f32_e32 v84, v84
	v_cvt_f16_f32_e32 v85, v85
	;; [unrolled: 1-line block ×4, first 2 shown]
	v_cvt_f32_f16_e32 v84, v84
	v_cvt_f32_f16_e32 v85, v85
	;; [unrolled: 1-line block ×4, first 2 shown]
	s_barrier
	s_nop 0
	v_mfma_f32_16x16x16_f16 v[84:87], v[142:143], v[60:61], v[84:87]
	v_perm_b32 v143, v182, v166, s18
	v_perm_b32 v142, v141, v155, s18
	s_nop 5
	v_cvt_f16_f32_e32 v84, v84
	v_cvt_f16_f32_e32 v85, v85
	;; [unrolled: 1-line block ×4, first 2 shown]
	v_cvt_f32_f16_e32 v84, v84
	v_cvt_f32_f16_e32 v85, v85
	;; [unrolled: 1-line block ×4, first 2 shown]
	s_nop 1
	v_mfma_f32_16x16x16_f16 v[84:87], v[142:143], v[62:63], v[84:87]
	s_nop 7
	v_cvt_f16_f32_e32 v84, v84
	v_cvt_f16_f32_e32 v85, v85
	;; [unrolled: 1-line block ×4, first 2 shown]
	v_cvt_f32_f16_e32 v84, v84
	v_cvt_f32_f16_e32 v85, v85
	;; [unrolled: 1-line block ×4, first 2 shown]
	s_nop 1
	v_mfma_f32_16x16x16_f16 v[84:87], v[126:127], v[64:65], v[84:87]
	v_cvt_f32_f16_e32 v126, v83
	v_cvt_f32_f16_sdwa v127, v83 dst_sel:DWORD dst_unused:UNUSED_PAD src0_sel:WORD_1
	v_perm_b32 v83, v164, v153, s18
	s_nop 1
	v_mfma_f32_16x16x16_f16 v[126:129], v[82:83], v[58:59], v[126:129]
	s_nop 1
	v_cvt_pk_f16_f32 v85, v84, v85
	v_cvt_pk_f16_f32 v84, v86, v87
	;; [unrolled: 1-line block ×3, first 2 shown]
	s_nop 2
	v_cvt_f16_f32_e32 v58, v126
	v_cvt_f16_f32_e32 v59, v127
	;; [unrolled: 1-line block ×4, first 2 shown]
	v_cvt_f32_f16_e32 v126, v58
	v_cvt_f32_f16_e32 v127, v59
	v_perm_b32 v59, v183, v177, s18
	v_perm_b32 v58, v187, v174, s18
	v_cvt_f32_f16_e32 v128, v82
	v_cvt_f32_f16_e32 v129, v83
	v_add_f32_e32 v82, v133, v125
	v_add_f32_e32 v82, v134, v82
	v_mfma_f32_16x16x16_f16 v[58:61], v[58:59], v[60:61], v[126:129]
	v_add_f32_e32 v125, v135, v82
	v_perm_b32 v83, v202, v195, s18
	v_perm_b32 v82, v208, v192, s18
	v_add_f32_e32 v57, v57, v125
	s_nop 3
	v_cvt_f16_f32_e32 v58, v58
	v_cvt_f16_f32_e32 v59, v59
	;; [unrolled: 1-line block ×4, first 2 shown]
	v_cvt_f32_f16_e32 v58, v58
	v_cvt_f32_f16_e32 v59, v59
	;; [unrolled: 1-line block ×4, first 2 shown]
	v_add_f32_e32 v57, v136, v57
	v_add_f32_e32 v57, v137, v57
	v_mfma_f32_16x16x16_f16 v[58:61], v[82:83], v[62:63], v[58:61]
	v_perm_b32 v63, v201, v154, s18
	v_perm_b32 v62, v214, v215, s18
	v_add_f32_e32 v57, v139, v57
	v_add_f32_e32 v57, v175, v57
	s_nop 3
	v_cvt_f16_f32_e32 v58, v58
	v_cvt_f16_f32_e32 v59, v59
	;; [unrolled: 1-line block ×4, first 2 shown]
	v_cvt_f32_f16_e32 v58, v58
	v_cvt_f32_f16_e32 v59, v59
	;; [unrolled: 1-line block ×4, first 2 shown]
	v_fmac_f32_e32 v57, v124, v138
	v_cvt_pk_f16_f32 v86, v150, v151
	v_mfma_f32_16x16x16_f16 v[58:61], v[62:63], v[64:65], v[58:61]
	s_nop 7
	v_cvt_pk_f16_f32 v83, v58, v59
	v_cvt_pk_f16_f32 v82, v60, v61
	s_cbranch_vccz .LBB19_369
; %bb.367:                              ;   in Loop: Header=BB19_362 Depth=1
	v_mov_b32_e32 v124, v57
	v_mov_b32_e32 v12, v97
	s_branch .LBB19_362
.LBB19_368:
	v_readlane_b32 s22, v250, 1
	v_mov_b32_e32 v97, 0xfeffffff
	v_mov_b32_e32 v82, 0
	;; [unrolled: 1-line block ×15, first 2 shown]
	v_readlane_b32 s19, v250, 3
	v_readlane_b32 s23, v250, 2
	s_branch .LBB19_370
.LBB19_369:
	v_mov_b64_e32 v[12:13], s[34:35]
.LBB19_370:
	s_lshl_b32 s8, s72, 6
	s_ashr_i32 s9, s8, 31
	s_lshl_b64 s[0:1], s[8:9], 1
	s_add_u32 s0, s6, s0
	s_addc_u32 s1, s7, s1
	v_mov_b32_e32 v27, 0
	v_lshl_add_u64 v[14:15], s[0:1], 0, v[26:27]
	v_lshl_add_u64 v[32:33], v[32:33], 1, v[14:15]
	;; [unrolled: 1-line block ×3, first 2 shown]
	global_load_dword v40, v[32:33], off
	global_load_dword v41, v[14:15], off
	v_add_u32_e32 v14, 0, v26
	v_add_u32_e32 v26, v14, v103
	;; [unrolled: 1-line block ×3, first 2 shown]
	v_mul_hi_u32 v15, v12, s8
	v_mul_lo_u32 v14, v12, s8
	v_mul_lo_u32 v12, v12, s9
	;; [unrolled: 1-line block ×3, first 2 shown]
	v_add_u32_e32 v12, v15, v12
	v_add_u32_e32 v15, v12, v13
	v_cmp_gt_u32_e32 vcc, 64, v96
	v_lshlrev_b64 v[12:13], 2, v[14:15]
	v_cmp_lt_u32_e64 s[0:1], 63, v96
	s_waitcnt vmcnt(1)
	ds_write_b32 v26, v40 offset:15360
	s_waitcnt vmcnt(0)
	ds_write_b32 v32, v41 offset:15360
                                        ; implicit-def: $vgpr32
	s_and_saveexec_b64 s[6:7], s[0:1]
	s_xor_b64 s[0:1], exec, s[6:7]
; %bb.371:
	v_mul_i32_i24_e32 v32, 0xf0, v96
	v_and_or_b32 v26, v106, 4, 48
                                        ; implicit-def: $vgpr106
; %bb.372:
	s_or_saveexec_b64 s[0:1], s[0:1]
	v_lshl_add_u64 v[14:15], s[4:5], 0, v[12:13]
	s_xor_b64 exec, exec, s[0:1]
	s_cbranch_execz .LBB19_374
; %bb.373:
	v_mul_lo_u32 v12, v96, s34
	v_ashrrev_i32_e32 v13, 31, v12
	v_and_b32_e32 v26, 4, v106
	v_mov_b32_e32 v27, 0
	v_lshl_add_u64 v[12:13], v[12:13], 2, v[14:15]
	v_lshlrev_b32_e32 v44, 2, v26
	v_mov_b32_e32 v45, v27
	v_lshl_add_u64 v[12:13], v[12:13], 0, v[44:45]
	global_load_dwordx4 v[40:43], v[12:13], off offset:192
	v_mul_i32_i24_e32 v32, 0xf0, v96
	v_or_b32_e32 v26, 48, v26
	v_add3_u32 v12, 0, v32, v44
	s_waitcnt vmcnt(0)
	ds_write_b128 v12, v[40:43] offset:192
.LBB19_374:
	s_or_b64 exec, exec, s[0:1]
	v_lshl_add_u64 v[12:13], v[28:29], 2, v[14:15]
	v_lshl_add_u64 v[28:29], v[20:21], 2, v[12:13]
	;; [unrolled: 1-line block ×3, first 2 shown]
	v_lshlrev_b64 v[12:13], 2, v[30:31]
	v_lshl_add_u64 v[14:15], v[36:37], 2, v[14:15]
	v_lshl_add_u64 v[44:45], v[34:35], 0, v[12:13]
	;; [unrolled: 1-line block ×3, first 2 shown]
	global_load_dwordx4 v[34:37], v[28:29], off
	global_load_dwordx4 v[40:43], v[44:45], off
	;; [unrolled: 1-line block ×3, first 2 shown]
	v_lshlrev_b32_e32 v14, 2, v20
	v_lshlrev_b32_e32 v28, 2, v30
	v_add3_u32 v31, 0, v98, v80
	v_add3_u32 v14, 0, v101, v14
	;; [unrolled: 1-line block ×4, first 2 shown]
	v_add_u32_e32 v28, 0x800, v31
	v_add_u32_e32 v29, 0x1800, v31
	;; [unrolled: 1-line block ×3, first 2 shown]
	v_and_or_b32 v44, v79, 12, v81
	s_movk_i32 s0, 0x90
	v_lshrrev_b32_e32 v44, 2, v44
	s_waitcnt vmcnt(2)
	ds_write_b128 v14, v[34:37]
	s_waitcnt vmcnt(1)
	ds_write_b128 v15, v[40:43]
	;; [unrolled: 2-line block ×3, first 2 shown]
	s_waitcnt lgkmcnt(0)
	s_barrier
	ds_read2_b64 v[34:37], v31 offset1:4
	ds_read2_b64 v[48:51], v28 offset0:224 offset1:228
	ds_read2_b64 v[58:61], v29 offset0:192 offset1:196
	;; [unrolled: 1-line block ×3, first 2 shown]
	s_waitcnt lgkmcnt(3)
	v_mfma_f32_16x16x16_f16 v[40:43], v[34:35], v[8:9], 0
	s_waitcnt lgkmcnt(2)
	v_mfma_f32_16x16x16_f16 v[52:55], v[48:49], v[8:9], 0
	;; [unrolled: 2-line block ×4, first 2 shown]
	v_mfma_f32_16x16x16_f16 v[34:37], v[36:37], v[10:11], v[40:43]
	v_mfma_f32_16x16x16_f16 v[40:43], v[50:51], v[10:11], v[52:55]
	s_nop 2
	ds_read2_b64 v[52:55], v31 offset0:8 offset1:12
	v_mfma_f32_16x16x16_f16 v[48:51], v[60:61], v[10:11], v[62:65]
	ds_read2_b64 v[58:61], v28 offset0:232 offset1:236
	v_mfma_f32_16x16x16_f16 v[8:11], v[104:105], v[10:11], v[106:109]
	s_nop 0
	ds_read2_b64 v[62:65], v29 offset0:200 offset1:204
	ds_read2_b64 v[102:105], v33 offset0:168 offset1:172
	s_waitcnt lgkmcnt(3)
	v_mfma_f32_16x16x16_f16 v[34:37], v[52:53], v[4:5], v[34:37]
	s_waitcnt lgkmcnt(2)
	v_mfma_f32_16x16x16_f16 v[40:43], v[58:59], v[4:5], v[40:43]
	;; [unrolled: 2-line block ×4, first 2 shown]
	v_mfma_f32_16x16x16_f16 v[34:37], v[54:55], v[6:7], v[34:37]
	ds_read2_b64 v[52:55], v31 offset0:16 offset1:20
	v_mfma_f32_16x16x16_f16 v[40:43], v[60:61], v[6:7], v[40:43]
	ds_read2_b64 v[58:61], v28 offset0:240 offset1:244
	v_lshlrev_b32_e32 v28, 1, v99
	v_and_b32_e32 v28, 0x1f8, v28
	v_mfma_f32_16x16x16_f16 v[48:51], v[64:65], v[6:7], v[48:51]
	ds_read2_b64 v[62:65], v33 offset0:176 offset1:180
	v_mfma_f32_16x16x16_f16 v[4:7], v[104:105], v[6:7], v[8:11]
	s_nop 2
	ds_read2_b64 v[8:11], v29 offset0:208 offset1:212
	s_waitcnt lgkmcnt(3)
	v_mfma_f32_16x16x16_f16 v[34:37], v[52:53], v[0:1], v[34:37]
	v_mul_lo_u32 v29, v44, s0
	v_add_u32_e32 v29, 0, v29
	v_add_u32_e32 v33, v29, v28
	s_waitcnt lgkmcnt(2)
	v_mfma_f32_16x16x16_f16 v[40:43], v[58:59], v[0:1], v[40:43]
	v_add_u32_e32 v46, v29, v100
	v_add_u32_e32 v56, 0x3c60, v33
	ds_read_b64 v[28:29], v31 offset:192
	ds_read_b64 v[44:45], v31 offset:4032
	;; [unrolled: 1-line block ×4, first 2 shown]
	s_waitcnt lgkmcnt(4)
	v_mfma_f32_16x16x16_f16 v[48:51], v[8:9], v[0:1], v[48:51]
	v_add_u32_e32 v8, 0x3c20, v33
	v_add_u32_e32 v9, 0x3c40, v33
	s_waitcnt lgkmcnt(0)
	v_mfma_f32_16x16x16_f16 v[4:7], v[62:63], v[0:1], v[4:7]
	s_barrier
	v_mfma_f32_16x16x16_f16 v[34:37], v[54:55], v[2:3], v[34:37]
	v_mfma_f32_16x16x16_f16 v[40:43], v[60:61], v[2:3], v[40:43]
	ds_read_b32 v0, v33 offset:15360
	ds_read_b32 v1, v46 offset:15360
	ds_read2_b32 v[54:55], v8 offset1:1
	ds_read2_b32 v[60:61], v9 offset1:1
	;; [unrolled: 1-line block ×3, first 2 shown]
	s_waitcnt lgkmcnt(4)
	v_cvt_f32_f16_e32 v31, v0
	v_cvt_f32_f16_sdwa v46, v0 dst_sel:DWORD dst_unused:UNUSED_PAD src0_sel:WORD_1
	v_mfma_f32_16x16x16_f16 v[8:11], v[10:11], v[2:3], v[48:51]
	s_waitcnt lgkmcnt(3)
	v_cvt_f32_f16_e32 v56, v1
	v_cvt_f32_f16_sdwa v98, v1 dst_sel:DWORD dst_unused:UNUSED_PAD src0_sel:WORD_1
	v_mfma_f32_16x16x16_f16 v[0:3], v[64:65], v[2:3], v[4:7]
	s_waitcnt lgkmcnt(2)
	v_cvt_f32_f16_e32 v64, v54
	v_cvt_f32_f16_sdwa v54, v54 dst_sel:DWORD dst_unused:UNUSED_PAD src0_sel:WORD_1
	v_cvt_f32_f16_e32 v65, v55
	v_mfma_f32_16x16x16_f16 v[4:7], v[28:29], v[24:25], v[34:37]
	v_cvt_f32_f16_sdwa v28, v55 dst_sel:DWORD dst_unused:UNUSED_PAD src0_sel:WORD_1
	s_waitcnt lgkmcnt(1)
	v_cvt_f32_f16_e32 v29, v60
	v_cvt_f32_f16_sdwa v55, v60 dst_sel:DWORD dst_unused:UNUSED_PAD src0_sel:WORD_1
	v_mfma_f32_16x16x16_f16 v[34:37], v[44:45], v[24:25], v[40:43]
	v_cvt_f32_f16_e32 v44, v61
	s_nop 1
	v_add_f32_e32 v33, v4, v31
	v_add_f32_e32 v4, v5, v46
	v_mfma_f32_16x16x16_f16 v[40:43], v[52:53], v[24:25], v[8:11]
	v_cvt_f32_f16_sdwa v45, v61 dst_sel:DWORD dst_unused:UNUSED_PAD src0_sel:WORD_1
	v_add_f32_e32 v31, v6, v56
	s_waitcnt lgkmcnt(0)
	v_cvt_f32_f16_e32 v60, v62
	v_mfma_f32_16x16x16_f16 v[48:51], v[58:59], v[24:25], v[0:3]
	v_add_f32_e32 v25, v7, v98
	v_add_f32_e32 v9, v37, v28
	s_nop 0
	v_add_f32_e32 v8, v40, v29
	v_add_f32_e32 v28, 0x40051340, v33
	;; [unrolled: 1-line block ×3, first 2 shown]
	v_cvt_f32_f16_sdwa v52, v62 dst_sel:DWORD dst_unused:UNUSED_PAD src0_sel:WORD_1
	v_add_f32_e32 v24, v34, v64
	v_add_f32_e32 v11, v35, v54
	v_max3_f32 v28, v97, v28, v29
	v_add_f32_e32 v29, 0x40051340, v31
	v_add_f32_e32 v34, 0x40051340, v25
	v_cvt_f32_f16_e32 v53, v63
	v_cvt_f32_f16_sdwa v61, v63 dst_sel:DWORD dst_unused:UNUSED_PAD src0_sel:WORD_1
	v_add_f32_e32 v10, v36, v65
	v_max3_f32 v28, v28, v29, v34
	v_add_f32_e32 v29, 0x40051340, v24
	v_add_f32_e32 v34, 0x40051340, v11
	v_add_f32_e32 v7, v41, v55
	v_max3_f32 v28, v28, v29, v34
	v_add_f32_e32 v29, 0x40051340, v10
	v_add_f32_e32 v34, 0x40051340, v9
	v_add_f32_e32 v6, v42, v44
	v_add_f32_e32 v5, v43, v45
	v_max3_f32 v28, v28, v29, v34
	v_add_f32_e32 v29, 0x40051340, v8
	;; [unrolled: 5-line block ×4, first 2 shown]
	v_add_f32_e32 v34, 0x40051340, v2
	v_max3_f32 v28, v28, v29, v34
	v_add_f32_e32 v29, 0x40051340, v1
	v_add_f32_e32 v34, 0x40051340, v0
	v_max3_f32 v28, v28, v29, v34
	v_mbcnt_hi_u32_b32 v34, -1, v47
	v_and_b32_e32 v29, 64, v34
	v_add_u32_e32 v35, 64, v29
	v_xor_b32_e32 v29, 32, v34
	v_cmp_lt_i32_e64 s[0:1], v29, v35
	s_nop 1
	v_cndmask_b32_e64 v29, v34, v29, s[0:1]
	v_lshlrev_b32_e32 v29, 2, v29
	ds_bpermute_b32 v36, v29, v28
	s_waitcnt lgkmcnt(0)
	v_max_f32_e32 v36, v36, v36
	v_max_f32_e32 v28, v28, v36
	v_xor_b32_e32 v36, 16, v34
	v_cmp_lt_i32_e64 s[0:1], v36, v35
	s_nop 1
	v_cndmask_b32_e64 v34, v34, v36, s[0:1]
	v_lshlrev_b32_e32 v34, 2, v34
	ds_bpermute_b32 v35, v34, v28
	s_mul_hi_i32 s1, s8, s30
	s_mul_i32 s0, s8, s30
	s_lshl_b64 s[0:1], s[0:1], 2
	s_add_u32 s0, s2, s0
	s_addc_u32 s1, s3, s1
	s_and_saveexec_b64 s[4:5], vcc
	s_cbranch_execz .LBB19_376
; %bb.375:
	v_mul_lo_u32 v36, v96, s30
	v_ashrrev_i32_e32 v37, 31, v36
	v_lshl_add_u64 v[36:37], v[36:37], 2, s[0:1]
	v_lshl_add_u64 v[36:37], v[26:27], 2, v[36:37]
	global_load_dwordx4 v[40:43], v[36:37], off
	v_lshlrev_b32_e32 v26, 2, v26
	v_add3_u32 v26, 0, v32, v26
	s_waitcnt vmcnt(0)
	ds_write_b128 v26, v[40:43]
.LBB19_376:
	s_or_b64 exec, exec, s[4:5]
	s_waitcnt lgkmcnt(0)
	v_max_f32_e32 v26, v35, v35
	v_max_f32_e32 v27, v28, v28
	;; [unrolled: 1-line block ×3, first 2 shown]
	v_sub_f32_e32 v26, v33, v28
	s_mov_b32 s4, 0x3fb8aa3b
	v_mul_f32_e32 v27, 0x3fb8aa3b, v26
	v_fma_f32 v32, v26, s4, -v27
	v_rndne_f32_e32 v33, v27
	v_fmac_f32_e32 v32, 0x32a5705f, v26
	v_sub_f32_e32 v27, v27, v33
	v_add_f32_e32 v27, v27, v32
	v_exp_f32_e32 v27, v27
	v_cvt_i32_f32_e32 v32, v33
	s_mov_b32 s3, 0xc2ce8ed0
	v_cmp_ngt_f32_e32 vcc, s3, v26
	s_mov_b32 s2, 0x42b17218
	v_ldexp_f32 v27, v27, v32
	v_sub_f32_e32 v32, v4, v28
	v_mul_f32_e32 v4, 0x3fb8aa3b, v32
	v_fma_f32 v33, v32, s4, -v4
	v_rndne_f32_e32 v35, v4
	v_fmac_f32_e32 v33, 0x32a5705f, v32
	v_sub_f32_e32 v4, v4, v35
	v_add_f32_e32 v4, v4, v33
	v_exp_f32_e32 v33, v4
	v_cvt_i32_f32_e32 v36, v35
	v_cndmask_b32_e32 v27, 0, v27, vcc
	v_mov_b32_e32 v4, 0x7f800000
	v_cmp_nlt_f32_e32 vcc, s2, v26
	v_ldexp_f32 v26, v33, v36
	v_sub_f32_e32 v25, v25, v28
	v_cndmask_b32_e32 v35, v4, v27, vcc
	v_sub_f32_e32 v27, v31, v28
	v_mul_f32_e32 v31, 0x3fb8aa3b, v27
	v_fma_f32 v33, v27, s4, -v31
	v_rndne_f32_e32 v36, v31
	v_fmac_f32_e32 v33, 0x32a5705f, v27
	v_sub_f32_e32 v31, v31, v36
	v_add_f32_e32 v31, v31, v33
	v_exp_f32_e32 v31, v31
	v_cvt_i32_f32_e32 v33, v36
	v_cmp_ngt_f32_e32 vcc, s3, v32
	v_sub_f32_e32 v24, v24, v28
	v_sub_f32_e32 v11, v11, v28
	v_cndmask_b32_e32 v26, 0, v26, vcc
	v_cmp_nlt_f32_e32 vcc, s2, v32
	v_sub_f32_e32 v10, v10, v28
	v_sub_f32_e32 v9, v9, v28
	v_cndmask_b32_e32 v36, v4, v26, vcc
	v_ldexp_f32 v26, v31, v33
	v_mul_f32_e32 v31, 0x3fb8aa3b, v25
	v_fma_f32 v32, v25, s4, -v31
	v_rndne_f32_e32 v33, v31
	v_fmac_f32_e32 v32, 0x32a5705f, v25
	v_sub_f32_e32 v31, v31, v33
	v_add_f32_e32 v31, v31, v32
	v_exp_f32_e32 v31, v31
	v_cvt_i32_f32_e32 v32, v33
	v_cmp_ngt_f32_e32 vcc, s3, v27
	v_sub_f32_e32 v8, v8, v28
	v_sub_f32_e32 v7, v7, v28
	v_cndmask_b32_e32 v26, 0, v26, vcc
	v_cmp_nlt_f32_e32 vcc, s2, v27
	v_mul_f32_e32 v27, 0x3fb8aa3b, v24
	v_sub_f32_e32 v6, v6, v28
	v_cndmask_b32_e32 v37, v4, v26, vcc
	v_ldexp_f32 v26, v31, v32
	v_fma_f32 v31, v24, s4, -v27
	v_rndne_f32_e32 v32, v27
	v_fmac_f32_e32 v31, 0x32a5705f, v24
	v_sub_f32_e32 v27, v27, v32
	v_add_f32_e32 v27, v27, v31
	v_exp_f32_e32 v27, v27
	v_cvt_i32_f32_e32 v31, v32
	v_cmp_ngt_f32_e32 vcc, s3, v25
	v_sub_f32_e32 v5, v5, v28
	v_sub_f32_e32 v3, v3, v28
	v_cndmask_b32_e32 v26, 0, v26, vcc
	v_cmp_nlt_f32_e32 vcc, s2, v25
	v_ldexp_f32 v25, v27, v31
	v_sub_f32_e32 v2, v2, v28
	v_cndmask_b32_e32 v40, v4, v26, vcc
	v_mul_f32_e32 v26, 0x3fb8aa3b, v11
	v_fma_f32 v27, v11, s4, -v26
	v_rndne_f32_e32 v31, v26
	v_fmac_f32_e32 v27, 0x32a5705f, v11
	v_sub_f32_e32 v26, v26, v31
	v_add_f32_e32 v26, v26, v27
	v_exp_f32_e32 v26, v26
	v_cvt_i32_f32_e32 v27, v31
	v_cmp_ngt_f32_e32 vcc, s3, v24
	v_sub_f32_e32 v1, v1, v28
	s_nop 0
	v_cndmask_b32_e32 v25, 0, v25, vcc
	v_cmp_nlt_f32_e32 vcc, s2, v24
	v_ldexp_f32 v24, v26, v27
	s_nop 0
	v_cndmask_b32_e32 v41, v4, v25, vcc
	v_mul_f32_e32 v25, 0x3fb8aa3b, v10
	v_fma_f32 v26, v10, s4, -v25
	v_rndne_f32_e32 v27, v25
	v_fmac_f32_e32 v26, 0x32a5705f, v10
	v_sub_f32_e32 v25, v25, v27
	v_add_f32_e32 v25, v25, v26
	v_exp_f32_e32 v25, v25
	v_cvt_i32_f32_e32 v26, v27
	v_cmp_ngt_f32_e32 vcc, s3, v11
	s_nop 1
	v_cndmask_b32_e32 v24, 0, v24, vcc
	v_cmp_nlt_f32_e32 vcc, s2, v11
	v_ldexp_f32 v11, v25, v26
	s_nop 0
	v_cndmask_b32_e32 v42, v4, v24, vcc
	v_mul_f32_e32 v24, 0x3fb8aa3b, v9
	v_fma_f32 v25, v9, s4, -v24
	v_rndne_f32_e32 v26, v24
	v_fmac_f32_e32 v25, 0x32a5705f, v9
	v_sub_f32_e32 v24, v24, v26
	v_add_f32_e32 v24, v24, v25
	v_exp_f32_e32 v24, v24
	v_cvt_i32_f32_e32 v25, v26
	v_cmp_ngt_f32_e32 vcc, s3, v10
	;; [unrolled: 15-line block ×6, first 2 shown]
	v_ldexp_f32 v31, v8, v9
	s_nop 0
	v_cndmask_b32_e32 v7, 0, v7, vcc
	v_cmp_nlt_f32_e32 vcc, s2, v6
	v_mul_f32_e32 v6, 0x3fb8aa3b, v3
	v_mul_lo_u32 v8, v95, s30
	v_rndne_f32_e32 v33, v6
	v_ashrrev_i32_e32 v9, 31, v8
	v_fma_f32 v32, v3, s4, -v6
	v_sub_f32_e32 v48, v6, v33
	v_mul_lo_u32 v6, v92, s30
	v_lshl_add_u64 v[8:9], v[8:9], 2, s[0:1]
	v_cndmask_b32_e32 v47, v4, v7, vcc
	v_ashrrev_i32_e32 v7, 31, v6
	v_lshl_add_u64 v[20:21], v[20:21], 2, v[8:9]
	v_lshl_add_u64 v[8:9], v[22:23], 2, s[0:1]
	;; [unrolled: 1-line block ×3, first 2 shown]
	global_load_dwordx4 v[8:11], v[20:21], off
	global_load_dwordx4 v[22:25], v[26:27], off
	v_lshl_add_u64 v[6:7], v[6:7], 2, s[0:1]
	v_lshl_add_u64 v[6:7], v[6:7], 0, v[12:13]
	global_load_dwordx4 v[58:61], v[6:7], off
	v_fmac_f32_e32 v32, 0x32a5705f, v3
	v_add_f32_e32 v6, v48, v32
	v_exp_f32_e32 v6, v6
	v_cvt_i32_f32_e32 v7, v33
	v_cmp_ngt_f32_e32 vcc, s3, v5
	s_mov_b32 s0, 0xc1a00000
	s_waitcnt vmcnt(2)
	ds_write_b128 v14, v[8:11]
	s_waitcnt vmcnt(1)
	ds_write_b128 v15, v[22:25]
	;; [unrolled: 2-line block ×3, first 2 shown]
	v_cndmask_b32_e32 v12, 0, v31, vcc
	v_cmp_nlt_f32_e32 vcc, s2, v5
	v_ldexp_f32 v5, v6, v7
	v_mul_f32_e32 v6, 0x3fb8aa3b, v2
	v_cndmask_b32_e32 v48, v4, v12, vcc
	v_fma_f32 v7, v2, s4, -v6
	v_rndne_f32_e32 v12, v6
	v_fmac_f32_e32 v7, 0x32a5705f, v2
	v_sub_f32_e32 v6, v6, v12
	v_add_f32_e32 v6, v6, v7
	v_exp_f32_e32 v6, v6
	v_cvt_i32_f32_e32 v7, v12
	v_cmp_ngt_f32_e32 vcc, s3, v3
	s_waitcnt lgkmcnt(0)
	s_barrier
	v_cndmask_b32_e32 v5, 0, v5, vcc
	v_cmp_nlt_f32_e32 vcc, s2, v3
	v_ldexp_f32 v3, v6, v7
	s_nop 0
	v_cndmask_b32_e32 v49, v4, v5, vcc
	v_mul_f32_e32 v5, 0x3fb8aa3b, v1
	v_fma_f32 v6, v1, s4, -v5
	v_rndne_f32_e32 v7, v5
	v_fmac_f32_e32 v6, 0x32a5705f, v1
	v_sub_f32_e32 v5, v5, v7
	v_add_f32_e32 v5, v5, v6
	v_cvt_i32_f32_e32 v6, v7
	v_sub_f32_e32 v7, v97, v28
	v_exp_f32_e32 v5, v5
	v_mul_f32_e32 v12, 0x3fb8aa3b, v7
	v_fma_f32 v13, v7, s4, -v12
	v_rndne_f32_e32 v20, v12
	v_fmac_f32_e32 v13, 0x32a5705f, v7
	v_sub_f32_e32 v12, v12, v20
	v_cmp_ngt_f32_e32 vcc, s3, v2
	v_add_f32_e32 v12, v12, v13
	v_exp_f32_e32 v12, v12
	v_cndmask_b32_e32 v3, 0, v3, vcc
	v_cmp_nlt_f32_e32 vcc, s2, v2
	v_ldexp_f32 v2, v5, v6
	v_sub_f32_e32 v6, v0, v28
	v_cvt_i32_f32_e32 v13, v20
	v_mul_f32_e32 v0, 0x3fb8aa3b, v6
	v_cndmask_b32_e32 v50, v4, v3, vcc
	v_fma_f32 v3, v6, s4, -v0
	v_rndne_f32_e32 v5, v0
	v_cmp_ngt_f32_e32 vcc, s3, v1
	v_fmac_f32_e32 v3, 0x32a5705f, v6
	v_sub_f32_e32 v0, v0, v5
	v_cndmask_b32_e32 v2, 0, v2, vcc
	v_add_f32_e32 v0, v0, v3
	v_cvt_i32_f32_e32 v3, v5
	v_ldexp_f32 v5, v12, v13
	v_cmp_ngt_f32_e32 vcc, s3, v7
	v_exp_f32_e32 v0, v0
	v_cvt_pk_f16_f32 v25, v37, v40
	v_cndmask_b32_e32 v5, 0, v5, vcc
	v_cmp_nlt_f32_e32 vcc, s2, v7
	v_cvt_pk_f16_f32 v24, v35, v36
	v_cvt_pk_f16_f32 v27, v43, v44
	v_cndmask_b32_e32 v5, v4, v5, vcc
	v_cmp_le_f32_e32 vcc, s0, v7
	v_ldexp_f32 v7, v0, v3
	v_or_b32_e32 v0, 3, v94
	v_cndmask_b32_e32 v51, 0, v5, vcc
	v_cvt_f16_f32_e32 v5, v51
	v_cmp_nlt_f32_e32 vcc, s2, v1
	v_mul_u32_u24_e32 v0, 0xf0, v0
	v_add3_u32 v22, 0, v0, v93
	v_cndmask_b32_e32 v52, v4, v2, vcc
	v_or_b32_e32 v2, 2, v94
	v_mul_u32_u24_e32 v20, 0x10001, v5
	v_mul_u32_u24_e32 v2, 0xf0, v2
	v_and_b32_e32 v5, 0xfc, v94
	v_mul_u32_u24_e32 v5, 0xf0, v5
	v_add3_u32 v12, 0, v2, v93
	v_pk_mul_f16 v1, v19, v20
	v_pk_mul_f16 v3, v18, v20
	v_add3_u32 v21, 0, v5, v93
	s_mov_b32 s0, 0x5040100
	ds_read_u16 v10, v12
	ds_read_u16 v5, v12 offset:32
	ds_read_u16 v8, v12 offset:3840
	;; [unrolled: 1-line block ×7, first 2 shown]
	ds_read_u16 v11, v22
	ds_read_u16 v18, v22 offset:32
	ds_read_u16 v19, v22 offset:64
	;; [unrolled: 1-line block ×4, first 2 shown]
	s_waitcnt lgkmcnt(4)
	v_perm_b32 v11, v11, v10, s0
	ds_read_u16 v10, v21 offset:240
	ds_read_u16 v14, v21
	ds_read_u16 v55, v21 offset:32
	ds_read_u16 v58, v21 offset:64
	;; [unrolled: 1-line block ×6, first 2 shown]
	s_waitcnt lgkmcnt(6)
	v_perm_b32 v10, v10, v14, s0
	v_cvt_f32_f16_e32 v0, v1
	v_cvt_f32_f16_sdwa v1, v1 dst_sel:DWORD dst_unused:UNUSED_PAD src0_sel:WORD_1
	v_cvt_f32_f16_e32 v2, v3
	v_cvt_f32_f16_sdwa v3, v3 dst_sel:DWORD dst_unused:UNUSED_PAD src0_sel:WORD_1
	v_cvt_pk_f16_f32 v26, v41, v42
	v_cmp_ngt_f32_e32 vcc, s3, v6
	v_mfma_f32_16x16x16_f16 v[0:3], v[10:11], v[24:25], v[0:3]
	ds_read_u16 v10, v21 offset:4080
	ds_read_u16 v11, v22 offset:3840
	;; [unrolled: 1-line block ×7, first 2 shown]
	s_waitcnt lgkmcnt(5)
	v_perm_b32 v11, v11, v8, s0
	v_cvt_f16_f32_e32 v0, v0
	v_cvt_f16_f32_e32 v1, v1
	;; [unrolled: 1-line block ×4, first 2 shown]
	ds_read_u16 v8, v21 offset:3840
	ds_read_u16 v95, v21 offset:272
	;; [unrolled: 1-line block ×11, first 2 shown]
	s_waitcnt lgkmcnt(10)
	v_perm_b32 v10, v10, v8, s0
	v_cvt_f32_f16_e32 v0, v0
	v_cvt_f32_f16_e32 v1, v1
	;; [unrolled: 1-line block ×4, first 2 shown]
	v_cndmask_b32_e32 v7, 0, v7, vcc
	v_cmp_nlt_f32_e32 vcc, s2, v6
	v_mfma_f32_16x16x16_f16 v[0:3], v[10:11], v[26:27], v[0:3]
	s_nop 0
	v_cndmask_b32_e32 v105, v4, v7, vcc
	ds_read_u16 v4, v12 offset:7680
	ds_read_u16 v8, v12 offset:7712
	;; [unrolled: 1-line block ×10, first 2 shown]
	s_waitcnt lgkmcnt(6)
	v_perm_b32 v7, v6, v4, s0
	v_cvt_f16_f32_e32 v0, v0
	v_cvt_f16_f32_e32 v1, v1
	;; [unrolled: 1-line block ×4, first 2 shown]
	ds_read_u16 v4, v21 offset:7680
	ds_read_u16 v113, v21 offset:7712
	;; [unrolled: 1-line block ×11, first 2 shown]
	s_waitcnt lgkmcnt(5)
	v_perm_b32 v6, v6, v4, s0
	v_cvt_f32_f16_e32 v0, v0
	v_cvt_f32_f16_e32 v1, v1
	;; [unrolled: 1-line block ×4, first 2 shown]
	v_cvt_pk_f16_f32 v31, v47, v48
	v_cvt_pk_f16_f32 v30, v45, v46
	v_pk_mul_f16 v4, v17, v20
	v_perm_b32 v5, v18, v5, s0
	v_mfma_f32_16x16x16_f16 v[0:3], v[6:7], v[30:31], v[0:3]
	ds_read_u16 v6, v12 offset:11520
	ds_read_u16 v122, v12 offset:11552
	ds_read_u16 v123, v12 offset:11584
	ds_read_u16 v124, v12 offset:7872
	ds_read_u16 v7, v22 offset:11520
	ds_read_u16 v125, v22 offset:11552
	ds_read_u16 v126, v22 offset:11584
	ds_read_u16 v127, v22 offset:11616
	ds_read_u16 v128, v22 offset:11648
	ds_read_u16 v129, v22 offset:11680
	ds_read_u16 v130, v22 offset:11712
	ds_read_u16 v131, v22 offset:7872
	s_waitcnt lgkmcnt(7)
	v_perm_b32 v7, v7, v6, s0
	ds_read_u16 v6, v21 offset:11520
	ds_read_u16 v132, v21 offset:11552
	;; [unrolled: 1-line block ×15, first 2 shown]
	v_cvt_f16_f32_e32 v0, v0
	v_cvt_f16_f32_e32 v1, v1
	;; [unrolled: 1-line block ×4, first 2 shown]
	s_waitcnt lgkmcnt(7)
	v_perm_b32 v6, v10, v6, s0
	v_pk_mul_f16 v10, v16, v20
	v_cvt_f32_f16_e32 v14, v4
	v_cvt_f32_f16_sdwa v15, v4 dst_sel:DWORD dst_unused:UNUSED_PAD src0_sel:WORD_1
	v_perm_b32 v4, v95, v55, s0
	v_cvt_f32_f16_e32 v0, v0
	v_cvt_f32_f16_e32 v1, v1
	;; [unrolled: 1-line block ×5, first 2 shown]
	v_cvt_f32_f16_sdwa v17, v10 dst_sel:DWORD dst_unused:UNUSED_PAD src0_sel:WORD_1
	v_cvt_pk_f16_f32 v33, v52, v105
	v_cvt_pk_f16_f32 v32, v49, v50
	ds_read_u16 v10, v12 offset:3872
	ds_read_u16 v18, v12 offset:3904
	;; [unrolled: 1-line block ×5, first 2 shown]
	v_mfma_f32_16x16x16_f16 v[0:3], v[6:7], v[32:33], v[0:3]
	s_waitcnt lgkmcnt(4)
	v_perm_b32 v11, v64, v10, s0
	v_perm_b32 v10, v102, v96, s0
	;; [unrolled: 1-line block ×3, first 2 shown]
	v_mfma_f32_16x16x16_f16 v[4:7], v[4:5], v[24:25], v[14:17]
	v_pk_mul_f16 v86, v86, v20
	v_pk_mul_f16 v84, v84, v20
	v_add_f32_e32 v35, v35, v36
	v_pk_mul_f16 v17, v90, v20
	v_add_f32_e32 v35, v37, v35
	s_nop 2
	v_cvt_f16_f32_e32 v4, v4
	v_cvt_f16_f32_e32 v5, v5
	;; [unrolled: 1-line block ×4, first 2 shown]
	v_cvt_f32_f16_e32 v4, v4
	v_cvt_f32_f16_e32 v5, v5
	;; [unrolled: 1-line block ×5, first 2 shown]
	v_cvt_f32_f16_sdwa v17, v17 dst_sel:DWORD dst_unused:UNUSED_PAD src0_sel:WORD_1
	v_mfma_f32_16x16x16_f16 v[4:7], v[10:11], v[26:27], v[4:7]
	v_perm_b32 v11, v107, v8, s0
	v_perm_b32 v10, v117, v113, s0
	v_pk_mul_f16 v8, v91, v20
	s_mov_b32 s1, 0
	s_nop 3
	v_cvt_f16_f32_e32 v4, v4
	v_cvt_f16_f32_e32 v5, v5
	v_cvt_f16_f32_e32 v6, v6
	v_cvt_f16_f32_e32 v7, v7
	v_cvt_f32_f16_e32 v4, v4
	v_cvt_f32_f16_e32 v5, v5
	;; [unrolled: 1-line block ×5, first 2 shown]
	v_cvt_f32_f16_sdwa v15, v8 dst_sel:DWORD dst_unused:UNUSED_PAD src0_sel:WORD_1
	v_mfma_f32_16x16x16_f16 v[4:7], v[10:11], v[30:31], v[4:7]
	v_perm_b32 v11, v125, v122, s0
	v_perm_b32 v10, v138, v132, s0
	;; [unrolled: 1-line block ×3, first 2 shown]
	ds_read_u16 v19, v21 offset:3904
	ds_read_u16 v58, v21 offset:3936
	;; [unrolled: 1-line block ×4, first 2 shown]
	s_nop 0
	v_cvt_f16_f32_e32 v4, v4
	v_cvt_f16_f32_e32 v5, v5
	;; [unrolled: 1-line block ×4, first 2 shown]
	v_cvt_f32_f16_e32 v4, v4
	v_cvt_f32_f16_e32 v5, v5
	;; [unrolled: 1-line block ×4, first 2 shown]
	s_movk_i32 s2, 0xf0
	v_cmp_gt_u32_e32 vcc, 16, v79
	v_mfma_f32_16x16x16_f16 v[4:7], v[10:11], v[32:33], v[4:7]
	v_mfma_f32_16x16x16_f16 v[8:11], v[8:9], v[24:25], v[14:17]
	s_waitcnt lgkmcnt(7)
	s_nop 1
	v_perm_b32 v15, v65, v18, s0
	s_waitcnt lgkmcnt(3)
	v_perm_b32 v14, v103, v19, s0
	s_nop 1
	v_cvt_f16_f32_e32 v8, v8
	v_cvt_f16_f32_e32 v9, v9
	;; [unrolled: 1-line block ×4, first 2 shown]
	v_cvt_f32_f16_e32 v8, v8
	v_cvt_f32_f16_e32 v9, v9
	;; [unrolled: 1-line block ×4, first 2 shown]
	ds_read_u16 v16, v12 offset:7744
	ds_read_u16 v65, v12 offset:7776
	ds_read_u16 v91, v12 offset:7808
	ds_read_u16 v96, v12 offset:7840
	v_mfma_f32_16x16x16_f16 v[8:11], v[14:15], v[26:27], v[8:11]
	s_waitcnt lgkmcnt(3)
	v_perm_b32 v15, v108, v16, s0
	v_perm_b32 v14, v118, v114, s0
	v_pk_mul_f16 v16, v89, v20
	s_nop 3
	v_cvt_f16_f32_e32 v8, v8
	v_cvt_f16_f32_e32 v9, v9
	;; [unrolled: 1-line block ×4, first 2 shown]
	v_cvt_f32_f16_e32 v8, v8
	v_cvt_f32_f16_e32 v9, v9
	;; [unrolled: 1-line block ×4, first 2 shown]
	v_pk_mul_f16 v17, v88, v20
	v_perm_b32 v19, v54, v13, s0
	v_mfma_f32_16x16x16_f16 v[8:11], v[14:15], v[30:31], v[8:11]
	v_perm_b32 v15, v126, v123, s0
	v_perm_b32 v14, v139, v133, s0
	;; [unrolled: 1-line block ×3, first 2 shown]
	ds_read_u16 v13, v21 offset:4176
	ds_read_u16 v59, v21 offset:4208
	;; [unrolled: 1-line block ×3, first 2 shown]
	s_nop 1
	v_cvt_f16_f32_e32 v8, v8
	v_cvt_f16_f32_e32 v9, v9
	;; [unrolled: 1-line block ×4, first 2 shown]
	v_cvt_f32_f16_e32 v8, v8
	v_cvt_f32_f16_e32 v9, v9
	;; [unrolled: 1-line block ×4, first 2 shown]
	s_nop 1
	v_mfma_f32_16x16x16_f16 v[8:11], v[14:15], v[32:33], v[8:11]
	v_cvt_f32_f16_e32 v14, v16
	v_cvt_f32_f16_sdwa v15, v16 dst_sel:DWORD dst_unused:UNUSED_PAD src0_sel:WORD_1
	v_cvt_f32_f16_e32 v16, v17
	v_cvt_f32_f16_sdwa v17, v17 dst_sel:DWORD dst_unused:UNUSED_PAD src0_sel:WORD_1
	s_nop 1
	v_mfma_f32_16x16x16_f16 v[14:17], v[18:19], v[24:25], v[14:17]
	v_perm_b32 v19, v92, v55, s0
	s_waitcnt lgkmcnt(2)
	v_perm_b32 v18, v13, v58, s0
	s_nop 4
	v_cvt_f16_f32_e32 v14, v14
	v_cvt_f16_f32_e32 v15, v15
	;; [unrolled: 1-line block ×4, first 2 shown]
	v_cvt_f32_f16_e32 v14, v14
	v_cvt_f32_f16_e32 v15, v15
	;; [unrolled: 1-line block ×4, first 2 shown]
	s_nop 1
	v_mfma_f32_16x16x16_f16 v[14:17], v[18:19], v[26:27], v[14:17]
	v_perm_b32 v19, v109, v65, s0
	v_perm_b32 v18, v119, v115, s0
	ds_read_u16 v54, v12 offset:11616
	ds_read_u16 v58, v12 offset:11648
	;; [unrolled: 1-line block ×3, first 2 shown]
	s_nop 2
	v_cvt_f16_f32_e32 v13, v14
	v_cvt_f16_f32_e32 v15, v15
	;; [unrolled: 1-line block ×4, first 2 shown]
	v_cvt_f32_f16_e32 v14, v13
	v_cvt_f32_f16_e32 v15, v15
	v_cvt_f32_f16_e32 v16, v16
	v_cvt_f32_f16_e32 v17, v17
	s_nop 1
	v_mfma_f32_16x16x16_f16 v[12:15], v[18:19], v[30:31], v[14:17]
	ds_read_u16 v19, v22 offset:128
	ds_read_u16 v89, v22 offset:160
	s_waitcnt lgkmcnt(4)
	v_perm_b32 v17, v127, v54, s0
	v_perm_b32 v16, v140, v134, s0
	s_nop 2
	v_cvt_f16_f32_e32 v12, v12
	v_cvt_f16_f32_e32 v13, v13
	v_cvt_f16_f32_e32 v14, v14
	v_cvt_f16_f32_e32 v15, v15
	v_cvt_f32_f16_e32 v12, v12
	v_cvt_f32_f16_e32 v13, v13
	;; [unrolled: 1-line block ×4, first 2 shown]
	v_pk_mul_f16 v18, v87, v20
	s_waitcnt lgkmcnt(1)
	v_perm_b32 v55, v19, v23, s0
	v_perm_b32 v54, v99, v60, s0
	v_mfma_f32_16x16x16_f16 v[12:15], v[16:17], v[32:33], v[12:15]
	v_cvt_f32_f16_e32 v16, v18
	v_cvt_f32_f16_sdwa v17, v18 dst_sel:DWORD dst_unused:UNUSED_PAD src0_sel:WORD_1
	v_cvt_f32_f16_e32 v18, v86
	v_cvt_f32_f16_sdwa v19, v86 dst_sel:DWORD dst_unused:UNUSED_PAD src0_sel:WORD_1
	v_cvt_f32_f16_e32 v60, v84
	s_nop 0
	v_mfma_f32_16x16x16_f16 v[16:19], v[54:55], v[24:25], v[16:19]
	v_perm_b32 v55, v93, v95, s0
	v_perm_b32 v54, v59, v64, s0
	ds_read_u16 v23, v21 offset:7808
	ds_read_u16 v64, v21 offset:7840
	s_nop 3
	v_cvt_f16_f32_e32 v16, v16
	v_cvt_f16_f32_e32 v17, v17
	;; [unrolled: 1-line block ×4, first 2 shown]
	v_cvt_f32_f16_e32 v16, v16
	v_cvt_f32_f16_e32 v17, v17
	;; [unrolled: 1-line block ×4, first 2 shown]
	ds_read_u16 v22, v22 offset:4000
	ds_read_u16 v21, v21 offset:8080
	v_mfma_f32_16x16x16_f16 v[16:19], v[54:55], v[26:27], v[16:19]
	v_perm_b32 v55, v110, v91, s0
	s_waitcnt lgkmcnt(3)
	v_perm_b32 v54, v120, v23, s0
	v_pk_mul_f16 v23, v85, v20
	s_nop 3
	v_cvt_f16_f32_e32 v16, v16
	v_cvt_f16_f32_e32 v17, v17
	;; [unrolled: 1-line block ×4, first 2 shown]
	v_cvt_f32_f16_e32 v16, v16
	v_cvt_f32_f16_e32 v17, v17
	;; [unrolled: 1-line block ×4, first 2 shown]
	v_cvt_f32_f16_sdwa v59, v23 dst_sel:DWORD dst_unused:UNUSED_PAD src0_sel:WORD_1
	s_waitcnt lgkmcnt(0)
	v_mfma_f32_16x16x16_f16 v[16:19], v[54:55], v[30:31], v[16:19]
	v_perm_b32 v55, v128, v58, s0
	v_perm_b32 v54, v141, v135, s0
	v_cvt_f32_f16_e32 v58, v23
	s_barrier
	s_nop 3
	v_cvt_f16_f32_e32 v16, v16
	v_cvt_f16_f32_e32 v17, v17
	;; [unrolled: 1-line block ×4, first 2 shown]
	v_cvt_f32_f16_e32 v16, v16
	v_cvt_f32_f16_e32 v17, v17
	;; [unrolled: 1-line block ×4, first 2 shown]
	s_nop 1
	v_mfma_f32_16x16x16_f16 v[16:19], v[54:55], v[32:33], v[16:19]
	v_perm_b32 v55, v89, v53, s0
	v_perm_b32 v54, v100, v61, s0
	v_cvt_f32_f16_sdwa v61, v84 dst_sel:DWORD dst_unused:UNUSED_PAD src0_sel:WORD_1
	s_barrier
	s_nop 0
	v_mfma_f32_16x16x16_f16 v[58:61], v[54:55], v[24:25], v[58:61]
	s_nop 7
	v_cvt_f16_f32_e32 v23, v58
	v_cvt_f16_f32_e32 v53, v59
	;; [unrolled: 1-line block ×4, first 2 shown]
	v_cvt_f32_f16_e32 v58, v23
	v_perm_b32 v23, v22, v145, s0
	v_perm_b32 v22, v88, v90, s0
	v_cvt_f32_f16_e32 v59, v53
	v_cvt_f32_f16_e32 v60, v54
	;; [unrolled: 1-line block ×3, first 2 shown]
	s_nop 1
	v_mfma_f32_16x16x16_f16 v[58:61], v[22:23], v[26:27], v[58:61]
	s_nop 7
	v_cvt_f16_f32_e32 v22, v58
	v_cvt_f16_f32_e32 v23, v59
	;; [unrolled: 1-line block ×4, first 2 shown]
	v_cvt_f32_f16_e32 v58, v22
	v_cvt_f32_f16_e32 v59, v23
	v_perm_b32 v23, v111, v96, s0
	v_perm_b32 v22, v21, v64, s0
	v_cvt_f32_f16_e32 v60, v36
	v_cvt_f32_f16_e32 v61, v37
	v_add_f32_e32 v21, v40, v35
	v_add_f32_e32 v21, v41, v21
	v_mfma_f32_16x16x16_f16 v[58:61], v[22:23], v[30:31], v[58:61]
	v_add_f32_e32 v21, v42, v21
	v_perm_b32 v37, v94, v56, s0
	s_nop 5
	v_cvt_f16_f32_e32 v36, v61
	v_cvt_f16_f32_e32 v35, v60
	;; [unrolled: 1-line block ×4, first 2 shown]
	v_cvt_f32_f16_e32 v61, v36
	v_pk_mul_f16 v36, v83, v20
	v_cvt_f32_f16_e32 v60, v35
	v_add_f32_e32 v35, v43, v21
	v_pk_mul_f16 v43, v82, v20
	v_cvt_f32_f16_e32 v40, v36
	v_cvt_f32_f16_sdwa v41, v36 dst_sel:DWORD dst_unused:UNUSED_PAD src0_sel:WORD_1
	v_perm_b32 v36, v101, v63, s0
	v_cvt_f32_f16_e32 v42, v43
	v_cvt_f32_f16_sdwa v43, v43 dst_sel:DWORD dst_unused:UNUSED_PAD src0_sel:WORD_1
	v_add_f32_e32 v35, v44, v35
	v_add_f32_e32 v35, v45, v35
	v_mfma_f32_16x16x16_f16 v[40:43], v[36:37], v[24:25], v[40:43]
	v_add_f32_e32 v35, v46, v35
	v_add_f32_e32 v35, v47, v35
	;; [unrolled: 1-line block ×4, first 2 shown]
	s_nop 3
	v_cvt_f16_f32_e32 v24, v40
	v_cvt_f16_f32_e32 v25, v41
	;; [unrolled: 1-line block ×4, first 2 shown]
	v_cvt_f32_f16_e32 v40, v24
	v_cvt_f32_f16_e32 v41, v25
	v_perm_b32 v25, v112, v106, s0
	v_perm_b32 v24, v116, v104, s0
	v_cvt_f32_f16_e32 v42, v36
	v_cvt_f32_f16_e32 v43, v37
	v_perm_b32 v37, v131, v124, s0
	v_perm_b32 v36, v137, v121, s0
	v_mfma_f32_16x16x16_f16 v[24:27], v[24:25], v[26:27], v[40:43]
	v_add_f32_e32 v35, v50, v35
	v_add_f32_e32 v35, v52, v35
	v_add_f32_e32 v35, v105, v35
	v_fmac_f32_e32 v35, v57, v51
	s_nop 3
	v_cvt_f16_f32_e32 v24, v24
	v_cvt_f16_f32_e32 v25, v25
	;; [unrolled: 1-line block ×4, first 2 shown]
	v_cvt_f32_f16_e32 v24, v24
	v_cvt_f32_f16_e32 v25, v25
	;; [unrolled: 1-line block ×4, first 2 shown]
	ds_bpermute_b32 v29, v29, v35
	v_cvt_f32_f16_e32 v58, v22
	v_mfma_f32_16x16x16_f16 v[24:27], v[36:37], v[30:31], v[24:27]
	v_perm_b32 v31, v130, v62, s0
	v_perm_b32 v30, v143, v144, s0
	v_cvt_f32_f16_e32 v59, v23
	v_perm_b32 v23, v129, v65, s0
	s_nop 3
	v_cvt_f16_f32_e32 v24, v24
	v_cvt_f16_f32_e32 v25, v25
	;; [unrolled: 1-line block ×4, first 2 shown]
	v_perm_b32 v22, v142, v136, s0
	v_cvt_f32_f16_e32 v24, v24
	v_cvt_f32_f16_e32 v25, v25
	;; [unrolled: 1-line block ×4, first 2 shown]
	s_waitcnt lgkmcnt(0)
	v_add_f32_e32 v29, v35, v29
	v_mfma_f32_16x16x16_f16 v[20:23], v[22:23], v[32:33], v[58:61]
	v_mfma_f32_16x16x16_f16 v[24:27], v[30:31], v[32:33], v[24:27]
	ds_bpermute_b32 v30, v34, v29
	s_and_saveexec_b64 s[4:5], vcc
	s_cbranch_execz .LBB19_378
; %bb.377:
	v_readlane_b32 s0, v250, 4
	s_add_i32 s0, s0, s19
	s_lshl_b32 s0, s0, 6
	s_lshl_b64 s[6:7], s[0:1], 3
	s_add_u32 s6, s26, s6
	s_addc_u32 s7, s27, s7
	v_or_b32_e32 v32, v81, v79
	v_mov_b32_e32 v33, 0
	v_lshl_add_u64 v[32:33], v[32:33], 3, s[6:7]
	s_waitcnt lgkmcnt(0)
	v_add_f32_e32 v29, v29, v30
	global_store_dwordx2 v[32:33], v[28:29], off
.LBB19_378:
	s_or_b64 exec, exec, s[4:5]
	s_load_dword s0, s[22:23], 0x0
	s_load_dword s3, s[22:23], 0x10
	v_cvt_pk_f16_f32 v0, v0, v1
	v_cvt_pk_f16_f32 v1, v6, v7
	v_cvt_pk_f16_f32 v6, v14, v15
	v_or_b32_e32 v14, v81, v70
	s_waitcnt lgkmcnt(0)
	s_lshr_b32 s3, s3, 16
	s_cmp_lg_u32 s3, 0
	s_cselect_b64 s[4:5], -1, 0
	s_cmp_lg_u64 s[4:5], 0
	s_addc_u32 s0, s0, 0
	v_mul_i32_i24_e32 v14, 0xf0, v14
	s_lshl_b32 s0, s0, 7
	v_cvt_pk_f16_f32 v2, v2, v3
	v_add3_u32 v14, 0, v14, v80
	s_lshl_b64 s[4:5], s[0:1], 3
	v_cvt_pk_f16_f32 v3, v4, v5
	v_cvt_pk_f16_f32 v4, v10, v11
	;; [unrolled: 1-line block ×10, first 2 shown]
	s_add_u32 s3, s26, s4
	s_mul_i32 s0, s19, 0xe00
	ds_write2_b32 v14, v0, v2 offset1:1
	ds_write2_b32 v14, v3, v1 offset0:8 offset1:9
	ds_write2_b32 v14, v5, v4 offset0:16 offset1:17
	;; [unrolled: 1-line block ×6, first 2 shown]
	v_mad_u32_u24 v2, v39, s2, v66
	s_addc_u32 s4, s27, s5
	s_lshl_b64 s[0:1], s[0:1], 3
	v_add_u32_e32 v6, 0x80, v2
	s_add_u32 s0, s3, s0
	s_waitcnt lgkmcnt(0)
	s_barrier
	ds_read2st64_b32 v[0:1], v6 offset0:7 offset1:22
	v_and_b32_e32 v3, 15, v39
	s_movk_i32 s3, 0x1ff0
	v_and_or_b32 v4, v67, s3, v3
	v_and_or_b32 v5, v68, s3, v3
	;; [unrolled: 1-line block ×3, first 2 shown]
	v_and_b32_e32 v8, 15, v69
	s_movk_i32 s3, 0x3ff0
	v_and_or_b32 v9, v73, s3, v8
	v_and_or_b32 v10, v76, s3, v8
	;; [unrolled: 1-line block ×3, first 2 shown]
	v_mad_u32_u24 v3, v3, s2, v66
	v_mad_u32_u24 v7, v69, s2, v72
	;; [unrolled: 1-line block ×7, first 2 shown]
	ds_read_b32 v11, v2
	ds_read_b32 v12, v4
	;; [unrolled: 1-line block ×4, first 2 shown]
	ds_read_b32 v7, v7 offset:128
	ds_read_b32 v9, v9 offset:128
	;; [unrolled: 1-line block ×4, first 2 shown]
	s_waitcnt lgkmcnt(7)
	v_cvt_f32_f16_e32 v2, v11
	v_cvt_f32_f16_sdwa v3, v11 dst_sel:DWORD dst_unused:UNUSED_PAD src0_sel:WORD_1
	v_cvt_f32_f16_e32 v4, v0
	v_cvt_f32_f16_sdwa v5, v0 dst_sel:DWORD dst_unused:UNUSED_PAD src0_sel:WORD_1
	v_mul_u32_u24_e32 v11, 56, v39
	s_addc_u32 s1, s4, s1
	v_pk_add_f32 v[2:3], v[2:3], 0 op_sel_hi:[1,0]
	v_add_lshl_u32 v11, v11, v38, 3
	global_store_dwordx2 v11, v[2:3], s[0:1]
	v_pk_add_f32 v[2:3], v[4:5], 0 op_sel_hi:[1,0]
	global_store_dwordx2 v11, v[2:3], s[0:1] offset:3584
	s_waitcnt lgkmcnt(6)
	v_cvt_f32_f16_e32 v2, v12
	v_cvt_f32_f16_sdwa v3, v12 dst_sel:DWORD dst_unused:UNUSED_PAD src0_sel:WORD_1
	v_add_u32_e32 v4, 0x1c00, v11
	v_cvt_f32_f16_e32 v0, v1
	v_cvt_f32_f16_sdwa v1, v1 dst_sel:DWORD dst_unused:UNUSED_PAD src0_sel:WORD_1
	v_pk_add_f32 v[2:3], v[2:3], 0 op_sel_hi:[1,0]
	global_store_dwordx2 v4, v[2:3], s[0:1]
	ds_read2st64_b32 v[2:3], v6 offset0:37 offset1:52
	v_add_u32_e32 v4, 0x2a00, v11
	v_pk_add_f32 v[0:1], v[0:1], 0 op_sel_hi:[1,0]
	global_store_dwordx2 v4, v[0:1], s[0:1]
	s_waitcnt lgkmcnt(6)
	v_cvt_f32_f16_e32 v0, v13
	v_cvt_f32_f16_sdwa v1, v13 dst_sel:DWORD dst_unused:UNUSED_PAD src0_sel:WORD_1
	s_waitcnt lgkmcnt(0)
	v_cvt_f32_f16_e32 v4, v2
	v_cvt_f32_f16_sdwa v5, v2 dst_sel:DWORD dst_unused:UNUSED_PAD src0_sel:WORD_1
	v_add_u32_e32 v6, 0x3800, v11
	v_pk_add_f32 v[0:1], v[0:1], 0 op_sel_hi:[1,0]
	global_store_dwordx2 v6, v[0:1], s[0:1]
	v_add_u32_e32 v2, 0x4600, v11
	v_pk_add_f32 v[0:1], v[4:5], 0 op_sel_hi:[1,0]
	global_store_dwordx2 v2, v[0:1], s[0:1]
	v_cvt_f32_f16_e32 v0, v14
	v_cvt_f32_f16_sdwa v1, v14 dst_sel:DWORD dst_unused:UNUSED_PAD src0_sel:WORD_1
	v_cvt_f32_f16_e32 v2, v3
	v_cvt_f32_f16_sdwa v3, v3 dst_sel:DWORD dst_unused:UNUSED_PAD src0_sel:WORD_1
	v_add_u32_e32 v4, 0x5400, v11
	v_pk_add_f32 v[0:1], v[0:1], 0 op_sel_hi:[1,0]
	global_store_dwordx2 v4, v[0:1], s[0:1]
	v_add_u32_e32 v4, 0x6200, v11
	v_pk_add_f32 v[0:1], v[2:3], 0 op_sel_hi:[1,0]
	global_store_dwordx2 v4, v[0:1], s[0:1]
	v_cvt_f32_f16_e32 v0, v7
	v_cvt_f32_f16_sdwa v1, v7 dst_sel:DWORD dst_unused:UNUSED_PAD src0_sel:WORD_1
	v_mad_u32_u24 v2, v69, 56, v70
	v_mov_b32_e32 v3, 0
	v_lshl_add_u64 v[4:5], v[2:3], 3, s[0:1]
	v_pk_add_f32 v[0:1], v[0:1], 0 op_sel_hi:[1,0]
	global_store_dwordx2 v[4:5], v[0:1], off offset:256
	v_cvt_f32_f16_e32 v0, v9
	v_cvt_f32_f16_sdwa v1, v9 dst_sel:DWORD dst_unused:UNUSED_PAD src0_sel:WORD_1
	v_add_u32_e32 v4, 0x380, v2
	v_mov_b32_e32 v5, v3
	v_lshl_add_u64 v[4:5], v[4:5], 3, s[0:1]
	v_pk_add_f32 v[0:1], v[0:1], 0 op_sel_hi:[1,0]
	global_store_dwordx2 v[4:5], v[0:1], off offset:256
	v_cvt_f32_f16_e32 v0, v10
	v_cvt_f32_f16_sdwa v1, v10 dst_sel:DWORD dst_unused:UNUSED_PAD src0_sel:WORD_1
	v_add_u32_e32 v4, 0x700, v2
	v_mov_b32_e32 v5, v3
	v_lshl_add_u64 v[4:5], v[4:5], 3, s[0:1]
	v_pk_add_f32 v[0:1], v[0:1], 0 op_sel_hi:[1,0]
	global_store_dwordx2 v[4:5], v[0:1], off offset:256
	v_mad_u32_u24 v4, v74, s2, v78
	v_add_u32_e32 v4, 0xc0, v4
	v_cvt_f32_f16_e32 v0, v8
	v_cvt_f32_f16_sdwa v1, v8 dst_sel:DWORD dst_unused:UNUSED_PAD src0_sel:WORD_1
	ds_read2st64_b32 v[4:5], v4 offset1:30
	v_add_u32_e32 v2, 0xa80, v2
	v_lshl_add_u64 v[6:7], v[2:3], 3, s[0:1]
	v_pk_add_f32 v[0:1], v[0:1], 0 op_sel_hi:[1,0]
	global_store_dwordx2 v[6:7], v[0:1], off offset:256
	s_waitcnt lgkmcnt(0)
	v_cvt_f32_f16_e32 v0, v4
	v_cvt_f32_f16_sdwa v1, v4 dst_sel:DWORD dst_unused:UNUSED_PAD src0_sel:WORD_1
	v_cvt_f32_f16_e32 v4, v5
	v_cvt_f32_f16_sdwa v5, v5 dst_sel:DWORD dst_unused:UNUSED_PAD src0_sel:WORD_1
	v_mul_u32_u24_e32 v2, 56, v74
	v_or_b32_e32 v2, v2, v75
	v_lshl_add_u64 v[6:7], v[2:3], 3, s[0:1]
	v_pk_add_f32 v[0:1], v[0:1], 0 op_sel_hi:[1,0]
	v_add_u32_e32 v2, 0x700, v2
	global_store_dwordx2 v[6:7], v[0:1], off offset:384
	v_lshl_add_u64 v[0:1], v[2:3], 3, s[0:1]
	v_pk_add_f32 v[2:3], v[4:5], 0 op_sel_hi:[1,0]
	global_store_dwordx2 v[0:1], v[2:3], off offset:384
	s_endpgm
	.section	.rodata,"a",@progbits
	.p2align	6, 0x0
	.amdhsa_kernel _ZL18flash_attn_ext_f16ILi112ELi112ELi16ELi4ELb0ELb0EEvPKcS1_S1_S1_S1_PKiPfP15HIP_vector_typeIfLj2EEffffjfiS5_IjLj3EEiiiiiiiiiiiliiliiiiil
		.amdhsa_group_segment_fixed_size 0
		.amdhsa_private_segment_fixed_size 0
		.amdhsa_kernarg_size 464
		.amdhsa_user_sgpr_count 2
		.amdhsa_user_sgpr_dispatch_ptr 0
		.amdhsa_user_sgpr_queue_ptr 0
		.amdhsa_user_sgpr_kernarg_segment_ptr 1
		.amdhsa_user_sgpr_dispatch_id 0
		.amdhsa_user_sgpr_kernarg_preload_length 0
		.amdhsa_user_sgpr_kernarg_preload_offset 0
		.amdhsa_user_sgpr_private_segment_size 0
		.amdhsa_uses_dynamic_stack 0
		.amdhsa_enable_private_segment 0
		.amdhsa_system_sgpr_workgroup_id_x 1
		.amdhsa_system_sgpr_workgroup_id_y 0
		.amdhsa_system_sgpr_workgroup_id_z 0
		.amdhsa_system_sgpr_workgroup_info 0
		.amdhsa_system_vgpr_workitem_id 1
		.amdhsa_next_free_vgpr 251
		.amdhsa_next_free_sgpr 100
		.amdhsa_accum_offset 252
		.amdhsa_reserve_vcc 1
		.amdhsa_float_round_mode_32 0
		.amdhsa_float_round_mode_16_64 0
		.amdhsa_float_denorm_mode_32 3
		.amdhsa_float_denorm_mode_16_64 3
		.amdhsa_dx10_clamp 1
		.amdhsa_ieee_mode 1
		.amdhsa_fp16_overflow 0
		.amdhsa_tg_split 0
		.amdhsa_exception_fp_ieee_invalid_op 0
		.amdhsa_exception_fp_denorm_src 0
		.amdhsa_exception_fp_ieee_div_zero 0
		.amdhsa_exception_fp_ieee_overflow 0
		.amdhsa_exception_fp_ieee_underflow 0
		.amdhsa_exception_fp_ieee_inexact 0
		.amdhsa_exception_int_div_zero 0
	.end_amdhsa_kernel
	.section	.text._ZL18flash_attn_ext_f16ILi112ELi112ELi16ELi4ELb0ELb0EEvPKcS1_S1_S1_S1_PKiPfP15HIP_vector_typeIfLj2EEffffjfiS5_IjLj3EEiiiiiiiiiiiliiliiiiil,"axG",@progbits,_ZL18flash_attn_ext_f16ILi112ELi112ELi16ELi4ELb0ELb0EEvPKcS1_S1_S1_S1_PKiPfP15HIP_vector_typeIfLj2EEffffjfiS5_IjLj3EEiiiiiiiiiiiliiliiiiil,comdat
.Lfunc_end19:
	.size	_ZL18flash_attn_ext_f16ILi112ELi112ELi16ELi4ELb0ELb0EEvPKcS1_S1_S1_S1_PKiPfP15HIP_vector_typeIfLj2EEffffjfiS5_IjLj3EEiiiiiiiiiiiliiliiiiil, .Lfunc_end19-_ZL18flash_attn_ext_f16ILi112ELi112ELi16ELi4ELb0ELb0EEvPKcS1_S1_S1_S1_PKiPfP15HIP_vector_typeIfLj2EEffffjfiS5_IjLj3EEiiiiiiiiiiiliiliiiiil
                                        ; -- End function
	.set _ZL18flash_attn_ext_f16ILi112ELi112ELi16ELi4ELb0ELb0EEvPKcS1_S1_S1_S1_PKiPfP15HIP_vector_typeIfLj2EEffffjfiS5_IjLj3EEiiiiiiiiiiiliiliiiiil.num_vgpr, 251
	.set _ZL18flash_attn_ext_f16ILi112ELi112ELi16ELi4ELb0ELb0EEvPKcS1_S1_S1_S1_PKiPfP15HIP_vector_typeIfLj2EEffffjfiS5_IjLj3EEiiiiiiiiiiiliiliiiiil.num_agpr, 0
	.set _ZL18flash_attn_ext_f16ILi112ELi112ELi16ELi4ELb0ELb0EEvPKcS1_S1_S1_S1_PKiPfP15HIP_vector_typeIfLj2EEffffjfiS5_IjLj3EEiiiiiiiiiiiliiliiiiil.numbered_sgpr, 100
	.set _ZL18flash_attn_ext_f16ILi112ELi112ELi16ELi4ELb0ELb0EEvPKcS1_S1_S1_S1_PKiPfP15HIP_vector_typeIfLj2EEffffjfiS5_IjLj3EEiiiiiiiiiiiliiliiiiil.num_named_barrier, 0
	.set _ZL18flash_attn_ext_f16ILi112ELi112ELi16ELi4ELb0ELb0EEvPKcS1_S1_S1_S1_PKiPfP15HIP_vector_typeIfLj2EEffffjfiS5_IjLj3EEiiiiiiiiiiiliiliiiiil.private_seg_size, 0
	.set _ZL18flash_attn_ext_f16ILi112ELi112ELi16ELi4ELb0ELb0EEvPKcS1_S1_S1_S1_PKiPfP15HIP_vector_typeIfLj2EEffffjfiS5_IjLj3EEiiiiiiiiiiiliiliiiiil.uses_vcc, 1
	.set _ZL18flash_attn_ext_f16ILi112ELi112ELi16ELi4ELb0ELb0EEvPKcS1_S1_S1_S1_PKiPfP15HIP_vector_typeIfLj2EEffffjfiS5_IjLj3EEiiiiiiiiiiiliiliiiiil.uses_flat_scratch, 0
	.set _ZL18flash_attn_ext_f16ILi112ELi112ELi16ELi4ELb0ELb0EEvPKcS1_S1_S1_S1_PKiPfP15HIP_vector_typeIfLj2EEffffjfiS5_IjLj3EEiiiiiiiiiiiliiliiiiil.has_dyn_sized_stack, 0
	.set _ZL18flash_attn_ext_f16ILi112ELi112ELi16ELi4ELb0ELb0EEvPKcS1_S1_S1_S1_PKiPfP15HIP_vector_typeIfLj2EEffffjfiS5_IjLj3EEiiiiiiiiiiiliiliiiiil.has_recursion, 0
	.set _ZL18flash_attn_ext_f16ILi112ELi112ELi16ELi4ELb0ELb0EEvPKcS1_S1_S1_S1_PKiPfP15HIP_vector_typeIfLj2EEffffjfiS5_IjLj3EEiiiiiiiiiiiliiliiiiil.has_indirect_call, 0
	.section	.AMDGPU.csdata,"",@progbits
; Kernel info:
; codeLenInByte = 56252
; TotalNumSgprs: 106
; NumVgprs: 251
; NumAgprs: 0
; TotalNumVgprs: 251
; ScratchSize: 0
; MemoryBound: 0
; FloatMode: 240
; IeeeMode: 1
; LDSByteSize: 0 bytes/workgroup (compile time only)
; SGPRBlocks: 13
; VGPRBlocks: 31
; NumSGPRsForWavesPerEU: 106
; NumVGPRsForWavesPerEU: 251
; AccumOffset: 252
; Occupancy: 2
; WaveLimiterHint : 0
; COMPUTE_PGM_RSRC2:SCRATCH_EN: 0
; COMPUTE_PGM_RSRC2:USER_SGPR: 2
; COMPUTE_PGM_RSRC2:TRAP_HANDLER: 0
; COMPUTE_PGM_RSRC2:TGID_X_EN: 1
; COMPUTE_PGM_RSRC2:TGID_Y_EN: 0
; COMPUTE_PGM_RSRC2:TGID_Z_EN: 0
; COMPUTE_PGM_RSRC2:TIDIG_COMP_CNT: 1
; COMPUTE_PGM_RSRC3_GFX90A:ACCUM_OFFSET: 62
; COMPUTE_PGM_RSRC3_GFX90A:TG_SPLIT: 0
	.section	.text._ZL18flash_attn_ext_f16ILi112ELi112ELi16ELi4ELb1ELb0EEvPKcS1_S1_S1_S1_PKiPfP15HIP_vector_typeIfLj2EEffffjfiS5_IjLj3EEiiiiiiiiiiiliiliiiiil,"axG",@progbits,_ZL18flash_attn_ext_f16ILi112ELi112ELi16ELi4ELb1ELb0EEvPKcS1_S1_S1_S1_PKiPfP15HIP_vector_typeIfLj2EEffffjfiS5_IjLj3EEiiiiiiiiiiiliiliiiiil,comdat
	.globl	_ZL18flash_attn_ext_f16ILi112ELi112ELi16ELi4ELb1ELb0EEvPKcS1_S1_S1_S1_PKiPfP15HIP_vector_typeIfLj2EEffffjfiS5_IjLj3EEiiiiiiiiiiiliiliiiiil ; -- Begin function _ZL18flash_attn_ext_f16ILi112ELi112ELi16ELi4ELb1ELb0EEvPKcS1_S1_S1_S1_PKiPfP15HIP_vector_typeIfLj2EEffffjfiS5_IjLj3EEiiiiiiiiiiiliiliiiiil
	.p2align	8
	.type	_ZL18flash_attn_ext_f16ILi112ELi112ELi16ELi4ELb1ELb0EEvPKcS1_S1_S1_S1_PKiPfP15HIP_vector_typeIfLj2EEffffjfiS5_IjLj3EEiiiiiiiiiiiliiliiiiil,@function
_ZL18flash_attn_ext_f16ILi112ELi112ELi16ELi4ELb1ELb0EEvPKcS1_S1_S1_S1_PKiPfP15HIP_vector_typeIfLj2EEffffjfiS5_IjLj3EEiiiiiiiiiiiliiliiiiil: ; @_ZL18flash_attn_ext_f16ILi112ELi112ELi16ELi4ELb1ELb0EEvPKcS1_S1_S1_S1_PKiPfP15HIP_vector_typeIfLj2EEffffjfiS5_IjLj3EEiiiiiiiiiiiliiliiiiil
; %bb.0:
	s_add_u32 s8, s0, 0xd0
	s_addc_u32 s9, s1, 0
	s_getpc_b64 s[0:1]
	s_add_u32 s0, s0, _ZL14no_device_codePKciS0_iS0_@rel32@lo+4
	s_addc_u32 s1, s1, _ZL14no_device_codePKciS0_iS0_@rel32@hi+12
	v_mov_b32_e32 v0, 0x6cc
	s_mov_b32 s32, 0
	s_swappc_b64 s[30:31], s[0:1]
	.section	.rodata,"a",@progbits
	.p2align	6, 0x0
	.amdhsa_kernel _ZL18flash_attn_ext_f16ILi112ELi112ELi16ELi4ELb1ELb0EEvPKcS1_S1_S1_S1_PKiPfP15HIP_vector_typeIfLj2EEffffjfiS5_IjLj3EEiiiiiiiiiiiliiliiiiil
		.amdhsa_group_segment_fixed_size 0
		.amdhsa_private_segment_fixed_size 16
		.amdhsa_kernarg_size 464
		.amdhsa_user_sgpr_count 2
		.amdhsa_user_sgpr_dispatch_ptr 0
		.amdhsa_user_sgpr_queue_ptr 0
		.amdhsa_user_sgpr_kernarg_segment_ptr 1
		.amdhsa_user_sgpr_dispatch_id 0
		.amdhsa_user_sgpr_kernarg_preload_length 0
		.amdhsa_user_sgpr_kernarg_preload_offset 0
		.amdhsa_user_sgpr_private_segment_size 0
		.amdhsa_uses_dynamic_stack 0
		.amdhsa_enable_private_segment 1
		.amdhsa_system_sgpr_workgroup_id_x 1
		.amdhsa_system_sgpr_workgroup_id_y 0
		.amdhsa_system_sgpr_workgroup_id_z 0
		.amdhsa_system_sgpr_workgroup_info 0
		.amdhsa_system_vgpr_workitem_id 0
		.amdhsa_next_free_vgpr 52
		.amdhsa_next_free_sgpr 34
		.amdhsa_accum_offset 52
		.amdhsa_reserve_vcc 1
		.amdhsa_float_round_mode_32 0
		.amdhsa_float_round_mode_16_64 0
		.amdhsa_float_denorm_mode_32 3
		.amdhsa_float_denorm_mode_16_64 3
		.amdhsa_dx10_clamp 1
		.amdhsa_ieee_mode 1
		.amdhsa_fp16_overflow 0
		.amdhsa_tg_split 0
		.amdhsa_exception_fp_ieee_invalid_op 0
		.amdhsa_exception_fp_denorm_src 0
		.amdhsa_exception_fp_ieee_div_zero 0
		.amdhsa_exception_fp_ieee_overflow 0
		.amdhsa_exception_fp_ieee_underflow 0
		.amdhsa_exception_fp_ieee_inexact 0
		.amdhsa_exception_int_div_zero 0
	.end_amdhsa_kernel
	.section	.text._ZL18flash_attn_ext_f16ILi112ELi112ELi16ELi4ELb1ELb0EEvPKcS1_S1_S1_S1_PKiPfP15HIP_vector_typeIfLj2EEffffjfiS5_IjLj3EEiiiiiiiiiiiliiliiiiil,"axG",@progbits,_ZL18flash_attn_ext_f16ILi112ELi112ELi16ELi4ELb1ELb0EEvPKcS1_S1_S1_S1_PKiPfP15HIP_vector_typeIfLj2EEffffjfiS5_IjLj3EEiiiiiiiiiiiliiliiiiil,comdat
.Lfunc_end20:
	.size	_ZL18flash_attn_ext_f16ILi112ELi112ELi16ELi4ELb1ELb0EEvPKcS1_S1_S1_S1_PKiPfP15HIP_vector_typeIfLj2EEffffjfiS5_IjLj3EEiiiiiiiiiiiliiliiiiil, .Lfunc_end20-_ZL18flash_attn_ext_f16ILi112ELi112ELi16ELi4ELb1ELb0EEvPKcS1_S1_S1_S1_PKiPfP15HIP_vector_typeIfLj2EEffffjfiS5_IjLj3EEiiiiiiiiiiiliiliiiiil
                                        ; -- End function
	.set _ZL18flash_attn_ext_f16ILi112ELi112ELi16ELi4ELb1ELb0EEvPKcS1_S1_S1_S1_PKiPfP15HIP_vector_typeIfLj2EEffffjfiS5_IjLj3EEiiiiiiiiiiiliiliiiiil.num_vgpr, max(1, .L_ZL14no_device_codePKciS0_iS0_.num_vgpr)
	.set _ZL18flash_attn_ext_f16ILi112ELi112ELi16ELi4ELb1ELb0EEvPKcS1_S1_S1_S1_PKiPfP15HIP_vector_typeIfLj2EEffffjfiS5_IjLj3EEiiiiiiiiiiiliiliiiiil.num_agpr, max(0, .L_ZL14no_device_codePKciS0_iS0_.num_agpr)
	.set _ZL18flash_attn_ext_f16ILi112ELi112ELi16ELi4ELb1ELb0EEvPKcS1_S1_S1_S1_PKiPfP15HIP_vector_typeIfLj2EEffffjfiS5_IjLj3EEiiiiiiiiiiiliiliiiiil.numbered_sgpr, max(33, .L_ZL14no_device_codePKciS0_iS0_.numbered_sgpr)
	.set _ZL18flash_attn_ext_f16ILi112ELi112ELi16ELi4ELb1ELb0EEvPKcS1_S1_S1_S1_PKiPfP15HIP_vector_typeIfLj2EEffffjfiS5_IjLj3EEiiiiiiiiiiiliiliiiiil.num_named_barrier, max(0, .L_ZL14no_device_codePKciS0_iS0_.num_named_barrier)
	.set _ZL18flash_attn_ext_f16ILi112ELi112ELi16ELi4ELb1ELb0EEvPKcS1_S1_S1_S1_PKiPfP15HIP_vector_typeIfLj2EEffffjfiS5_IjLj3EEiiiiiiiiiiiliiliiiiil.private_seg_size, 0+max(.L_ZL14no_device_codePKciS0_iS0_.private_seg_size)
	.set _ZL18flash_attn_ext_f16ILi112ELi112ELi16ELi4ELb1ELb0EEvPKcS1_S1_S1_S1_PKiPfP15HIP_vector_typeIfLj2EEffffjfiS5_IjLj3EEiiiiiiiiiiiliiliiiiil.uses_vcc, or(1, .L_ZL14no_device_codePKciS0_iS0_.uses_vcc)
	.set _ZL18flash_attn_ext_f16ILi112ELi112ELi16ELi4ELb1ELb0EEvPKcS1_S1_S1_S1_PKiPfP15HIP_vector_typeIfLj2EEffffjfiS5_IjLj3EEiiiiiiiiiiiliiliiiiil.uses_flat_scratch, or(0, .L_ZL14no_device_codePKciS0_iS0_.uses_flat_scratch)
	.set _ZL18flash_attn_ext_f16ILi112ELi112ELi16ELi4ELb1ELb0EEvPKcS1_S1_S1_S1_PKiPfP15HIP_vector_typeIfLj2EEffffjfiS5_IjLj3EEiiiiiiiiiiiliiliiiiil.has_dyn_sized_stack, or(0, .L_ZL14no_device_codePKciS0_iS0_.has_dyn_sized_stack)
	.set _ZL18flash_attn_ext_f16ILi112ELi112ELi16ELi4ELb1ELb0EEvPKcS1_S1_S1_S1_PKiPfP15HIP_vector_typeIfLj2EEffffjfiS5_IjLj3EEiiiiiiiiiiiliiliiiiil.has_recursion, or(0, .L_ZL14no_device_codePKciS0_iS0_.has_recursion)
	.set _ZL18flash_attn_ext_f16ILi112ELi112ELi16ELi4ELb1ELb0EEvPKcS1_S1_S1_S1_PKiPfP15HIP_vector_typeIfLj2EEffffjfiS5_IjLj3EEiiiiiiiiiiiliiliiiiil.has_indirect_call, or(0, .L_ZL14no_device_codePKciS0_iS0_.has_indirect_call)
	.section	.AMDGPU.csdata,"",@progbits
; Kernel info:
; codeLenInByte = 48
; TotalNumSgprs: 40
; NumVgprs: 52
; NumAgprs: 0
; TotalNumVgprs: 52
; ScratchSize: 16
; MemoryBound: 0
; FloatMode: 240
; IeeeMode: 1
; LDSByteSize: 0 bytes/workgroup (compile time only)
; SGPRBlocks: 4
; VGPRBlocks: 6
; NumSGPRsForWavesPerEU: 40
; NumVGPRsForWavesPerEU: 52
; AccumOffset: 52
; Occupancy: 8
; WaveLimiterHint : 1
; COMPUTE_PGM_RSRC2:SCRATCH_EN: 1
; COMPUTE_PGM_RSRC2:USER_SGPR: 2
; COMPUTE_PGM_RSRC2:TRAP_HANDLER: 0
; COMPUTE_PGM_RSRC2:TGID_X_EN: 1
; COMPUTE_PGM_RSRC2:TGID_Y_EN: 0
; COMPUTE_PGM_RSRC2:TGID_Z_EN: 0
; COMPUTE_PGM_RSRC2:TIDIG_COMP_CNT: 0
; COMPUTE_PGM_RSRC3_GFX90A:ACCUM_OFFSET: 12
; COMPUTE_PGM_RSRC3_GFX90A:TG_SPLIT: 0
	.section	.text._ZL33flash_attn_stream_k_fixup_uniformILi112ELi16ELi4EEvPfPK15HIP_vector_typeIfLj2EEiiiiiiS1_IjLj3EES5_S5_,"axG",@progbits,_ZL33flash_attn_stream_k_fixup_uniformILi112ELi16ELi4EEvPfPK15HIP_vector_typeIfLj2EEiiiiiiS1_IjLj3EES5_S5_,comdat
	.globl	_ZL33flash_attn_stream_k_fixup_uniformILi112ELi16ELi4EEvPfPK15HIP_vector_typeIfLj2EEiiiiiiS1_IjLj3EES5_S5_ ; -- Begin function _ZL33flash_attn_stream_k_fixup_uniformILi112ELi16ELi4EEvPfPK15HIP_vector_typeIfLj2EEiiiiiiS1_IjLj3EES5_S5_
	.p2align	8
	.type	_ZL33flash_attn_stream_k_fixup_uniformILi112ELi16ELi4EEvPfPK15HIP_vector_typeIfLj2EEiiiiiiS1_IjLj3EES5_S5_,@function
_ZL33flash_attn_stream_k_fixup_uniformILi112ELi16ELi4EEvPfPK15HIP_vector_typeIfLj2EEiiiiiiS1_IjLj3EES5_S5_: ; @_ZL33flash_attn_stream_k_fixup_uniformILi112ELi16ELi4EEvPfPK15HIP_vector_typeIfLj2EEiiiiiiS1_IjLj3EES5_S5_
; %bb.0:
	s_load_dwordx8 s[8:15], s[0:1], 0x1c
	s_load_dwordx2 s[6:7], s[0:1], 0x10
	s_load_dwordx4 s[16:19], s[0:1], 0x3c
	s_waitcnt lgkmcnt(0)
	s_mul_hi_u32 s5, s11, s2
	s_add_i32 s5, s2, s5
	s_lshr_b32 s5, s5, s12
	s_mul_i32 s11, s5, s13
	s_sub_i32 s12, s2, s11
	s_mul_hi_u32 s11, s12, s14
	s_add_i32 s11, s12, s11
	s_lshr_b32 s11, s11, s15
	s_mul_i32 s13, s11, s16
	s_sub_i32 s12, s12, s13
	;; [unrolled: 5-line block ×3, first 2 shown]
	s_lshl_b32 s12, s16, 4
	s_lshl_b32 s17, s13, 2
	s_add_i32 s12, s12, s3
	s_cmp_lt_i32 s12, s6
	s_cselect_b64 s[12:13], -1, 0
	s_add_i32 s17, s17, s4
	s_cmp_lt_i32 s17, s9
	s_cselect_b64 s[14:15], -1, 0
	s_and_b64 s[12:13], s[12:13], s[14:15]
	s_andn2_b64 vcc, exec, s[12:13]
	s_cbranch_vccnz .LBB21_6
; %bb.1:
	s_load_dwordx4 s[12:15], s[0:1], 0x0
	s_mul_i32 s0, s5, s6
	s_mul_i32 s11, s11, s9
	s_add_i32 s0, s0, s3
	s_mul_i32 s0, s0, s7
	s_add_i32 s5, s17, s11
	;; [unrolled: 2-line block ×3, first 2 shown]
	s_mulk_i32 s1, 0x700
	s_mulk_i32 s0, 0x70
	s_add_i32 s0, s0, s1
	v_add_u32_e32 v4, s0, v0
	s_waitcnt lgkmcnt(0)
	v_mov_b32_e32 v2, s12
	v_mov_b32_e32 v3, s13
	v_ashrrev_i32_e32 v5, 31, v4
	v_lshl_add_u64 v[2:3], v[4:5], 2, v[2:3]
	global_load_dword v5, v[2:3], off
	s_mul_i32 s5, s10, s2
	s_lshl_b32 s11, s3, 2
	s_add_i32 s9, s5, s10
	s_add_i32 s0, s11, s4
	s_lshl_b32 s1, s9, 6
	s_add_i32 s0, s0, s1
	s_sub_i32 s0, s0, 64
	s_ashr_i32 s1, s0, 31
	s_lshl_b64 s[0:1], s[0:1], 3
	s_add_u32 s0, s14, s0
	s_addc_u32 s1, s15, s1
	s_load_dword s12, s[0:1], 0x4
	s_add_i32 s6, s9, -2
	s_cmp_lt_i32 s6, s5
	s_cbranch_scc1 .LBB21_4
; %bb.2:
	s_lshl_b32 s6, s8, 8
	s_ashr_i32 s7, s6, 31
	s_lshl_b64 s[6:7], s[6:7], 2
	s_add_u32 s6, s14, s6
	s_addc_u32 s7, s15, s7
	s_add_i32 s2, s2, 1
	s_load_dword s0, s[0:1], 0x0
	s_mul_i32 s1, s10, s2
	s_lshl_b32 s2, s1, 6
	s_add_i32 s2, s4, s2
	s_mulk_i32 s3, 0x1c0
	s_mulk_i32 s4, 0x70
	s_lshl_b32 s8, s8, 6
	s_mulk_i32 s1, 0x1c00
	s_add_i32 s3, s4, s3
	s_add_i32 s2, s2, s8
	;; [unrolled: 1-line block ×4, first 2 shown]
	v_add_u32_e32 v0, s3, v0
	s_add_i32 s9, s9, -1
	s_addk_i32 s2, 0xff80
	v_add_u32_e32 v0, 0xffffc800, v0
	s_waitcnt lgkmcnt(0)
	v_mov_b32_e32 v7, s0
	v_mov_b32_e32 v4, s12
	s_mov_b32 s4, 0x3fb8aa3b
	s_mov_b32 s8, 0xc2ce8ed0
	;; [unrolled: 1-line block ×3, first 2 shown]
	v_mov_b32_e32 v6, 0x7f800000
	s_mov_b32 s11, 0xc1a00000
.LBB21_3:                               ; =>This Inner Loop Header: Depth=1
	v_ashrrev_i32_e32 v1, 31, v0
	v_lshl_add_u64 v[8:9], v[0:1], 2, s[6:7]
	global_load_dword v9, v[8:9], off
	s_ashr_i32 s3, s2, 31
	s_lshl_b64 s[0:1], s[2:3], 3
	s_add_u32 s0, s14, s0
	s_addc_u32 s1, s15, s1
	s_load_dwordx2 s[0:1], s[0:1], 0x0
	v_max_f32_e32 v1, v7, v7
	s_add_i32 s9, s9, -1
	s_sub_i32 s2, s2, 64
	v_add_u32_e32 v0, 0xffffe400, v0
	s_waitcnt lgkmcnt(0)
	v_max_f32_e64 v10, s0, s0
	v_max_f32_e32 v1, v1, v10
	v_sub_f32_e32 v11, s0, v1
	v_sub_f32_e32 v10, v7, v1
	v_mul_f32_e32 v12, 0x3fb8aa3b, v11
	v_mov_b32_e32 v7, v1
	v_mul_f32_e32 v1, 0x3fb8aa3b, v10
	v_fma_f32 v15, v11, s4, -v12
	v_rndne_f32_e32 v16, v12
	v_fma_f32 v13, v10, s4, -v1
	v_rndne_f32_e32 v14, v1
	v_fmac_f32_e32 v15, 0x32a5705f, v11
	v_sub_f32_e32 v12, v12, v16
	v_fmac_f32_e32 v13, 0x32a5705f, v10
	v_sub_f32_e32 v1, v1, v14
	v_add_f32_e32 v12, v12, v15
	v_cvt_i32_f32_e32 v16, v16
	v_add_f32_e32 v1, v1, v13
	v_exp_f32_e32 v12, v12
	v_cvt_i32_f32_e32 v14, v14
	v_exp_f32_e32 v1, v1
	v_cmp_ngt_f32_e32 vcc, s8, v11
	v_ldexp_f32 v12, v12, v16
	v_mov_b32_e32 v8, s1
	v_ldexp_f32 v1, v1, v14
	v_cmp_ngt_f32_e64 s[0:1], s8, v10
	v_cndmask_b32_e32 v12, 0, v12, vcc
	v_cmp_nlt_f32_e32 vcc, s10, v11
	v_cndmask_b32_e64 v1, 0, v1, s[0:1]
	v_cmp_nlt_f32_e64 s[0:1], s10, v10
	v_cndmask_b32_e32 v12, v6, v12, vcc
	v_cmp_le_f32_e32 vcc, s11, v11
	v_cndmask_b32_e64 v1, v6, v1, s[0:1]
	v_cmp_le_f32_e64 s[0:1], s11, v10
	v_cndmask_b32_e32 v12, 0, v12, vcc
	s_cmp_le_i32 s9, s5
	v_cndmask_b32_e64 v10, 0, v1, s[0:1]
	s_waitcnt vmcnt(0)
	v_pk_mul_f32 v[8:9], v[8:9], v[12:13] op_sel_hi:[1,0]
	s_nop 0
	v_pk_fma_f32 v[4:5], v[4:5], v[10:11], v[8:9] op_sel_hi:[1,0,1]
	s_cbranch_scc0 .LBB21_3
	s_branch .LBB21_5
.LBB21_4:
	s_waitcnt lgkmcnt(0)
	v_mov_b32_e32 v4, s12
.LBB21_5:
	s_waitcnt vmcnt(0)
	v_div_scale_f32 v0, s[0:1], v4, v4, v5
	v_rcp_f32_e32 v1, v0
	v_div_scale_f32 v6, vcc, v5, v4, v5
	v_fma_f32 v7, -v0, v1, 1.0
	v_fmac_f32_e32 v1, v7, v1
	v_mul_f32_e32 v7, v6, v1
	v_fma_f32 v8, -v0, v7, v6
	v_fmac_f32_e32 v7, v8, v1
	v_fma_f32 v0, -v0, v7, v6
	v_div_fmas_f32 v0, v0, v1, v7
	v_div_fixup_f32 v0, v0, v4, v5
	global_store_dword v[2:3], v0, off
.LBB21_6:
	s_endpgm
	.section	.rodata,"a",@progbits
	.p2align	6, 0x0
	.amdhsa_kernel _ZL33flash_attn_stream_k_fixup_uniformILi112ELi16ELi4EEvPfPK15HIP_vector_typeIfLj2EEiiiiiiS1_IjLj3EES5_S5_
		.amdhsa_group_segment_fixed_size 0
		.amdhsa_private_segment_fixed_size 0
		.amdhsa_kernarg_size 76
		.amdhsa_user_sgpr_count 2
		.amdhsa_user_sgpr_dispatch_ptr 0
		.amdhsa_user_sgpr_queue_ptr 0
		.amdhsa_user_sgpr_kernarg_segment_ptr 1
		.amdhsa_user_sgpr_dispatch_id 0
		.amdhsa_user_sgpr_kernarg_preload_length 0
		.amdhsa_user_sgpr_kernarg_preload_offset 0
		.amdhsa_user_sgpr_private_segment_size 0
		.amdhsa_uses_dynamic_stack 0
		.amdhsa_enable_private_segment 0
		.amdhsa_system_sgpr_workgroup_id_x 1
		.amdhsa_system_sgpr_workgroup_id_y 1
		.amdhsa_system_sgpr_workgroup_id_z 1
		.amdhsa_system_sgpr_workgroup_info 0
		.amdhsa_system_vgpr_workitem_id 0
		.amdhsa_next_free_vgpr 17
		.amdhsa_next_free_sgpr 20
		.amdhsa_accum_offset 20
		.amdhsa_reserve_vcc 1
		.amdhsa_float_round_mode_32 0
		.amdhsa_float_round_mode_16_64 0
		.amdhsa_float_denorm_mode_32 3
		.amdhsa_float_denorm_mode_16_64 3
		.amdhsa_dx10_clamp 1
		.amdhsa_ieee_mode 1
		.amdhsa_fp16_overflow 0
		.amdhsa_tg_split 0
		.amdhsa_exception_fp_ieee_invalid_op 0
		.amdhsa_exception_fp_denorm_src 0
		.amdhsa_exception_fp_ieee_div_zero 0
		.amdhsa_exception_fp_ieee_overflow 0
		.amdhsa_exception_fp_ieee_underflow 0
		.amdhsa_exception_fp_ieee_inexact 0
		.amdhsa_exception_int_div_zero 0
	.end_amdhsa_kernel
	.section	.text._ZL33flash_attn_stream_k_fixup_uniformILi112ELi16ELi4EEvPfPK15HIP_vector_typeIfLj2EEiiiiiiS1_IjLj3EES5_S5_,"axG",@progbits,_ZL33flash_attn_stream_k_fixup_uniformILi112ELi16ELi4EEvPfPK15HIP_vector_typeIfLj2EEiiiiiiS1_IjLj3EES5_S5_,comdat
.Lfunc_end21:
	.size	_ZL33flash_attn_stream_k_fixup_uniformILi112ELi16ELi4EEvPfPK15HIP_vector_typeIfLj2EEiiiiiiS1_IjLj3EES5_S5_, .Lfunc_end21-_ZL33flash_attn_stream_k_fixup_uniformILi112ELi16ELi4EEvPfPK15HIP_vector_typeIfLj2EEiiiiiiS1_IjLj3EES5_S5_
                                        ; -- End function
	.set _ZL33flash_attn_stream_k_fixup_uniformILi112ELi16ELi4EEvPfPK15HIP_vector_typeIfLj2EEiiiiiiS1_IjLj3EES5_S5_.num_vgpr, 17
	.set _ZL33flash_attn_stream_k_fixup_uniformILi112ELi16ELi4EEvPfPK15HIP_vector_typeIfLj2EEiiiiiiS1_IjLj3EES5_S5_.num_agpr, 0
	.set _ZL33flash_attn_stream_k_fixup_uniformILi112ELi16ELi4EEvPfPK15HIP_vector_typeIfLj2EEiiiiiiS1_IjLj3EES5_S5_.numbered_sgpr, 20
	.set _ZL33flash_attn_stream_k_fixup_uniformILi112ELi16ELi4EEvPfPK15HIP_vector_typeIfLj2EEiiiiiiS1_IjLj3EES5_S5_.num_named_barrier, 0
	.set _ZL33flash_attn_stream_k_fixup_uniformILi112ELi16ELi4EEvPfPK15HIP_vector_typeIfLj2EEiiiiiiS1_IjLj3EES5_S5_.private_seg_size, 0
	.set _ZL33flash_attn_stream_k_fixup_uniformILi112ELi16ELi4EEvPfPK15HIP_vector_typeIfLj2EEiiiiiiS1_IjLj3EES5_S5_.uses_vcc, 1
	.set _ZL33flash_attn_stream_k_fixup_uniformILi112ELi16ELi4EEvPfPK15HIP_vector_typeIfLj2EEiiiiiiS1_IjLj3EES5_S5_.uses_flat_scratch, 0
	.set _ZL33flash_attn_stream_k_fixup_uniformILi112ELi16ELi4EEvPfPK15HIP_vector_typeIfLj2EEiiiiiiS1_IjLj3EES5_S5_.has_dyn_sized_stack, 0
	.set _ZL33flash_attn_stream_k_fixup_uniformILi112ELi16ELi4EEvPfPK15HIP_vector_typeIfLj2EEiiiiiiS1_IjLj3EES5_S5_.has_recursion, 0
	.set _ZL33flash_attn_stream_k_fixup_uniformILi112ELi16ELi4EEvPfPK15HIP_vector_typeIfLj2EEiiiiiiS1_IjLj3EES5_S5_.has_indirect_call, 0
	.section	.AMDGPU.csdata,"",@progbits
; Kernel info:
; codeLenInByte = 832
; TotalNumSgprs: 26
; NumVgprs: 17
; NumAgprs: 0
; TotalNumVgprs: 17
; ScratchSize: 0
; MemoryBound: 0
; FloatMode: 240
; IeeeMode: 1
; LDSByteSize: 0 bytes/workgroup (compile time only)
; SGPRBlocks: 3
; VGPRBlocks: 2
; NumSGPRsForWavesPerEU: 26
; NumVGPRsForWavesPerEU: 17
; AccumOffset: 20
; Occupancy: 8
; WaveLimiterHint : 0
; COMPUTE_PGM_RSRC2:SCRATCH_EN: 0
; COMPUTE_PGM_RSRC2:USER_SGPR: 2
; COMPUTE_PGM_RSRC2:TRAP_HANDLER: 0
; COMPUTE_PGM_RSRC2:TGID_X_EN: 1
; COMPUTE_PGM_RSRC2:TGID_Y_EN: 1
; COMPUTE_PGM_RSRC2:TGID_Z_EN: 1
; COMPUTE_PGM_RSRC2:TIDIG_COMP_CNT: 0
; COMPUTE_PGM_RSRC3_GFX90A:ACCUM_OFFSET: 4
; COMPUTE_PGM_RSRC3_GFX90A:TG_SPLIT: 0
	.section	.text._ZL33flash_attn_stream_k_fixup_generalILi112ELi16ELi4EEvPfPK15HIP_vector_typeIfLj2EEiiiiS1_IjLj3EES5_S5_S5_,"axG",@progbits,_ZL33flash_attn_stream_k_fixup_generalILi112ELi16ELi4EEvPfPK15HIP_vector_typeIfLj2EEiiiiS1_IjLj3EES5_S5_S5_,comdat
	.globl	_ZL33flash_attn_stream_k_fixup_generalILi112ELi16ELi4EEvPfPK15HIP_vector_typeIfLj2EEiiiiS1_IjLj3EES5_S5_S5_ ; -- Begin function _ZL33flash_attn_stream_k_fixup_generalILi112ELi16ELi4EEvPfPK15HIP_vector_typeIfLj2EEiiiiS1_IjLj3EES5_S5_S5_
	.p2align	8
	.type	_ZL33flash_attn_stream_k_fixup_generalILi112ELi16ELi4EEvPfPK15HIP_vector_typeIfLj2EEiiiiS1_IjLj3EES5_S5_S5_,@function
_ZL33flash_attn_stream_k_fixup_generalILi112ELi16ELi4EEvPfPK15HIP_vector_typeIfLj2EEiiiiS1_IjLj3EES5_S5_S5_: ; @_ZL33flash_attn_stream_k_fixup_generalILi112ELi16ELi4EEvPfPK15HIP_vector_typeIfLj2EEiiiiS1_IjLj3EES5_S5_S5_
; %bb.0:
	s_load_dwordx4 s[8:11], s[0:1], 0x10
	s_load_dword s22, s[0:1], 0x50
	s_mov_b32 s12, 0
	s_waitcnt lgkmcnt(0)
	s_mul_hi_i32 s13, s11, s2
	s_cmp_lg_u64 s[12:13], 0
	s_mul_i32 s5, s11, s2
	s_cbranch_scc0 .LBB22_20
; %bb.1:
	s_add_u32 s6, s22, 0
	s_addc_u32 s7, 0, 0
	s_xor_b64 s[6:7], s[6:7], 0
	v_cvt_f32_u32_e32 v1, s6
	v_cvt_f32_u32_e32 v2, s7
	s_sub_u32 s12, 0, s6
	s_subb_u32 s18, 0, s7
	v_fmamk_f32 v1, v2, 0x4f800000, v1
	v_rcp_f32_e32 v1, v1
	s_nop 0
	v_mul_f32_e32 v1, 0x5f7ffffc, v1
	v_mul_f32_e32 v2, 0x2f800000, v1
	v_trunc_f32_e32 v2, v2
	v_fmamk_f32 v1, v2, 0xcf800000, v1
	v_cvt_u32_f32_e32 v2, v2
	v_cvt_u32_f32_e32 v1, v1
	v_readfirstlane_b32 s19, v2
	v_readfirstlane_b32 s14, v1
	s_mul_i32 s15, s12, s19
	s_mul_hi_u32 s21, s12, s14
	s_mul_i32 s20, s18, s14
	s_add_i32 s15, s21, s15
	s_add_i32 s15, s15, s20
	s_mul_i32 s23, s12, s14
	s_mul_i32 s21, s14, s15
	s_mul_hi_u32 s24, s14, s23
	s_mul_hi_u32 s20, s14, s15
	s_add_u32 s21, s24, s21
	s_addc_u32 s20, 0, s20
	s_mul_hi_u32 s25, s19, s23
	s_mul_i32 s23, s19, s23
	s_add_u32 s21, s21, s23
	s_mul_hi_u32 s24, s19, s15
	s_addc_u32 s20, s20, s25
	s_addc_u32 s21, s24, 0
	s_mul_i32 s15, s19, s15
	s_add_u32 s15, s20, s15
	s_addc_u32 s20, 0, s21
	s_add_u32 s21, s14, s15
	s_cselect_b64 s[14:15], -1, 0
	s_cmp_lg_u64 s[14:15], 0
	s_addc_u32 s19, s19, s20
	s_mul_i32 s14, s12, s19
	s_mul_hi_u32 s15, s12, s21
	s_add_i32 s14, s15, s14
	s_mul_i32 s18, s18, s21
	s_add_i32 s14, s14, s18
	s_mul_i32 s12, s12, s21
	s_mul_hi_u32 s18, s19, s12
	s_mul_i32 s20, s19, s12
	s_mul_i32 s24, s21, s14
	s_mul_hi_u32 s12, s21, s12
	s_mul_hi_u32 s23, s21, s14
	s_add_u32 s12, s12, s24
	s_addc_u32 s23, 0, s23
	s_add_u32 s12, s12, s20
	s_mul_hi_u32 s15, s19, s14
	s_addc_u32 s12, s23, s18
	s_addc_u32 s15, s15, 0
	s_mul_i32 s14, s19, s14
	s_add_u32 s12, s12, s14
	s_addc_u32 s18, 0, s15
	s_add_u32 s20, s21, s12
	s_cselect_b64 s[14:15], -1, 0
	s_cmp_lg_u64 s[14:15], 0
	s_addc_u32 s18, s19, s18
	s_ashr_i32 s14, s13, 31
	s_add_u32 s12, s5, s14
	s_mov_b32 s15, s14
	s_addc_u32 s13, s13, s14
	s_xor_b64 s[12:13], s[12:13], s[14:15]
	s_mul_i32 s21, s12, s18
	s_mul_hi_u32 s23, s12, s20
	s_mul_hi_u32 s19, s12, s18
	s_add_u32 s21, s23, s21
	s_addc_u32 s19, 0, s19
	s_mul_hi_u32 s24, s13, s20
	s_mul_i32 s20, s13, s20
	s_add_u32 s20, s21, s20
	s_mul_hi_u32 s23, s13, s18
	s_addc_u32 s19, s19, s24
	s_addc_u32 s20, s23, 0
	s_mul_i32 s18, s13, s18
	s_add_u32 s23, s19, s18
	s_addc_u32 s24, 0, s20
	s_mul_i32 s18, s6, s24
	s_mul_hi_u32 s19, s6, s23
	s_add_i32 s18, s19, s18
	s_mul_i32 s19, s7, s23
	s_add_i32 s25, s18, s19
	s_sub_i32 s20, s13, s25
	s_mul_i32 s18, s6, s23
	s_sub_u32 s12, s12, s18
	s_cselect_b64 s[18:19], -1, 0
	s_cmp_lg_u64 s[18:19], 0
	s_subb_u32 s26, s20, s7
	s_sub_u32 s27, s12, s6
	s_cselect_b64 s[20:21], -1, 0
	s_cmp_lg_u64 s[20:21], 0
	s_subb_u32 s20, s26, 0
	s_cmp_ge_u32 s20, s7
	s_cselect_b32 s21, -1, 0
	s_cmp_ge_u32 s27, s6
	s_cselect_b32 s26, -1, 0
	s_cmp_eq_u32 s20, s7
	s_cselect_b32 s20, s26, s21
	s_add_u32 s21, s23, 1
	s_addc_u32 s26, s24, 0
	s_add_u32 s27, s23, 2
	s_addc_u32 s28, s24, 0
	s_cmp_lg_u32 s20, 0
	s_cselect_b32 s20, s27, s21
	s_cselect_b32 s21, s28, s26
	s_cmp_lg_u64 s[18:19], 0
	s_subb_u32 s13, s13, s25
	s_cmp_ge_u32 s13, s7
	s_cselect_b32 s18, -1, 0
	s_cmp_ge_u32 s12, s6
	s_cselect_b32 s6, -1, 0
	s_cmp_eq_u32 s13, s7
	s_cselect_b32 s6, s6, s18
	s_cmp_lg_u32 s6, 0
	s_cselect_b32 s7, s21, s24
	s_cselect_b32 s6, s20, s23
	s_xor_b64 s[12:13], s[14:15], 0
	s_xor_b64 s[6:7], s[6:7], s[12:13]
	s_sub_u32 s6, s6, s12
	s_load_dwordx4 s[12:15], s[0:1], 0x44
	s_cbranch_execnz .LBB22_3
.LBB22_2:
	v_cvt_f32_u32_e32 v1, s22
	s_sub_i32 s6, 0, s22
	v_rcp_iflag_f32_e32 v1, v1
	s_nop 0
	v_mul_f32_e32 v1, 0x4f7ffffe, v1
	v_cvt_u32_f32_e32 v1, v1
	s_nop 0
	v_readfirstlane_b32 s7, v1
	s_mul_i32 s6, s6, s7
	s_mul_hi_u32 s6, s7, s6
	s_add_i32 s7, s7, s6
	s_mul_hi_u32 s6, s5, s7
	s_waitcnt lgkmcnt(0)
	s_mul_i32 s15, s6, s22
	s_sub_i32 s5, s5, s15
	s_add_i32 s7, s6, 1
	s_sub_i32 s15, s5, s22
	s_cmp_ge_u32 s5, s22
	s_cselect_b32 s6, s7, s6
	s_cselect_b32 s5, s15, s5
	s_add_i32 s7, s6, 1
	s_cmp_ge_u32 s5, s22
	s_cselect_b32 s6, s7, s6
.LBB22_3:
	s_add_i32 s5, s2, 1
	s_mul_hi_i32 s21, s11, s5
	s_mov_b32 s20, 0
	s_cmp_lg_u64 s[20:21], 0
	s_mul_i32 s5, s11, s5
	s_cbranch_scc0 .LBB22_21
; %bb.4:
	s_add_u32 s16, s22, 0
	s_addc_u32 s17, 0, 0
	s_xor_b64 s[18:19], s[16:17], 0
	v_cvt_f32_u32_e32 v1, s18
	v_cvt_f32_u32_e32 v2, s19
	s_sub_u32 s7, 0, s18
	s_waitcnt lgkmcnt(0)
	s_subb_u32 s15, 0, s19
	v_fmamk_f32 v1, v2, 0x4f800000, v1
	v_rcp_f32_e32 v1, v1
	s_nop 0
	v_mul_f32_e32 v1, 0x5f7ffffc, v1
	v_mul_f32_e32 v2, 0x2f800000, v1
	v_trunc_f32_e32 v2, v2
	v_fmamk_f32 v1, v2, 0xcf800000, v1
	v_cvt_u32_f32_e32 v2, v2
	v_cvt_u32_f32_e32 v1, v1
	v_readfirstlane_b32 s20, v2
	v_readfirstlane_b32 s23, v1
	s_mul_i32 s24, s7, s20
	s_mul_hi_u32 s26, s7, s23
	s_mul_i32 s25, s15, s23
	s_add_i32 s24, s26, s24
	s_add_i32 s24, s24, s25
	s_mul_i32 s27, s7, s23
	s_mul_i32 s26, s23, s24
	s_mul_hi_u32 s28, s23, s27
	s_mul_hi_u32 s25, s23, s24
	s_add_u32 s26, s28, s26
	s_addc_u32 s25, 0, s25
	s_mul_hi_u32 s29, s20, s27
	s_mul_i32 s27, s20, s27
	s_add_u32 s26, s26, s27
	s_mul_hi_u32 s28, s20, s24
	s_addc_u32 s25, s25, s29
	s_addc_u32 s26, s28, 0
	s_mul_i32 s24, s20, s24
	s_add_u32 s24, s25, s24
	s_addc_u32 s26, 0, s26
	s_add_u32 s23, s23, s24
	s_cselect_b64 s[24:25], -1, 0
	s_cmp_lg_u64 s[24:25], 0
	s_addc_u32 s20, s20, s26
	s_mul_i32 s24, s7, s20
	s_mul_hi_u32 s25, s7, s23
	s_add_i32 s24, s25, s24
	s_mul_i32 s15, s15, s23
	s_add_i32 s24, s24, s15
	s_mul_i32 s7, s7, s23
	s_mul_hi_u32 s25, s20, s7
	s_mul_i32 s26, s20, s7
	s_mul_i32 s28, s23, s24
	s_mul_hi_u32 s7, s23, s7
	s_mul_hi_u32 s27, s23, s24
	s_add_u32 s7, s7, s28
	s_addc_u32 s27, 0, s27
	s_add_u32 s7, s7, s26
	s_mul_hi_u32 s15, s20, s24
	s_addc_u32 s7, s27, s25
	s_addc_u32 s15, s15, 0
	s_mul_i32 s24, s20, s24
	s_add_u32 s7, s7, s24
	s_addc_u32 s15, 0, s15
	s_add_u32 s7, s23, s7
	s_cselect_b64 s[24:25], -1, 0
	s_cmp_lg_u64 s[24:25], 0
	s_addc_u32 s15, s20, s15
	s_ashr_i32 s24, s21, 31
	s_add_u32 s20, s5, s24
	s_mov_b32 s25, s24
	s_addc_u32 s21, s21, s24
	s_xor_b64 s[20:21], s[20:21], s[24:25]
	s_mul_i32 s26, s20, s15
	s_mul_hi_u32 s27, s20, s7
	s_mul_hi_u32 s23, s20, s15
	s_add_u32 s26, s27, s26
	s_addc_u32 s23, 0, s23
	s_mul_hi_u32 s28, s21, s7
	s_mul_i32 s7, s21, s7
	s_add_u32 s7, s26, s7
	s_mul_hi_u32 s27, s21, s15
	s_addc_u32 s7, s23, s28
	s_addc_u32 s23, s27, 0
	s_mul_i32 s15, s21, s15
	s_add_u32 s7, s7, s15
	s_addc_u32 s15, 0, s23
	s_mul_i32 s23, s18, s15
	s_mul_hi_u32 s26, s18, s7
	s_add_i32 s23, s26, s23
	s_mul_i32 s26, s19, s7
	s_add_i32 s23, s23, s26
	s_sub_i32 s28, s21, s23
	s_mul_i32 s26, s18, s7
	s_sub_u32 s20, s20, s26
	s_cselect_b64 s[26:27], -1, 0
	s_cmp_lg_u64 s[26:27], 0
	s_subb_u32 s30, s28, s19
	s_sub_u32 s31, s20, s18
	s_cselect_b64 s[28:29], -1, 0
	s_cmp_lg_u64 s[28:29], 0
	s_subb_u32 s28, s30, 0
	s_cmp_ge_u32 s28, s19
	s_cselect_b32 s29, -1, 0
	s_cmp_ge_u32 s31, s18
	s_cselect_b32 s30, -1, 0
	s_cmp_eq_u32 s28, s19
	s_cselect_b32 s28, s30, s29
	s_add_u32 s29, s7, 1
	s_addc_u32 s30, s15, 0
	s_add_u32 s31, s7, 2
	s_addc_u32 s33, s15, 0
	s_cmp_lg_u32 s28, 0
	s_cselect_b32 s28, s31, s29
	s_cselect_b32 s29, s33, s30
	s_cmp_lg_u64 s[26:27], 0
	s_subb_u32 s21, s21, s23
	s_cmp_ge_u32 s21, s19
	s_cselect_b32 s23, -1, 0
	s_cmp_ge_u32 s20, s18
	s_cselect_b32 s18, -1, 0
	s_cmp_eq_u32 s21, s19
	s_cselect_b32 s18, s18, s23
	s_cmp_lg_u32 s18, 0
	s_cselect_b32 s19, s29, s15
	s_cselect_b32 s18, s28, s7
	s_xor_b64 s[20:21], s[24:25], 0
	s_xor_b64 s[18:19], s[18:19], s[20:21]
	s_sub_u32 s18, s18, s20
	s_cbranch_execnz .LBB22_6
.LBB22_5:
	v_cvt_f32_u32_e32 v1, s22
	s_sub_i32 s7, 0, s22
	v_rcp_iflag_f32_e32 v1, v1
	s_nop 0
	v_mul_f32_e32 v1, 0x4f7ffffe, v1
	v_cvt_u32_f32_e32 v1, v1
	s_waitcnt lgkmcnt(0)
	v_readfirstlane_b32 s15, v1
	s_mul_i32 s7, s7, s15
	s_mul_hi_u32 s7, s15, s7
	s_add_i32 s15, s15, s7
	s_mul_hi_u32 s7, s5, s15
	s_mul_i32 s16, s7, s22
	s_sub_i32 s5, s5, s16
	s_add_i32 s15, s7, 1
	s_sub_i32 s16, s5, s22
	s_cmp_ge_u32 s5, s22
	s_cselect_b32 s7, s15, s7
	s_cselect_b32 s5, s16, s5
	s_add_i32 s15, s7, 1
	s_cmp_ge_u32 s5, s22
	s_cselect_b32 s18, s15, s7
.LBB22_6:
	s_cmp_eq_u32 s6, s18
	s_waitcnt lgkmcnt(0)
	s_mul_hi_u32 s5, s6, s12
	s_cselect_b64 s[16:17], -1, 0
	s_add_i32 s5, s5, s6
	s_lshr_b32 s7, s5, s13
	s_mul_i32 s5, s7, s14
	s_cmp_eq_u32 s5, s6
	s_mul_hi_u32 s5, s18, s12
	s_cselect_b64 s[20:21], -1, 0
	s_add_i32 s5, s5, s18
	s_lshr_b32 s5, s5, s13
	s_cmp_eq_u32 s7, s5
	s_mul_i32 s5, s5, s14
	s_cselect_b64 s[24:25], -1, 0
	s_cmp_lg_u32 s5, s18
	s_cselect_b64 s[18:19], -1, 0
	s_and_b64 s[18:19], s[24:25], s[18:19]
	s_or_b64 s[16:17], s[16:17], s[20:21]
	s_or_b64 s[16:17], s[16:17], s[18:19]
	s_and_b64 vcc, exec, s[16:17]
	s_cbranch_vccnz .LBB22_23
; %bb.7:
	s_load_dwordx8 s[24:31], s[0:1], 0x20
	s_load_dword s5, s[0:1], 0x40
	s_waitcnt lgkmcnt(0)
	s_mul_hi_u32 s15, s6, s24
	s_add_i32 s15, s15, s6
	s_lshr_b32 s20, s15, s25
	s_mul_i32 s15, s20, s26
	s_sub_i32 s15, s6, s15
	s_mul_hi_u32 s16, s15, s27
	s_add_i32 s16, s15, s16
	s_lshr_b32 s21, s16, s28
	s_mul_i32 s16, s21, s29
	s_sub_i32 s15, s15, s16
	;; [unrolled: 5-line block ×3, first 2 shown]
	s_mul_hi_u32 s15, s5, s12
	s_add_i32 s5, s5, s15
	s_lshr_b32 s23, s5, s13
	s_lshl_b32 s5, s23, 4
	s_lshl_b32 s24, s16, 2
	s_add_i32 s5, s5, s3
	s_cmp_lt_i32 s5, s8
	s_cselect_b64 s[16:17], -1, 0
	s_add_i32 s24, s24, s4
	s_cmp_lt_i32 s24, s10
	s_cselect_b64 s[18:19], -1, 0
	s_and_b64 s[16:17], s[16:17], s[18:19]
	s_andn2_b64 vcc, exec, s[16:17]
	s_cbranch_vccnz .LBB22_23
; %bb.8:
	s_load_dwordx4 s[16:19], s[0:1], 0x0
	s_mov_b32 s0, 0
	s_lshl_b32 s15, s3, 2
	s_lshl_b32 s26, s22, 8
	s_mov_b32 s27, s0
	s_add_i32 s15, s15, s4
	s_lshl_b64 s[4:5], s[26:27], 2
	s_waitcnt lgkmcnt(0)
	s_add_u32 s4, s18, s4
	s_mul_i32 s1, s20, s8
	s_addc_u32 s5, s19, s5
	s_mul_i32 s21, s21, s10
	s_add_i32 s1, s1, s3
	s_mul_i32 s1, s1, s9
	s_add_i32 s3, s24, s21
	;; [unrolled: 2-line block ×3, first 2 shown]
	s_mulk_i32 s8, 0x700
	s_mulk_i32 s1, 0x70
	s_add_i32 s8, s8, s1
	v_add_u32_e32 v4, s8, v0
	v_mov_b32_e32 v2, s16
	v_mov_b32_e32 v3, s17
	v_ashrrev_i32_e32 v5, 31, v4
	v_lshl_add_u64 v[2:3], v[4:5], 2, v[2:3]
	global_load_dword v1, v[2:3], off
	v_cvt_f32_u32_e32 v4, s22
	s_lshl_b32 s1, s2, 6
	s_add_i32 s8, s15, s1
	s_ashr_i32 s9, s8, 31
	s_lshl_b64 s[8:9], s[8:9], 3
	v_rcp_iflag_f32_e32 v4, v4
	s_add_u32 s8, s18, s8
	s_addc_u32 s9, s19, s9
	s_load_dwordx2 s[8:9], s[8:9], 0x0
	v_mul_f32_e32 v4, 0x4f7ffffe, v4
	v_cvt_u32_f32_e32 v7, v4
	s_mul_i32 s1, s15, 0x70
	s_add_i32 s21, s2, -1
	v_add_u32_e32 v6, s1, v0
	s_waitcnt lgkmcnt(0)
	v_mov_b32_e32 v0, s9
	v_mov_b32_e32 v9, s8
	s_mov_b32 s10, 0x3fb8aa3b
	s_mov_b32 s20, 0xc2ce8ed0
	;; [unrolled: 1-line block ×4, first 2 shown]
	v_mov_b32_e32 v8, 0x7f800000
	s_mul_hi_i32 s1, s21, s11
	s_cmp_lg_u64 s[0:1], 0
	s_mul_i32 s16, s21, s11
	s_cbranch_scc0 .LBB22_19
.LBB22_9:
	s_add_u32 s2, s22, 0
	s_addc_u32 s3, 0, 0
	s_xor_b64 s[2:3], s[2:3], 0
	v_cvt_f32_u32_e32 v4, s2
	v_cvt_f32_u32_e32 v5, s3
	s_sub_u32 s17, 0, s2
	s_subb_u32 s25, 0, s3
	v_fmac_f32_e32 v4, 0x4f800000, v5
	v_rcp_f32_e32 v4, v4
	s_nop 0
	v_mul_f32_e32 v4, 0x5f7ffffc, v4
	v_mul_f32_e32 v5, 0x2f800000, v4
	v_trunc_f32_e32 v5, v5
	v_fmac_f32_e32 v4, 0xcf800000, v5
	v_cvt_u32_f32_e32 v5, v5
	v_cvt_u32_f32_e32 v4, v4
	v_readfirstlane_b32 s26, v5
	v_readfirstlane_b32 s8, v4
	s_mul_i32 s9, s17, s26
	s_mul_hi_u32 s28, s17, s8
	s_mul_i32 s27, s25, s8
	s_add_i32 s9, s28, s9
	s_mul_i32 s29, s17, s8
	s_add_i32 s9, s9, s27
	s_mul_i32 s28, s8, s9
	s_mul_hi_u32 s30, s8, s29
	s_mul_hi_u32 s27, s8, s9
	s_add_u32 s28, s30, s28
	s_addc_u32 s27, 0, s27
	s_mul_hi_u32 s31, s26, s29
	s_mul_i32 s29, s26, s29
	s_add_u32 s28, s28, s29
	s_mul_hi_u32 s30, s26, s9
	s_addc_u32 s27, s27, s31
	s_addc_u32 s28, s30, 0
	s_mul_i32 s9, s26, s9
	s_add_u32 s9, s27, s9
	s_addc_u32 s27, 0, s28
	s_add_u32 s28, s8, s9
	s_cselect_b64 s[8:9], -1, 0
	s_cmp_lg_u64 s[8:9], 0
	s_addc_u32 s26, s26, s27
	s_mul_i32 s8, s17, s26
	s_mul_hi_u32 s9, s17, s28
	s_add_i32 s8, s9, s8
	s_mul_i32 s25, s25, s28
	s_add_i32 s8, s8, s25
	s_mul_i32 s17, s17, s28
	s_mul_hi_u32 s25, s26, s17
	s_mul_i32 s27, s26, s17
	s_mul_i32 s30, s28, s8
	s_mul_hi_u32 s17, s28, s17
	s_mul_hi_u32 s29, s28, s8
	s_add_u32 s17, s17, s30
	s_addc_u32 s29, 0, s29
	s_add_u32 s17, s17, s27
	s_mul_hi_u32 s9, s26, s8
	s_addc_u32 s17, s29, s25
	s_addc_u32 s9, s9, 0
	s_mul_i32 s8, s26, s8
	s_add_u32 s8, s17, s8
	s_addc_u32 s17, 0, s9
	s_add_u32 s25, s28, s8
	s_cselect_b64 s[8:9], -1, 0
	s_cmp_lg_u64 s[8:9], 0
	s_addc_u32 s17, s26, s17
	s_ashr_i32 s8, s1, 31
	s_add_u32 s26, s16, s8
	s_mov_b32 s9, s8
	s_addc_u32 s27, s1, s8
	s_xor_b64 s[26:27], s[26:27], s[8:9]
	s_mul_i32 s28, s26, s17
	s_mul_hi_u32 s29, s26, s25
	s_mul_hi_u32 s1, s26, s17
	s_add_u32 s28, s29, s28
	s_addc_u32 s1, 0, s1
	s_mul_hi_u32 s30, s27, s25
	s_mul_i32 s25, s27, s25
	s_add_u32 s25, s28, s25
	s_mul_hi_u32 s29, s27, s17
	s_addc_u32 s1, s1, s30
	s_addc_u32 s25, s29, 0
	s_mul_i32 s17, s27, s17
	s_add_u32 s1, s1, s17
	s_addc_u32 s17, 0, s25
	s_mul_i32 s25, s2, s17
	s_mul_hi_u32 s28, s2, s1
	s_add_i32 s25, s28, s25
	s_mul_i32 s28, s3, s1
	s_add_i32 s25, s25, s28
	s_sub_i32 s30, s27, s25
	s_mul_i32 s28, s2, s1
	s_sub_u32 s26, s26, s28
	s_cselect_b64 s[28:29], -1, 0
	s_cmp_lg_u64 s[28:29], 0
	s_subb_u32 s33, s30, s3
	s_sub_u32 s34, s26, s2
	s_cselect_b64 s[30:31], -1, 0
	s_cmp_lg_u64 s[30:31], 0
	s_subb_u32 s30, s33, 0
	s_cmp_ge_u32 s30, s3
	s_cselect_b32 s31, -1, 0
	s_cmp_ge_u32 s34, s2
	s_cselect_b32 s33, -1, 0
	s_cmp_eq_u32 s30, s3
	s_cselect_b32 s30, s33, s31
	s_add_u32 s31, s1, 1
	s_addc_u32 s33, s17, 0
	s_add_u32 s34, s1, 2
	s_addc_u32 s35, s17, 0
	s_cmp_lg_u32 s30, 0
	s_cselect_b32 s30, s34, s31
	s_cselect_b32 s31, s35, s33
	s_cmp_lg_u64 s[28:29], 0
	s_subb_u32 s25, s27, s25
	s_cmp_ge_u32 s25, s3
	s_cselect_b32 s27, -1, 0
	s_cmp_ge_u32 s26, s2
	s_cselect_b32 s2, -1, 0
	s_cmp_eq_u32 s25, s3
	s_cselect_b32 s2, s2, s27
	s_cmp_lg_u32 s2, 0
	s_cselect_b32 s3, s31, s17
	s_cselect_b32 s2, s30, s1
	s_xor_b64 s[8:9], s[8:9], 0
	s_xor_b64 s[2:3], s[2:3], s[8:9]
	s_sub_u32 s8, s2, s8
	s_cbranch_execnz .LBB22_11
.LBB22_10:
	s_sub_i32 s1, 0, s22
	v_readfirstlane_b32 s2, v7
	s_mul_i32 s1, s1, s2
	s_mul_hi_u32 s1, s2, s1
	s_add_i32 s2, s2, s1
	s_mul_hi_u32 s1, s16, s2
	s_mul_i32 s3, s1, s22
	s_sub_i32 s3, s16, s3
	s_add_i32 s2, s1, 1
	s_sub_i32 s8, s3, s22
	s_cmp_ge_u32 s3, s22
	s_cselect_b32 s1, s2, s1
	s_cselect_b32 s3, s8, s3
	s_add_i32 s2, s1, 1
	s_cmp_ge_u32 s3, s22
	s_cselect_b32 s8, s2, s1
.LBB22_11:
	s_cmp_lg_u32 s6, s8
	s_cbranch_scc0 .LBB22_15
; %bb.12:
	s_add_i32 s1, s21, s22
	s_lshl_b32 s1, s1, 6
	s_add_i32 s2, s1, s15
	s_mov_b32 s3, s0
	s_lshl_b64 s[2:3], s[2:3], 3
	s_add_u32 s16, s18, s2
	s_mul_hi_u32 s1, s8, s12
	s_addc_u32 s17, s19, s3
	s_add_i32 s1, s1, s8
	s_lshr_b32 s1, s1, s13
	s_mul_i32 s2, s1, s14
	s_cmp_eq_u32 s2, s8
	s_cselect_b64 s[2:3], -1, 0
	s_cmp_lt_u32 s1, s7
	s_cselect_b64 s[26:27], -1, 0
	s_or_b64 s[26:27], s[26:27], s[2:3]
	s_mov_b64 s[2:3], -1
	s_and_b64 vcc, exec, s[26:27]
	s_mov_b32 s1, s21
	s_mov_b32 s25, s6
	s_cbranch_vccnz .LBB22_14
; %bb.13:
	s_add_i32 s1, s21, -1
	s_mov_b64 s[2:3], 0
	s_mov_b32 s25, s8
.LBB22_14:
	s_mul_i32 s8, s21, 0x1c00
	v_add_u32_e32 v4, s8, v6
	v_ashrrev_i32_e32 v5, 31, v4
	v_lshl_add_u64 v[4:5], v[4:5], 2, s[4:5]
	global_load_dword v5, v[4:5], off
	s_load_dwordx2 s[8:9], s[16:17], 0x0
	v_max_f32_e32 v4, v9, v9
	s_waitcnt lgkmcnt(0)
	v_max_f32_e64 v10, s8, s8
	v_max_f32_e32 v10, v4, v10
	v_sub_f32_e32 v11, v9, v10
	v_sub_f32_e32 v13, s8, v10
	v_mul_f32_e32 v4, 0x3fb8aa3b, v11
	v_mul_f32_e32 v12, 0x3fb8aa3b, v13
	v_fma_f32 v14, v11, s10, -v4
	v_rndne_f32_e32 v15, v4
	v_fma_f32 v16, v13, s10, -v12
	v_rndne_f32_e32 v17, v12
	v_fmac_f32_e32 v14, 0x32a5705f, v11
	v_sub_f32_e32 v4, v4, v15
	v_fmac_f32_e32 v16, 0x32a5705f, v13
	v_sub_f32_e32 v12, v12, v17
	v_add_f32_e32 v4, v4, v14
	v_cvt_i32_f32_e32 v15, v15
	v_add_f32_e32 v12, v12, v16
	v_exp_f32_e32 v14, v4
	v_cvt_i32_f32_e32 v17, v17
	v_exp_f32_e32 v12, v12
	v_cmp_ngt_f32_e32 vcc, s20, v11
	v_ldexp_f32 v14, v14, v15
	v_mov_b32_e32 v4, s9
	v_ldexp_f32 v12, v12, v17
	v_cndmask_b32_e32 v14, 0, v14, vcc
	v_cmp_ngt_f32_e32 vcc, s20, v13
	s_nop 1
	v_cndmask_b32_e32 v12, 0, v12, vcc
	v_cmp_nlt_f32_e32 vcc, s23, v11
	s_nop 1
	v_cndmask_b32_e32 v14, v8, v14, vcc
	v_cmp_nlt_f32_e32 vcc, s23, v13
	s_nop 1
	v_cndmask_b32_e32 v15, v8, v12, vcc
	v_cmp_le_f32_e32 vcc, s24, v11
	s_nop 1
	v_cndmask_b32_e32 v12, 0, v14, vcc
	v_cmp_le_f32_e32 vcc, s24, v13
	s_nop 1
	v_cndmask_b32_e32 v14, 0, v15, vcc
	s_waitcnt vmcnt(0)
	v_pk_mul_f32 v[4:5], v[4:5], v[14:15] op_sel_hi:[1,0]
	s_nop 0
	v_pk_fma_f32 v[4:5], v[0:1], v[12:13], v[4:5] op_sel_hi:[1,0,1]
	s_cbranch_execz .LBB22_16
	s_branch .LBB22_17
.LBB22_15:
                                        ; implicit-def: $vgpr4_vgpr5
                                        ; implicit-def: $sgpr2_sgpr3
                                        ; implicit-def: $vgpr10
                                        ; implicit-def: $sgpr1
                                        ; implicit-def: $sgpr25
.LBB22_16:
	s_add_i32 s1, s21, -1
	s_mov_b64 s[2:3], 0
	s_mov_b32 s25, s6
	v_mov_b32_e32 v10, v9
	s_waitcnt vmcnt(0)
	v_mov_b64_e32 v[4:5], v[0:1]
.LBB22_17:
	s_andn2_b64 vcc, exec, s[2:3]
	s_cbranch_vccz .LBB22_22
; %bb.18:
	s_mov_b32 s6, s25
	s_mov_b32 s21, s1
	v_mov_b32_e32 v9, v10
	s_waitcnt vmcnt(0)
	v_mov_b64_e32 v[0:1], v[4:5]
	s_mul_hi_i32 s1, s21, s11
	s_cmp_lg_u64 s[0:1], 0
	s_mul_i32 s16, s21, s11
	s_cbranch_scc1 .LBB22_9
.LBB22_19:
                                        ; implicit-def: $sgpr8_sgpr9
	s_branch .LBB22_10
.LBB22_20:
                                        ; implicit-def: $sgpr6_sgpr7
	s_load_dwordx4 s[12:15], s[0:1], 0x44
	s_branch .LBB22_2
.LBB22_21:
                                        ; implicit-def: $sgpr18_sgpr19
	s_branch .LBB22_5
.LBB22_22:
	v_div_scale_f32 v0, s[0:1], v4, v4, v5
	s_waitcnt vmcnt(0)
	v_rcp_f32_e32 v1, v0
	v_div_scale_f32 v6, vcc, v5, v4, v5
	v_fma_f32 v7, -v0, v1, 1.0
	v_fmac_f32_e32 v1, v7, v1
	v_mul_f32_e32 v7, v6, v1
	v_fma_f32 v8, -v0, v7, v6
	v_fmac_f32_e32 v7, v8, v1
	v_fma_f32 v0, -v0, v7, v6
	v_div_fmas_f32 v0, v0, v1, v7
	v_div_fixup_f32 v0, v0, v4, v5
	global_store_dword v[2:3], v0, off
.LBB22_23:
	s_endpgm
	.section	.rodata,"a",@progbits
	.p2align	6, 0x0
	.amdhsa_kernel _ZL33flash_attn_stream_k_fixup_generalILi112ELi16ELi4EEvPfPK15HIP_vector_typeIfLj2EEiiiiS1_IjLj3EES5_S5_S5_
		.amdhsa_group_segment_fixed_size 0
		.amdhsa_private_segment_fixed_size 0
		.amdhsa_kernarg_size 336
		.amdhsa_user_sgpr_count 2
		.amdhsa_user_sgpr_dispatch_ptr 0
		.amdhsa_user_sgpr_queue_ptr 0
		.amdhsa_user_sgpr_kernarg_segment_ptr 1
		.amdhsa_user_sgpr_dispatch_id 0
		.amdhsa_user_sgpr_kernarg_preload_length 0
		.amdhsa_user_sgpr_kernarg_preload_offset 0
		.amdhsa_user_sgpr_private_segment_size 0
		.amdhsa_uses_dynamic_stack 0
		.amdhsa_enable_private_segment 0
		.amdhsa_system_sgpr_workgroup_id_x 1
		.amdhsa_system_sgpr_workgroup_id_y 1
		.amdhsa_system_sgpr_workgroup_id_z 1
		.amdhsa_system_sgpr_workgroup_info 0
		.amdhsa_system_vgpr_workitem_id 0
		.amdhsa_next_free_vgpr 18
		.amdhsa_next_free_sgpr 36
		.amdhsa_accum_offset 20
		.amdhsa_reserve_vcc 1
		.amdhsa_float_round_mode_32 0
		.amdhsa_float_round_mode_16_64 0
		.amdhsa_float_denorm_mode_32 3
		.amdhsa_float_denorm_mode_16_64 3
		.amdhsa_dx10_clamp 1
		.amdhsa_ieee_mode 1
		.amdhsa_fp16_overflow 0
		.amdhsa_tg_split 0
		.amdhsa_exception_fp_ieee_invalid_op 0
		.amdhsa_exception_fp_denorm_src 0
		.amdhsa_exception_fp_ieee_div_zero 0
		.amdhsa_exception_fp_ieee_overflow 0
		.amdhsa_exception_fp_ieee_underflow 0
		.amdhsa_exception_fp_ieee_inexact 0
		.amdhsa_exception_int_div_zero 0
	.end_amdhsa_kernel
	.section	.text._ZL33flash_attn_stream_k_fixup_generalILi112ELi16ELi4EEvPfPK15HIP_vector_typeIfLj2EEiiiiS1_IjLj3EES5_S5_S5_,"axG",@progbits,_ZL33flash_attn_stream_k_fixup_generalILi112ELi16ELi4EEvPfPK15HIP_vector_typeIfLj2EEiiiiS1_IjLj3EES5_S5_S5_,comdat
.Lfunc_end22:
	.size	_ZL33flash_attn_stream_k_fixup_generalILi112ELi16ELi4EEvPfPK15HIP_vector_typeIfLj2EEiiiiS1_IjLj3EES5_S5_S5_, .Lfunc_end22-_ZL33flash_attn_stream_k_fixup_generalILi112ELi16ELi4EEvPfPK15HIP_vector_typeIfLj2EEiiiiS1_IjLj3EES5_S5_S5_
                                        ; -- End function
	.set _ZL33flash_attn_stream_k_fixup_generalILi112ELi16ELi4EEvPfPK15HIP_vector_typeIfLj2EEiiiiS1_IjLj3EES5_S5_S5_.num_vgpr, 18
	.set _ZL33flash_attn_stream_k_fixup_generalILi112ELi16ELi4EEvPfPK15HIP_vector_typeIfLj2EEiiiiS1_IjLj3EES5_S5_S5_.num_agpr, 0
	.set _ZL33flash_attn_stream_k_fixup_generalILi112ELi16ELi4EEvPfPK15HIP_vector_typeIfLj2EEiiiiS1_IjLj3EES5_S5_S5_.numbered_sgpr, 36
	.set _ZL33flash_attn_stream_k_fixup_generalILi112ELi16ELi4EEvPfPK15HIP_vector_typeIfLj2EEiiiiS1_IjLj3EES5_S5_S5_.num_named_barrier, 0
	.set _ZL33flash_attn_stream_k_fixup_generalILi112ELi16ELi4EEvPfPK15HIP_vector_typeIfLj2EEiiiiS1_IjLj3EES5_S5_S5_.private_seg_size, 0
	.set _ZL33flash_attn_stream_k_fixup_generalILi112ELi16ELi4EEvPfPK15HIP_vector_typeIfLj2EEiiiiS1_IjLj3EES5_S5_S5_.uses_vcc, 1
	.set _ZL33flash_attn_stream_k_fixup_generalILi112ELi16ELi4EEvPfPK15HIP_vector_typeIfLj2EEiiiiS1_IjLj3EES5_S5_S5_.uses_flat_scratch, 0
	.set _ZL33flash_attn_stream_k_fixup_generalILi112ELi16ELi4EEvPfPK15HIP_vector_typeIfLj2EEiiiiS1_IjLj3EES5_S5_S5_.has_dyn_sized_stack, 0
	.set _ZL33flash_attn_stream_k_fixup_generalILi112ELi16ELi4EEvPfPK15HIP_vector_typeIfLj2EEiiiiS1_IjLj3EES5_S5_S5_.has_recursion, 0
	.set _ZL33flash_attn_stream_k_fixup_generalILi112ELi16ELi4EEvPfPK15HIP_vector_typeIfLj2EEiiiiS1_IjLj3EES5_S5_S5_.has_indirect_call, 0
	.section	.AMDGPU.csdata,"",@progbits
; Kernel info:
; codeLenInByte = 2944
; TotalNumSgprs: 42
; NumVgprs: 18
; NumAgprs: 0
; TotalNumVgprs: 18
; ScratchSize: 0
; MemoryBound: 0
; FloatMode: 240
; IeeeMode: 1
; LDSByteSize: 0 bytes/workgroup (compile time only)
; SGPRBlocks: 5
; VGPRBlocks: 2
; NumSGPRsForWavesPerEU: 42
; NumVGPRsForWavesPerEU: 18
; AccumOffset: 20
; Occupancy: 8
; WaveLimiterHint : 0
; COMPUTE_PGM_RSRC2:SCRATCH_EN: 0
; COMPUTE_PGM_RSRC2:USER_SGPR: 2
; COMPUTE_PGM_RSRC2:TRAP_HANDLER: 0
; COMPUTE_PGM_RSRC2:TGID_X_EN: 1
; COMPUTE_PGM_RSRC2:TGID_Y_EN: 1
; COMPUTE_PGM_RSRC2:TGID_Z_EN: 1
; COMPUTE_PGM_RSRC2:TIDIG_COMP_CNT: 0
; COMPUTE_PGM_RSRC3_GFX90A:ACCUM_OFFSET: 4
; COMPUTE_PGM_RSRC3_GFX90A:TG_SPLIT: 0
	.section	.text._ZL26flash_attn_combine_resultsILi112EEvPKfPK15HIP_vector_typeIfLj2EEPfi,"axG",@progbits,_ZL26flash_attn_combine_resultsILi112EEvPKfPK15HIP_vector_typeIfLj2EEPfi,comdat
	.globl	_ZL26flash_attn_combine_resultsILi112EEvPKfPK15HIP_vector_typeIfLj2EEPfi ; -- Begin function _ZL26flash_attn_combine_resultsILi112EEvPKfPK15HIP_vector_typeIfLj2EEPfi
	.p2align	8
	.type	_ZL26flash_attn_combine_resultsILi112EEvPKfPK15HIP_vector_typeIfLj2EEPfi,@function
_ZL26flash_attn_combine_resultsILi112EEvPKfPK15HIP_vector_typeIfLj2EEPfi: ; @_ZL26flash_attn_combine_resultsILi112EEvPKfPK15HIP_vector_typeIfLj2EEPfi
; %bb.0:
	s_load_dwordx2 s[6:7], s[0:1], 0x20
	s_load_dword s23, s[0:1], 0x18
	s_load_dwordx4 s[16:19], s[0:1], 0x0
	s_load_dwordx2 s[14:15], s[0:1], 0x10
	s_waitcnt lgkmcnt(0)
	s_mul_i32 s0, s6, s4
	s_add_i32 s0, s0, s2
	s_mul_i32 s22, s0, s7
	s_add_i32 s22, s22, s3
	s_lshl_b32 s12, s23, 1
	s_mul_i32 s2, s22, s23
	v_cmp_gt_i32_e32 vcc, s12, v0
	s_and_saveexec_b64 s[0:1], vcc
	s_cbranch_execz .LBB23_13
; %bb.1:
	v_xad_u32 v1, v0, -1, s12
	s_movk_i32 s4, 0x6f
	s_ashr_i32 s3, s2, 31
	v_cmp_lt_u32_e32 vcc, s4, v1
	s_mov_b64 s[6:7], -1
	v_mov_b32_e32 v2, v0
	s_and_saveexec_b64 s[4:5], vcc
	s_cbranch_execz .LBB23_10
; %bb.2:
	v_lshrrev_b32_e32 v1, 4, v1
	s_mov_b32 s6, 0x24924925
	v_mul_hi_u32 v6, v1, s6
	s_lshl_b64 s[6:7], s[2:3], 3
	v_add_u32_e32 v2, -1, v6
	s_add_u32 s6, s18, s6
	v_add_u32_e32 v1, 0x70, v0
	v_lshrrev_b32_e32 v3, 1, v2
	s_addc_u32 s7, s19, s7
	v_add_u32_e32 v7, 1, v3
	v_cmp_lt_u32_e32 vcc, 13, v2
	v_mov_b32_e32 v4, 0
	v_mov_b64_e32 v[2:3], v[0:1]
	s_and_saveexec_b64 s[8:9], vcc
	s_cbranch_execz .LBB23_6
; %bb.3:
	v_and_b32_e32 v8, -8, v7
	s_mov_b32 s13, 0
	v_lshl_add_u32 v9, v0, 2, 0
	s_mov_b64 s[10:11], 0
	v_mov_b32_e32 v5, 0
	v_mov_b64_e32 v[2:3], v[0:1]
.LBB23_4:                               ; =>This Inner Loop Header: Depth=1
	v_mov_b32_e32 v4, v2
	v_lshl_add_u64 v[24:25], v[4:5], 2, s[6:7]
	v_mov_b32_e32 v4, v3
	v_add_u32_e32 v10, 0xe0, v3
	v_mov_b32_e32 v11, v5
	v_lshl_add_u64 v[26:27], v[4:5], 2, s[6:7]
	v_add_u32_e32 v4, 0xe0, v2
	v_lshl_add_u64 v[10:11], v[10:11], 2, s[6:7]
	global_load_dword v1, v[24:25], off
	v_lshl_add_u64 v[24:25], v[4:5], 2, s[6:7]
	v_add_u32_e32 v4, 0x1c0, v2
	global_load_dword v28, v[26:27], off
	global_load_dword v29, v[24:25], off
	;; [unrolled: 1-line block ×3, first 2 shown]
	v_lshl_add_u64 v[10:11], v[4:5], 2, s[6:7]
	v_add_u32_e32 v4, 0x2a0, v2
	v_add_u32_e32 v12, 0x1c0, v3
	v_mov_b32_e32 v13, v5
	v_add_u32_e32 v14, 0x2a0, v3
	v_mov_b32_e32 v15, v5
	v_lshl_add_u64 v[24:25], v[4:5], 2, s[6:7]
	v_add_u32_e32 v4, 0x380, v2
	v_lshl_add_u64 v[12:13], v[12:13], 2, s[6:7]
	v_lshl_add_u64 v[14:15], v[14:15], 2, s[6:7]
	global_load_dword v26, v[10:11], off
	global_load_dword v27, v[12:13], off
	;; [unrolled: 1-line block ×4, first 2 shown]
	v_lshl_add_u64 v[10:11], v[4:5], 2, s[6:7]
	v_add_u32_e32 v4, 0x460, v2
	v_add_u32_e32 v16, 0x380, v3
	v_mov_b32_e32 v17, v5
	v_add_u32_e32 v18, 0x460, v3
	v_mov_b32_e32 v19, v5
	v_lshl_add_u64 v[12:13], v[4:5], 2, s[6:7]
	v_add_u32_e32 v4, 0x540, v2
	v_add_u32_e32 v20, 0x540, v3
	v_mov_b32_e32 v21, v5
	v_add_u32_e32 v22, 0x620, v3
	v_mov_b32_e32 v23, v5
	v_lshl_add_u64 v[16:17], v[16:17], 2, s[6:7]
	v_lshl_add_u64 v[18:19], v[18:19], 2, s[6:7]
	global_load_dword v14, v[10:11], off
	global_load_dword v15, v[16:17], off
	;; [unrolled: 1-line block ×4, first 2 shown]
	v_lshl_add_u64 v[10:11], v[4:5], 2, s[6:7]
	v_add_u32_e32 v4, 0x620, v2
	v_lshl_add_u64 v[20:21], v[20:21], 2, s[6:7]
	v_lshl_add_u64 v[22:23], v[22:23], 2, s[6:7]
	;; [unrolled: 1-line block ×3, first 2 shown]
	global_load_dword v16, v[10:11], off
	global_load_dword v17, v[20:21], off
	;; [unrolled: 1-line block ×4, first 2 shown]
	v_add_u32_e32 v8, -8, v8
	s_add_i32 s13, s13, 16
	v_cmp_eq_u32_e32 vcc, 0, v8
	v_add_u32_e32 v10, 0x200, v9
	v_add_u32_e32 v11, 0x600, v9
	;; [unrolled: 1-line block ×8, first 2 shown]
	v_mov_b32_e32 v4, s13
	s_or_b64 s[10:11], vcc, s[10:11]
	v_add_u32_e32 v2, 0x700, v2
	s_waitcnt vmcnt(14)
	ds_write2_b32 v9, v1, v28 offset1:112
	v_add_u32_e32 v9, 0x1c00, v9
	s_waitcnt vmcnt(12)
	ds_write2_b32 v10, v29, v30 offset0:96 offset1:208
	s_waitcnt vmcnt(10)
	ds_write2_b32 v11, v26, v27 offset0:64 offset1:176
	;; [unrolled: 2-line block ×7, first 2 shown]
	s_andn2_b64 exec, exec, s[10:11]
	s_cbranch_execnz .LBB23_4
; %bb.5:
	s_or_b64 exec, exec, s[10:11]
.LBB23_6:
	s_or_b64 exec, exec, s[8:9]
	v_and_b32_e32 v1, 7, v7
	v_cmp_ne_u32_e32 vcc, 0, v1
	s_and_saveexec_b64 s[8:9], vcc
	s_cbranch_execz .LBB23_9
; %bb.7:
	s_movk_i32 s10, 0x1c0
	v_mul_lo_u32 v4, v4, s10
	v_lshlrev_b32_e32 v5, 2, v0
	v_add3_u32 v7, v4, v5, 0
	s_mov_b64 s[10:11], 0
	v_mov_b32_e32 v5, 0
.LBB23_8:                               ; =>This Inner Loop Header: Depth=1
	v_mov_b32_e32 v4, v2
	v_lshl_add_u64 v[8:9], v[4:5], 2, s[6:7]
	v_mov_b32_e32 v4, v3
	v_lshl_add_u64 v[10:11], v[4:5], 2, s[6:7]
	global_load_dword v4, v[8:9], off
	global_load_dword v12, v[10:11], off
	v_add_u32_e32 v1, -1, v1
	v_cmp_eq_u32_e32 vcc, 0, v1
	v_add_u32_e32 v2, 0xe0, v2
	v_add_u32_e32 v3, 0xe0, v3
	s_or_b64 s[10:11], vcc, s[10:11]
	s_waitcnt vmcnt(0)
	ds_write2_b32 v7, v4, v12 offset1:112
	v_add_u32_e32 v7, 0x380, v7
	s_andn2_b64 exec, exec, s[10:11]
	s_cbranch_execnz .LBB23_8
.LBB23_9:
	s_or_b64 exec, exec, s[8:9]
	v_add_u32_e32 v1, 1, v6
	v_and_b32_e32 v4, 0x7fffffe, v1
	s_movk_i32 s6, 0x70
	v_mad_u64_u32 v[2:3], s[6:7], v4, s6, v[0:1]
	v_cmp_ne_u32_e32 vcc, v1, v4
	s_orn2_b64 s[6:7], vcc, exec
.LBB23_10:
	s_or_b64 exec, exec, s[4:5]
	s_and_b64 exec, exec, s[6:7]
	s_cbranch_execz .LBB23_13
; %bb.11:
	s_lshl_b64 s[4:5], s[2:3], 3
	s_add_u32 s4, s18, s4
	v_mov_b32_e32 v3, 0
	s_addc_u32 s5, s19, s5
	v_lshl_add_u64 v[4:5], v[2:3], 2, s[4:5]
	v_lshl_add_u32 v1, v2, 2, 0
	s_mov_b64 s[4:5], 0
	s_mov_b64 s[6:7], 0x1c0
.LBB23_12:                              ; =>This Inner Loop Header: Depth=1
	global_load_dword v3, v[4:5], off
	v_add_u32_e32 v2, 0x70, v2
	v_cmp_le_i32_e32 vcc, s12, v2
	v_lshl_add_u64 v[4:5], v[4:5], 0, s[6:7]
	s_or_b64 s[4:5], vcc, s[4:5]
	s_waitcnt vmcnt(0)
	ds_write_b32 v1, v3
	v_add_u32_e32 v1, 0x1c0, v1
	s_andn2_b64 exec, exec, s[4:5]
	s_cbranch_execnz .LBB23_12
.LBB23_13:
	s_or_b64 exec, exec, s[0:1]
	v_mov_b32_e32 v1, 0
	s_waitcnt lgkmcnt(0)
	s_barrier
	ds_read_b32 v1, v1
	s_cmp_lt_i32 s23, 2
	s_cbranch_scc1 .LBB23_21
; %bb.14:
	s_cmp_eq_u32 s23, 2
	s_cbranch_scc1 .LBB23_18
; %bb.15:
	s_add_i32 s3, s23, -1
	s_and_b32 s4, s3, -2
	s_add_i32 s6, 0, 8
	s_mov_b32 s5, 2
	s_waitcnt lgkmcnt(0)
	v_mov_b32_e32 v4, v1
.LBB23_16:                              ; =>This Inner Loop Header: Depth=1
	v_mov_b32_e32 v2, v1
	v_mov_b32_e32 v1, s6
	;; [unrolled: 1-line block ×3, first 2 shown]
	ds_read2_b32 v[4:5], v1 offset1:2
	s_cmp_lg_u32 s4, s5
	s_cselect_b64 s[8:9], -1, 0
	v_max_f32_e32 v1, v3, v3
	v_max_f32_e32 v6, v2, v2
	s_waitcnt lgkmcnt(0)
	v_cmp_u_f32_e32 vcc, v5, v5
	v_max_f32_e32 v7, v5, v5
	v_max_f32_e32 v8, v4, v4
	v_cndmask_b32_e64 v5, 0, 1, vcc
	v_cmp_u_f32_e32 vcc, v4, v4
	v_readfirstlane_b32 s0, v5
	s_lshl_b32 s0, s0, 1
	v_cndmask_b32_e64 v9, 0, 1, vcc
	v_max_f32_e32 v4, v1, v7
	v_readfirstlane_b32 s1, v9
	s_or_b32 s0, s1, s0
	s_and_b32 s7, s0, 3
	s_cmp_lg_u32 s7, 0
	s_cselect_b64 s[0:1], -1, 0
	s_cmp_eq_u32 s7, 0
	s_cselect_b64 s[10:11], -1, 0
	s_and_b64 s[8:9], s[10:11], s[8:9]
	v_max_f32_e32 v1, v6, v8
	s_add_i32 s5, s5, 2
	s_add_i32 s6, s6, 16
	s_and_b64 vcc, exec, s[8:9]
	s_cbranch_vccnz .LBB23_16
; %bb.17:
	s_add_i32 s5, s5, -4
	s_and_b64 s[6:7], s[0:1], exec
	s_cselect_b32 s5, s5, s3
	s_or_b32 s5, s5, 1
	v_cndmask_b32_e64 v1, v1, v2, s[0:1]
	v_cndmask_b32_e64 v2, v4, v3, s[0:1]
	s_cmp_lg_u32 s3, s4
	v_max_f32_e32 v2, v2, v2
	v_max_f32_e32 v1, v1, v1
	s_cselect_b64 s[6:7], -1, 0
	v_max_f32_e32 v1, v1, v2
	s_or_b64 s[0:1], s[6:7], s[0:1]
	s_and_b64 vcc, exec, s[0:1]
	s_cbranch_vccnz .LBB23_19
	s_branch .LBB23_21
.LBB23_18:
	s_mov_b32 s5, 1
	s_cbranch_execz .LBB23_21
.LBB23_19:
	s_lshl_b32 s1, s5, 3
	s_sub_i32 s0, s23, s5
	s_add_i32 s1, s1, 0
.LBB23_20:                              ; =>This Inner Loop Header: Depth=1
	v_mov_b32_e32 v2, s1
	ds_read_b32 v2, v2
	s_waitcnt lgkmcnt(1)
	v_max_f32_e32 v1, v1, v1
	s_add_i32 s0, s0, -1
	s_add_i32 s1, s1, 8
	s_cmp_eq_u32 s0, 0
	s_waitcnt lgkmcnt(0)
	v_max_f32_e32 v2, v2, v2
	v_max_f32_e32 v1, v1, v2
	s_cbranch_scc0 .LBB23_20
.LBB23_21:
	s_cmp_lt_i32 s23, 1
	s_cbranch_scc1 .LBB23_26
; %bb.22:
	s_mul_i32 s18, s2, 0x70
	s_ashr_i32 s19, s18, 31
	s_cmp_lt_u32 s23, 8
	s_cbranch_scc1 .LBB23_27
; %bb.23:
	s_lshl_b64 s[0:1], s[18:19], 2
	s_add_u32 s20, s16, s0
	v_mov_b32_e32 v7, 0
	s_addc_u32 s21, s17, s1
	s_and_b32 s24, s23, 0x7ffffff8
	v_add_u32_e32 v4, 0x1c0, v0
	s_mov_b32 s25, 0
	s_mov_b32 s26, 0x3fb8aa3b
	;; [unrolled: 1-line block ×4, first 2 shown]
	v_mov_b32_e32 v8, 0x7f800000
	s_mov_b32 s29, 0
	v_mov_b32_e32 v2, v7
	v_mov_b32_e32 v3, v7
.LBB23_24:                              ; =>This Inner Loop Header: Depth=1
	v_add_u32_e32 v6, 0xfffffe40, v4
	v_mov_b32_e32 v9, s25
	v_lshl_add_u64 v[26:27], v[6:7], 2, s[20:21]
	v_add_u32_e32 v6, 0xfffffeb0, v4
	ds_read2_b64 v[10:13], v9 offset1:1
	ds_read2_b64 v[14:17], v9 offset0:2 offset1:3
	ds_read2_b64 v[18:21], v9 offset0:4 offset1:5
	;; [unrolled: 1-line block ×3, first 2 shown]
	v_lshl_add_u64 v[30:31], v[6:7], 2, s[20:21]
	v_add_u32_e32 v6, 0xffffff20, v4
	global_load_dword v33, v[26:27], off
	global_load_dword v35, v[30:31], off
	v_lshl_add_u64 v[26:27], v[6:7], 2, s[20:21]
	v_add_u32_e32 v6, 0xffffff90, v4
	v_mov_b32_e32 v5, v7
	v_lshl_add_u64 v[30:31], v[6:7], 2, s[20:21]
	v_add_u32_e32 v6, 0x70, v4
	v_lshl_add_u64 v[28:29], v[4:5], 2, s[20:21]
	global_load_dword v37, v[26:27], off
	global_load_dword v39, v[30:31], off
	global_load_dword v41, v[28:29], off
	v_lshl_add_u64 v[26:27], v[6:7], 2, s[20:21]
	v_add_u32_e32 v6, 0xe0, v4
	s_waitcnt lgkmcnt(3)
	v_mov_b32_e32 v32, v11
	v_sub_f32_e32 v9, v12, v1
	v_mov_b32_e32 v34, v13
	global_load_dword v11, v[26:27], off
	v_lshl_add_u64 v[12:13], v[6:7], 2, s[20:21]
	v_add_u32_e32 v6, 0x150, v4
	s_waitcnt lgkmcnt(2)
	v_mov_b32_e32 v36, v15
	global_load_dword v15, v[12:13], off
	v_lshl_add_u64 v[12:13], v[6:7], 2, s[20:21]
	v_mov_b32_e32 v38, v17
	global_load_dword v17, v[12:13], off
	v_sub_f32_e32 v5, v10, v1
	s_waitcnt lgkmcnt(1)
	v_mov_b32_e32 v40, v19
	v_sub_f32_e32 v19, v20, v1
	s_waitcnt lgkmcnt(0)
	v_sub_f32_e32 v20, v22, v1
	v_mul_f32_e32 v22, 0x3fb8aa3b, v5
	v_sub_f32_e32 v28, v14, v1
	v_sub_f32_e32 v29, v16, v1
	v_mov_b32_e32 v14, v23
	v_mul_f32_e32 v23, 0x3fb8aa3b, v9
	v_fma_f32 v6, v5, s26, -v22
	v_rndne_f32_e32 v42, v22
	v_sub_f32_e32 v18, v18, v1
	v_mov_b32_e32 v10, v21
	v_sub_f32_e32 v21, v24, v1
	v_mov_b32_e32 v16, v25
	v_mul_f32_e32 v24, 0x3fb8aa3b, v28
	v_mul_f32_e32 v25, 0x3fb8aa3b, v29
	v_fma_f32 v43, v9, s26, -v23
	v_rndne_f32_e32 v44, v23
	v_fmac_f32_e32 v6, 0x32a5705f, v5
	v_sub_f32_e32 v12, v22, v42
	v_mul_f32_e32 v26, 0x3fb8aa3b, v18
	v_mul_f32_e32 v27, 0x3fb8aa3b, v19
	;; [unrolled: 1-line block ×3, first 2 shown]
	v_fma_f32 v45, v28, s26, -v24
	v_rndne_f32_e32 v46, v24
	v_fma_f32 v47, v29, s26, -v25
	v_rndne_f32_e32 v48, v25
	v_fmac_f32_e32 v43, 0x32a5705f, v9
	v_sub_f32_e32 v22, v23, v44
	v_add_f32_e32 v6, v12, v6
	v_fma_f32 v49, v18, s26, -v26
	v_rndne_f32_e32 v50, v26
	v_fma_f32 v51, v19, s26, -v27
	v_rndne_f32_e32 v52, v27
	;; [unrolled: 2-line block ×3, first 2 shown]
	v_cvt_i32_f32_e32 v13, v42
	v_fmac_f32_e32 v45, 0x32a5705f, v28
	v_sub_f32_e32 v24, v24, v46
	v_fmac_f32_e32 v47, 0x32a5705f, v29
	v_sub_f32_e32 v25, v25, v48
	v_add_f32_e32 v12, v22, v43
	v_exp_f32_e32 v6, v6
	v_cvt_i32_f32_e32 v23, v44
	v_fmac_f32_e32 v49, 0x32a5705f, v18
	v_sub_f32_e32 v26, v26, v50
	v_fmac_f32_e32 v51, 0x32a5705f, v19
	v_sub_f32_e32 v27, v27, v52
	;; [unrolled: 2-line block ×3, first 2 shown]
	v_add_f32_e32 v22, v24, v45
	v_add_f32_e32 v24, v25, v47
	v_exp_f32_e32 v12, v12
	v_mul_f32_e32 v31, 0x3fb8aa3b, v21
	v_cvt_i32_f32_e32 v42, v46
	v_cvt_i32_f32_e32 v44, v48
	v_add_f32_e32 v25, v26, v49
	v_add_f32_e32 v26, v27, v51
	;; [unrolled: 1-line block ×3, first 2 shown]
	v_exp_f32_e32 v22, v22
	v_exp_f32_e32 v24, v24
	v_fma_f32 v55, v21, s26, -v31
	v_rndne_f32_e32 v56, v31
	v_cvt_i32_f32_e32 v46, v50
	v_cvt_i32_f32_e32 v48, v52
	;; [unrolled: 1-line block ×3, first 2 shown]
	v_exp_f32_e32 v25, v25
	v_exp_f32_e32 v26, v26
	;; [unrolled: 1-line block ×3, first 2 shown]
	v_fmac_f32_e32 v55, 0x32a5705f, v21
	v_sub_f32_e32 v31, v31, v56
	v_ldexp_f32 v6, v6, v13
	v_cmp_ngt_f32_e64 s[12:13], s27, v5
	v_add_f32_e32 v30, v31, v55
	v_ldexp_f32 v12, v12, v23
	v_cmp_ngt_f32_e32 vcc, s27, v9
	v_cndmask_b32_e64 v6, 0, v6, s[12:13]
	v_cmp_nlt_f32_e64 s[12:13], s28, v5
	v_cvt_i32_f32_e32 v52, v56
	v_exp_f32_e32 v30, v30
	v_ldexp_f32 v13, v22, v42
	v_cmp_ngt_f32_e64 s[0:1], s27, v28
	v_ldexp_f32 v22, v24, v44
	v_cmp_ngt_f32_e64 s[2:3], s27, v29
	v_cndmask_b32_e32 v12, 0, v12, vcc
	v_cmp_nlt_f32_e32 vcc, s28, v9
	v_cndmask_b32_e64 v6, v8, v6, s[12:13]
	v_ldexp_f32 v23, v25, v46
	v_cmp_ngt_f32_e64 s[4:5], s27, v18
	v_ldexp_f32 v24, v26, v48
	v_cmp_ngt_f32_e64 s[6:7], s27, v19
	;; [unrolled: 2-line block ×3, first 2 shown]
	v_cndmask_b32_e64 v9, 0, v13, s[0:1]
	v_cmp_nlt_f32_e64 s[0:1], s28, v28
	v_cndmask_b32_e64 v13, 0, v22, s[2:3]
	v_cndmask_b32_e32 v12, v8, v12, vcc
	s_waitcnt vmcnt(7)
	v_pk_fma_f32 v[2:3], v[6:7], v[32:33], v[2:3] op_sel_hi:[0,1,1]
	v_cmp_nlt_f32_e64 s[2:3], s28, v29
	v_cndmask_b32_e64 v22, 0, v23, s[4:5]
	v_cmp_nlt_f32_e64 s[4:5], s28, v18
	v_cndmask_b32_e64 v23, 0, v24, s[6:7]
	;; [unrolled: 2-line block ×3, first 2 shown]
	v_cndmask_b32_e64 v18, v8, v9, s[0:1]
	s_waitcnt vmcnt(6)
	v_pk_fma_f32 v[2:3], v[12:13], v[34:35], v[2:3] op_sel_hi:[0,1,1]
	v_cmp_nlt_f32_e64 s[8:9], s28, v20
	v_cndmask_b32_e64 v20, v8, v13, s[2:3]
	s_waitcnt vmcnt(5)
	v_pk_fma_f32 v[2:3], v[18:19], v[36:37], v[2:3] op_sel_hi:[0,1,1]
	v_ldexp_f32 v26, v30, v52
	v_cmp_ngt_f32_e64 s[10:11], s27, v21
	v_cndmask_b32_e64 v22, v8, v22, s[4:5]
	s_waitcnt vmcnt(4)
	v_pk_fma_f32 v[2:3], v[20:21], v[38:39], v[2:3] op_sel_hi:[0,1,1]
	v_cndmask_b32_e64 v25, 0, v26, s[10:11]
	v_cndmask_b32_e64 v24, v8, v23, s[6:7]
	s_waitcnt vmcnt(3)
	v_pk_fma_f32 v[2:3], v[22:23], v[40:41], v[2:3] op_sel_hi:[0,1,1]
	v_cmp_nlt_f32_e64 s[10:11], s28, v21
	v_cndmask_b32_e64 v26, v8, v19, s[8:9]
	s_waitcnt vmcnt(2)
	v_pk_fma_f32 v[2:3], v[24:25], v[10:11], v[2:3] op_sel_hi:[0,1,1]
	s_add_i32 s29, s29, 8
	s_add_i32 s25, s25, 64
	v_cndmask_b32_e64 v28, v8, v25, s[10:11]
	s_waitcnt vmcnt(1)
	v_pk_fma_f32 v[2:3], v[26:27], v[14:15], v[2:3] op_sel_hi:[0,1,1]
	s_cmp_eq_u32 s24, s29
	v_add_u32_e32 v4, 0x380, v4
	s_waitcnt vmcnt(0)
	v_pk_fma_f32 v[2:3], v[28:29], v[16:17], v[2:3] op_sel_hi:[0,1,1]
	s_cbranch_scc0 .LBB23_24
; %bb.25:
	s_and_b32 s2, s23, 7
	s_cmp_eq_u32 s2, 0
	s_cbranch_scc0 .LBB23_28
	s_branch .LBB23_30
.LBB23_26:
	s_waitcnt lgkmcnt(0)
	v_mov_b32_e32 v1, 0x7fc00000
	s_branch .LBB23_31
.LBB23_27:
	v_mov_b32_e32 v2, 0
	s_mov_b32 s24, 0
	v_mov_b32_e32 v3, v2
	s_and_b32 s2, s23, 7
	s_cmp_eq_u32 s2, 0
	s_cbranch_scc1 .LBB23_30
.LBB23_28:
	s_lshl_b64 s[0:1], s[18:19], 2
	s_mul_i32 s3, s24, 0x70
	s_add_u32 s0, s16, s0
	v_add_u32_e32 v4, s3, v0
	v_mov_b32_e32 v5, 0
	s_addc_u32 s1, s17, s1
	v_lshl_add_u64 v[4:5], v[4:5], 2, s[0:1]
	s_lshl_b32 s0, s24, 3
	s_add_i32 s3, s0, 0
	s_mov_b32 s4, 0x3fb8aa3b
	s_mov_b32 s5, 0xc2ce8ed0
	;; [unrolled: 1-line block ×3, first 2 shown]
	v_mov_b32_e32 v6, 0x7f800000
	s_mov_b64 s[0:1], 0x1c0
.LBB23_29:                              ; =>This Inner Loop Header: Depth=1
	global_load_dword v9, v[4:5], off
	v_mov_b32_e32 v7, s3
	ds_read_b64 v[10:11], v7
	s_add_i32 s3, s3, 8
	s_add_i32 s2, s2, -1
	v_lshl_add_u64 v[4:5], v[4:5], 0, s[0:1]
	s_cmp_lg_u32 s2, 0
	s_waitcnt lgkmcnt(0)
	v_sub_f32_e32 v7, v10, v1
	v_mul_f32_e32 v8, 0x3fb8aa3b, v7
	v_fma_f32 v10, v7, s4, -v8
	v_rndne_f32_e32 v12, v8
	v_fmac_f32_e32 v10, 0x32a5705f, v7
	v_sub_f32_e32 v8, v8, v12
	v_add_f32_e32 v8, v8, v10
	v_cvt_i32_f32_e32 v12, v12
	v_exp_f32_e32 v10, v8
	v_cmp_ngt_f32_e32 vcc, s5, v7
	v_mov_b32_e32 v8, v11
	v_ldexp_f32 v10, v10, v12
	v_cndmask_b32_e32 v10, 0, v10, vcc
	v_cmp_nlt_f32_e32 vcc, s6, v7
	s_nop 1
	v_cndmask_b32_e32 v10, v6, v10, vcc
	s_waitcnt vmcnt(0)
	v_pk_fma_f32 v[2:3], v[10:11], v[8:9], v[2:3] op_sel_hi:[0,1,1]
	s_cbranch_scc1 .LBB23_29
.LBB23_30:
	s_waitcnt lgkmcnt(0)
	v_div_scale_f32 v1, s[0:1], v2, v2, v3
	v_rcp_f32_e32 v4, v1
	v_div_scale_f32 v5, vcc, v3, v2, v3
	v_fma_f32 v6, -v1, v4, 1.0
	v_fmac_f32_e32 v4, v6, v4
	v_mul_f32_e32 v6, v5, v4
	v_fma_f32 v7, -v1, v6, v5
	v_fmac_f32_e32 v6, v7, v4
	v_fma_f32 v1, -v1, v6, v5
	v_div_fmas_f32 v1, v1, v4, v6
	v_div_fixup_f32 v1, v1, v2, v3
.LBB23_31:
	s_mul_i32 s0, s22, 0x70
	s_ashr_i32 s1, s0, 31
	s_lshl_b64 s[0:1], s[0:1], 2
	s_add_u32 s0, s14, s0
	s_addc_u32 s1, s15, s1
	v_lshlrev_b32_e32 v0, 2, v0
	global_store_dword v0, v1, s[0:1]
	s_endpgm
	.section	.rodata,"a",@progbits
	.p2align	6, 0x0
	.amdhsa_kernel _ZL26flash_attn_combine_resultsILi112EEvPKfPK15HIP_vector_typeIfLj2EEPfi
		.amdhsa_group_segment_fixed_size 0
		.amdhsa_private_segment_fixed_size 0
		.amdhsa_kernarg_size 288
		.amdhsa_user_sgpr_count 2
		.amdhsa_user_sgpr_dispatch_ptr 0
		.amdhsa_user_sgpr_queue_ptr 0
		.amdhsa_user_sgpr_kernarg_segment_ptr 1
		.amdhsa_user_sgpr_dispatch_id 0
		.amdhsa_user_sgpr_kernarg_preload_length 0
		.amdhsa_user_sgpr_kernarg_preload_offset 0
		.amdhsa_user_sgpr_private_segment_size 0
		.amdhsa_uses_dynamic_stack 0
		.amdhsa_enable_private_segment 0
		.amdhsa_system_sgpr_workgroup_id_x 1
		.amdhsa_system_sgpr_workgroup_id_y 1
		.amdhsa_system_sgpr_workgroup_id_z 1
		.amdhsa_system_sgpr_workgroup_info 0
		.amdhsa_system_vgpr_workitem_id 0
		.amdhsa_next_free_vgpr 57
		.amdhsa_next_free_sgpr 30
		.amdhsa_accum_offset 60
		.amdhsa_reserve_vcc 1
		.amdhsa_float_round_mode_32 0
		.amdhsa_float_round_mode_16_64 0
		.amdhsa_float_denorm_mode_32 3
		.amdhsa_float_denorm_mode_16_64 3
		.amdhsa_dx10_clamp 1
		.amdhsa_ieee_mode 1
		.amdhsa_fp16_overflow 0
		.amdhsa_tg_split 0
		.amdhsa_exception_fp_ieee_invalid_op 0
		.amdhsa_exception_fp_denorm_src 0
		.amdhsa_exception_fp_ieee_div_zero 0
		.amdhsa_exception_fp_ieee_overflow 0
		.amdhsa_exception_fp_ieee_underflow 0
		.amdhsa_exception_fp_ieee_inexact 0
		.amdhsa_exception_int_div_zero 0
	.end_amdhsa_kernel
	.section	.text._ZL26flash_attn_combine_resultsILi112EEvPKfPK15HIP_vector_typeIfLj2EEPfi,"axG",@progbits,_ZL26flash_attn_combine_resultsILi112EEvPKfPK15HIP_vector_typeIfLj2EEPfi,comdat
.Lfunc_end23:
	.size	_ZL26flash_attn_combine_resultsILi112EEvPKfPK15HIP_vector_typeIfLj2EEPfi, .Lfunc_end23-_ZL26flash_attn_combine_resultsILi112EEvPKfPK15HIP_vector_typeIfLj2EEPfi
                                        ; -- End function
	.set _ZL26flash_attn_combine_resultsILi112EEvPKfPK15HIP_vector_typeIfLj2EEPfi.num_vgpr, 57
	.set _ZL26flash_attn_combine_resultsILi112EEvPKfPK15HIP_vector_typeIfLj2EEPfi.num_agpr, 0
	.set _ZL26flash_attn_combine_resultsILi112EEvPKfPK15HIP_vector_typeIfLj2EEPfi.numbered_sgpr, 30
	.set _ZL26flash_attn_combine_resultsILi112EEvPKfPK15HIP_vector_typeIfLj2EEPfi.num_named_barrier, 0
	.set _ZL26flash_attn_combine_resultsILi112EEvPKfPK15HIP_vector_typeIfLj2EEPfi.private_seg_size, 0
	.set _ZL26flash_attn_combine_resultsILi112EEvPKfPK15HIP_vector_typeIfLj2EEPfi.uses_vcc, 1
	.set _ZL26flash_attn_combine_resultsILi112EEvPKfPK15HIP_vector_typeIfLj2EEPfi.uses_flat_scratch, 0
	.set _ZL26flash_attn_combine_resultsILi112EEvPKfPK15HIP_vector_typeIfLj2EEPfi.has_dyn_sized_stack, 0
	.set _ZL26flash_attn_combine_resultsILi112EEvPKfPK15HIP_vector_typeIfLj2EEPfi.has_recursion, 0
	.set _ZL26flash_attn_combine_resultsILi112EEvPKfPK15HIP_vector_typeIfLj2EEPfi.has_indirect_call, 0
	.section	.AMDGPU.csdata,"",@progbits
; Kernel info:
; codeLenInByte = 3040
; TotalNumSgprs: 36
; NumVgprs: 57
; NumAgprs: 0
; TotalNumVgprs: 57
; ScratchSize: 0
; MemoryBound: 0
; FloatMode: 240
; IeeeMode: 1
; LDSByteSize: 0 bytes/workgroup (compile time only)
; SGPRBlocks: 4
; VGPRBlocks: 7
; NumSGPRsForWavesPerEU: 36
; NumVGPRsForWavesPerEU: 57
; AccumOffset: 60
; Occupancy: 8
; WaveLimiterHint : 0
; COMPUTE_PGM_RSRC2:SCRATCH_EN: 0
; COMPUTE_PGM_RSRC2:USER_SGPR: 2
; COMPUTE_PGM_RSRC2:TRAP_HANDLER: 0
; COMPUTE_PGM_RSRC2:TGID_X_EN: 1
; COMPUTE_PGM_RSRC2:TGID_Y_EN: 1
; COMPUTE_PGM_RSRC2:TGID_Z_EN: 1
; COMPUTE_PGM_RSRC2:TIDIG_COMP_CNT: 0
; COMPUTE_PGM_RSRC3_GFX90A:ACCUM_OFFSET: 14
; COMPUTE_PGM_RSRC3_GFX90A:TG_SPLIT: 0
	.section	.text._ZL18flash_attn_ext_f16ILi128ELi128ELi16ELi4ELb0ELb0EEvPKcS1_S1_S1_S1_PKiPfP15HIP_vector_typeIfLj2EEffffjfiS5_IjLj3EEiiiiiiiiiiiliiliiiiil,"axG",@progbits,_ZL18flash_attn_ext_f16ILi128ELi128ELi16ELi4ELb0ELb0EEvPKcS1_S1_S1_S1_PKiPfP15HIP_vector_typeIfLj2EEffffjfiS5_IjLj3EEiiiiiiiiiiiliiliiiiil,comdat
	.globl	_ZL18flash_attn_ext_f16ILi128ELi128ELi16ELi4ELb0ELb0EEvPKcS1_S1_S1_S1_PKiPfP15HIP_vector_typeIfLj2EEffffjfiS5_IjLj3EEiiiiiiiiiiiliiliiiiil ; -- Begin function _ZL18flash_attn_ext_f16ILi128ELi128ELi16ELi4ELb0ELb0EEvPKcS1_S1_S1_S1_PKiPfP15HIP_vector_typeIfLj2EEffffjfiS5_IjLj3EEiiiiiiiiiiiliiliiiiil
	.p2align	8
	.type	_ZL18flash_attn_ext_f16ILi128ELi128ELi16ELi4ELb0ELb0EEvPKcS1_S1_S1_S1_PKiPfP15HIP_vector_typeIfLj2EEffffjfiS5_IjLj3EEiiiiiiiiiiiliiliiiiil,@function
_ZL18flash_attn_ext_f16ILi128ELi128ELi16ELi4ELb0ELb0EEvPKcS1_S1_S1_S1_PKiPfP15HIP_vector_typeIfLj2EEffffjfiS5_IjLj3EEiiiiiiiiiiiliiliiiiil: ; @_ZL18flash_attn_ext_f16ILi128ELi128ELi16ELi4ELb0ELb0EEvPKcS1_S1_S1_S1_PKiPfP15HIP_vector_typeIfLj2EEffffjfiS5_IjLj3EEiiiiiiiiiiiliiliiiiil
; %bb.0:
	s_load_dwordx2 s[4:5], s[0:1], 0x80
	s_load_dwordx4 s[24:27], s[0:1], 0x64
	s_mov_b32 s28, s2
                                        ; implicit-def: $vgpr255 : SGPR spill to VGPR lane
	s_load_dword s29, s[0:1], 0xd0
	s_mov_b32 s6, 0
	s_waitcnt lgkmcnt(0)
	s_abs_i32 s2, s5
	v_cvt_f32_u32_e32 v1, s2
	s_sub_i32 s8, 0, s2
	s_abs_i32 s7, s25
	s_xor_b32 s3, s25, s5
	v_rcp_iflag_f32_e32 v1, v1
	s_ashr_i32 s3, s3, 31
	v_mul_f32_e32 v1, 0x4f7ffffe, v1
	v_cvt_u32_f32_e32 v1, v1
	s_nop 0
	v_readfirstlane_b32 s9, v1
	s_mul_i32 s8, s8, s9
	s_mul_hi_u32 s8, s9, s8
	s_add_i32 s9, s9, s8
	s_mul_hi_u32 s8, s7, s9
	s_mul_i32 s9, s8, s2
	s_sub_i32 s7, s7, s9
	s_add_i32 s10, s8, 1
	s_sub_i32 s9, s7, s2
	s_cmp_ge_u32 s7, s2
	s_cselect_b32 s8, s10, s8
	s_cselect_b32 s7, s9, s7
	s_add_i32 s9, s8, 1
	s_cmp_ge_u32 s7, s2
	s_cselect_b32 s2, s9, s8
	s_add_i32 s4, s4, 63
	s_xor_b32 s2, s2, s3
	s_ashr_i32 s7, s4, 31
	s_sub_i32 s3, s2, s3
	s_lshr_b32 s2, s7, 26
	s_add_i32 s4, s4, s2
	s_add_i32 s2, s24, 15
	s_lshr_b32 s7, s2, 4
	s_add_i32 s2, s3, 3
	s_ashr_i32 s52, s4, 6
	s_ashr_i32 s4, s2, 31
	s_lshr_b32 s4, s4, 30
	s_add_i32 s2, s2, s4
	s_ashr_i32 s2, s2, 2
	s_mul_i32 s4, s7, s52
	s_mul_i32 s63, s4, s2
	;; [unrolled: 1-line block ×4, first 2 shown]
	v_writelane_b32 v255, s7, 0
	s_ashr_i32 s11, s10, 31
	v_writelane_b32 v255, s4, 1
	s_mul_i32 s4, s11, s28
	s_mul_hi_u32 s5, s10, s28
	s_add_i32 s7, s5, s4
	s_add_u32 s4, s0, 0xd0
	s_addc_u32 s5, s1, 0
	v_writelane_b32 v255, s4, 2
	s_cmp_lg_u64 s[6:7], 0
	s_mul_i32 s6, s10, s28
	v_writelane_b32 v255, s5, 3
	s_cbranch_scc0 .LBB24_422
; %bb.1:
	s_add_u32 s4, s29, 0
	s_addc_u32 s5, 0, 0
	s_xor_b64 s[8:9], s[4:5], 0
	v_cvt_f32_u32_e32 v1, s8
	v_cvt_f32_u32_e32 v2, s9
	s_sub_u32 s14, 0, s8
	s_subb_u32 s15, 0, s9
	v_fmamk_f32 v1, v2, 0x4f800000, v1
	v_rcp_f32_e32 v1, v1
	s_nop 0
	v_mul_f32_e32 v1, 0x5f7ffffc, v1
	v_mul_f32_e32 v2, 0x2f800000, v1
	v_trunc_f32_e32 v2, v2
	v_fmamk_f32 v1, v2, 0xcf800000, v1
	v_cvt_u32_f32_e32 v2, v2
	v_cvt_u32_f32_e32 v1, v1
	v_readfirstlane_b32 s16, v2
	v_readfirstlane_b32 s12, v1
	s_mul_i32 s13, s14, s16
	s_mul_hi_u32 s18, s14, s12
	s_mul_i32 s17, s15, s12
	s_add_i32 s13, s18, s13
	s_add_i32 s13, s13, s17
	s_mul_i32 s19, s14, s12
	s_mul_i32 s18, s12, s13
	s_mul_hi_u32 s20, s12, s19
	s_mul_hi_u32 s17, s12, s13
	s_add_u32 s18, s20, s18
	s_addc_u32 s17, 0, s17
	s_mul_hi_u32 s21, s16, s19
	s_mul_i32 s19, s16, s19
	s_add_u32 s18, s18, s19
	s_mul_hi_u32 s20, s16, s13
	s_addc_u32 s17, s17, s21
	s_addc_u32 s18, s20, 0
	s_mul_i32 s13, s16, s13
	s_add_u32 s13, s17, s13
	s_addc_u32 s17, 0, s18
	s_add_u32 s18, s12, s13
	s_cselect_b64 s[12:13], -1, 0
	s_cmp_lg_u64 s[12:13], 0
	s_addc_u32 s16, s16, s17
	s_mul_i32 s12, s14, s16
	s_mul_hi_u32 s13, s14, s18
	s_add_i32 s12, s13, s12
	s_mul_i32 s15, s15, s18
	s_add_i32 s12, s12, s15
	s_mul_i32 s14, s14, s18
	s_mul_hi_u32 s15, s16, s14
	s_mul_i32 s17, s16, s14
	s_mul_i32 s20, s18, s12
	s_mul_hi_u32 s14, s18, s14
	s_mul_hi_u32 s19, s18, s12
	s_add_u32 s14, s14, s20
	s_addc_u32 s19, 0, s19
	s_add_u32 s14, s14, s17
	s_mul_hi_u32 s13, s16, s12
	s_addc_u32 s14, s19, s15
	s_addc_u32 s13, s13, 0
	s_mul_i32 s12, s16, s12
	s_add_u32 s12, s14, s12
	s_addc_u32 s14, 0, s13
	s_add_u32 s17, s18, s12
	s_cselect_b64 s[12:13], -1, 0
	s_cmp_lg_u64 s[12:13], 0
	s_addc_u32 s16, s16, s14
	s_ashr_i32 s12, s7, 31
	s_add_u32 s14, s6, s12
	s_mov_b32 s13, s12
	s_addc_u32 s15, s7, s12
	s_xor_b64 s[14:15], s[14:15], s[12:13]
	s_mul_i32 s18, s14, s16
	s_mul_hi_u32 s19, s14, s17
	s_mul_hi_u32 s7, s14, s16
	s_add_u32 s18, s19, s18
	s_addc_u32 s7, 0, s7
	s_mul_hi_u32 s20, s15, s17
	s_mul_i32 s17, s15, s17
	s_add_u32 s17, s18, s17
	s_mul_hi_u32 s19, s15, s16
	s_addc_u32 s7, s7, s20
	s_addc_u32 s17, s19, 0
	s_mul_i32 s16, s15, s16
	s_add_u32 s7, s7, s16
	s_addc_u32 s20, 0, s17
	s_mul_i32 s16, s8, s20
	s_mul_hi_u32 s17, s8, s7
	s_add_i32 s16, s17, s16
	s_mul_i32 s17, s9, s7
	s_add_i32 s21, s16, s17
	s_sub_i32 s18, s15, s21
	s_mul_i32 s16, s8, s7
	s_sub_u32 s14, s14, s16
	s_cselect_b64 s[16:17], -1, 0
	s_cmp_lg_u64 s[16:17], 0
	s_subb_u32 s22, s18, s9
	s_sub_u32 s23, s14, s8
	s_cselect_b64 s[18:19], -1, 0
	s_cmp_lg_u64 s[18:19], 0
	s_subb_u32 s18, s22, 0
	s_cmp_ge_u32 s18, s9
	s_cselect_b32 s19, -1, 0
	s_cmp_ge_u32 s23, s8
	s_cselect_b32 s22, -1, 0
	s_cmp_eq_u32 s18, s9
	s_cselect_b32 s18, s22, s19
	s_add_u32 s19, s7, 1
	s_addc_u32 s22, s20, 0
	s_add_u32 s23, s7, 2
	s_addc_u32 s26, s20, 0
	s_cmp_lg_u32 s18, 0
	s_cselect_b32 s18, s23, s19
	s_cselect_b32 s19, s26, s22
	s_cmp_lg_u64 s[16:17], 0
	s_subb_u32 s15, s15, s21
	s_cmp_ge_u32 s15, s9
	s_cselect_b32 s16, -1, 0
	s_cmp_ge_u32 s14, s8
	s_cselect_b32 s8, -1, 0
	s_cmp_eq_u32 s15, s9
	s_cselect_b32 s8, s8, s16
	s_cmp_lg_u32 s8, 0
	s_cselect_b32 s9, s19, s20
	s_cselect_b32 s8, s18, s7
	s_xor_b64 s[12:13], s[12:13], 0
	s_xor_b64 s[8:9], s[8:9], s[12:13]
	s_sub_u32 s50, s8, s12
	s_load_dwordx2 s[48:49], s[0:1], 0x74
	v_cvt_f32_u32_e32 v1, s29
	s_cbranch_execnz .LBB24_3
.LBB24_2:
	v_rcp_iflag_f32_e32 v2, v1
	s_sub_i32 s4, 0, s29
	v_mul_f32_e32 v2, 0x4f7ffffe, v2
	v_cvt_u32_f32_e32 v2, v2
	s_nop 0
	v_readfirstlane_b32 s5, v2
	s_mul_i32 s4, s4, s5
	s_mul_hi_u32 s4, s5, s4
	s_add_i32 s5, s5, s4
	s_mul_hi_u32 s4, s6, s5
	s_mul_i32 s7, s4, s29
	s_sub_i32 s6, s6, s7
	s_add_i32 s5, s4, 1
	s_sub_i32 s7, s6, s29
	s_cmp_ge_u32 s6, s29
	s_cselect_b32 s4, s5, s4
	s_cselect_b32 s6, s7, s6
	s_add_i32 s5, s4, 1
	s_cmp_ge_u32 s6, s29
	s_cselect_b32 s50, s5, s4
.LBB24_3:
	s_add_i32 s4, s28, 1
	s_mul_i32 s5, s11, s4
	s_mul_hi_u32 s6, s10, s4
	s_add_i32 s9, s6, s5
	s_mov_b32 s8, 0
	s_cmp_lg_u64 s[8:9], 0
	s_mul_i32 s8, s10, s4
	v_writelane_b32 v255, s28, 4
	s_cbranch_scc0 .LBB24_423
; %bb.4:
	s_add_u32 s4, s29, 0
	s_addc_u32 s5, 0, 0
	s_xor_b64 s[6:7], s[4:5], 0
	v_cvt_f32_u32_e32 v2, s6
	v_cvt_f32_u32_e32 v3, s7
	s_sub_u32 s12, 0, s6
	s_subb_u32 s13, 0, s7
	v_fmamk_f32 v2, v3, 0x4f800000, v2
	v_rcp_f32_e32 v2, v2
	s_nop 0
	v_mul_f32_e32 v2, 0x5f7ffffc, v2
	v_mul_f32_e32 v3, 0x2f800000, v2
	v_trunc_f32_e32 v3, v3
	v_fmamk_f32 v2, v3, 0xcf800000, v2
	v_cvt_u32_f32_e32 v3, v3
	v_cvt_u32_f32_e32 v2, v2
	v_readfirstlane_b32 s14, v3
	v_readfirstlane_b32 s10, v2
	s_mul_i32 s11, s12, s14
	s_mul_hi_u32 s16, s12, s10
	s_mul_i32 s15, s13, s10
	s_add_i32 s11, s16, s11
	s_add_i32 s11, s11, s15
	s_mul_i32 s17, s12, s10
	s_mul_i32 s16, s10, s11
	s_mul_hi_u32 s18, s10, s17
	s_mul_hi_u32 s15, s10, s11
	s_add_u32 s16, s18, s16
	s_addc_u32 s15, 0, s15
	s_mul_hi_u32 s19, s14, s17
	s_mul_i32 s17, s14, s17
	s_add_u32 s16, s16, s17
	s_mul_hi_u32 s18, s14, s11
	s_addc_u32 s15, s15, s19
	s_addc_u32 s16, s18, 0
	s_mul_i32 s11, s14, s11
	s_add_u32 s11, s15, s11
	s_addc_u32 s15, 0, s16
	s_add_u32 s16, s10, s11
	s_cselect_b64 s[10:11], -1, 0
	s_cmp_lg_u64 s[10:11], 0
	s_addc_u32 s14, s14, s15
	s_mul_i32 s10, s12, s14
	s_mul_hi_u32 s11, s12, s16
	s_add_i32 s10, s11, s10
	s_mul_i32 s13, s13, s16
	s_add_i32 s10, s10, s13
	s_mul_i32 s12, s12, s16
	s_mul_hi_u32 s13, s14, s12
	s_mul_i32 s15, s14, s12
	s_mul_i32 s18, s16, s10
	s_mul_hi_u32 s12, s16, s12
	s_mul_hi_u32 s17, s16, s10
	s_add_u32 s12, s12, s18
	s_addc_u32 s17, 0, s17
	s_add_u32 s12, s12, s15
	s_mul_hi_u32 s11, s14, s10
	s_addc_u32 s12, s17, s13
	s_addc_u32 s11, s11, 0
	s_mul_i32 s10, s14, s10
	s_add_u32 s10, s12, s10
	s_addc_u32 s12, 0, s11
	s_add_u32 s15, s16, s10
	s_cselect_b64 s[10:11], -1, 0
	s_cmp_lg_u64 s[10:11], 0
	s_addc_u32 s14, s14, s12
	s_ashr_i32 s10, s9, 31
	s_add_u32 s12, s8, s10
	s_mov_b32 s11, s10
	s_addc_u32 s13, s9, s10
	s_xor_b64 s[12:13], s[12:13], s[10:11]
	s_mul_i32 s16, s12, s14
	s_mul_hi_u32 s17, s12, s15
	s_mul_hi_u32 s9, s12, s14
	s_add_u32 s16, s17, s16
	s_addc_u32 s9, 0, s9
	s_mul_hi_u32 s18, s13, s15
	s_mul_i32 s15, s13, s15
	s_add_u32 s15, s16, s15
	s_mul_hi_u32 s17, s13, s14
	s_addc_u32 s9, s9, s18
	s_addc_u32 s15, s17, 0
	s_mul_i32 s14, s13, s14
	s_add_u32 s9, s9, s14
	s_addc_u32 s18, 0, s15
	s_mul_i32 s14, s6, s18
	s_mul_hi_u32 s15, s6, s9
	s_add_i32 s14, s15, s14
	s_mul_i32 s15, s7, s9
	s_add_i32 s19, s14, s15
	s_sub_i32 s16, s13, s19
	s_mul_i32 s14, s6, s9
	s_sub_u32 s12, s12, s14
	s_cselect_b64 s[14:15], -1, 0
	s_cmp_lg_u64 s[14:15], 0
	s_subb_u32 s20, s16, s7
	s_sub_u32 s21, s12, s6
	s_cselect_b64 s[16:17], -1, 0
	s_cmp_lg_u64 s[16:17], 0
	s_subb_u32 s16, s20, 0
	s_cmp_ge_u32 s16, s7
	s_cselect_b32 s17, -1, 0
	s_cmp_ge_u32 s21, s6
	s_cselect_b32 s20, -1, 0
	s_cmp_eq_u32 s16, s7
	s_cselect_b32 s16, s20, s17
	s_add_u32 s17, s9, 1
	s_addc_u32 s20, s18, 0
	s_add_u32 s21, s9, 2
	s_addc_u32 s22, s18, 0
	s_cmp_lg_u32 s16, 0
	s_cselect_b32 s16, s21, s17
	s_cselect_b32 s17, s22, s20
	s_cmp_lg_u64 s[14:15], 0
	s_subb_u32 s13, s13, s19
	s_cmp_ge_u32 s13, s7
	s_cselect_b32 s14, -1, 0
	s_cmp_ge_u32 s12, s6
	s_cselect_b32 s6, -1, 0
	s_cmp_eq_u32 s13, s7
	s_cselect_b32 s6, s6, s14
	s_cmp_lg_u32 s6, 0
	s_cselect_b32 s7, s17, s18
	s_cselect_b32 s6, s16, s9
	s_xor_b64 s[10:11], s[10:11], 0
	s_xor_b64 s[6:7], s[6:7], s[10:11]
	s_sub_u32 s54, s6, s10
	s_load_dwordx2 s[38:39], s[0:1], 0x5c
	s_cbranch_execnz .LBB24_6
.LBB24_5:
	v_rcp_iflag_f32_e32 v1, v1
	s_sub_i32 s4, 0, s29
	v_mul_f32_e32 v1, 0x4f7ffffe, v1
	v_cvt_u32_f32_e32 v1, v1
	s_nop 0
	v_readfirstlane_b32 s5, v1
	s_mul_i32 s4, s4, s5
	s_mul_hi_u32 s4, s5, s4
	s_add_i32 s5, s5, s4
	s_mul_hi_u32 s4, s8, s5
	s_mul_i32 s6, s4, s29
	s_sub_i32 s6, s8, s6
	s_add_i32 s5, s4, 1
	s_sub_i32 s7, s6, s29
	s_cmp_ge_u32 s6, s29
	s_cselect_b32 s4, s5, s4
	s_cselect_b32 s6, s7, s6
	s_add_i32 s5, s4, 1
	s_cmp_ge_u32 s6, s29
	s_cselect_b32 s54, s5, s4
.LBB24_6:
	s_abs_i32 s53, s52
	v_cvt_f32_u32_e32 v1, s53
	v_writelane_b32 v255, s29, 5
	s_load_dwordx16 s[8:23], s[0:1], 0x0
	s_load_dword s35, s[0:1], 0x40
	s_load_dwordx2 s[4:5], s[0:1], 0x8c
	s_load_dwordx4 s[28:31], s[0:1], 0x98
	s_load_dwordx2 s[42:43], s[0:1], 0xa8
	s_load_dwordx2 s[64:65], s[0:1], 0xb8
	;; [unrolled: 1-line block ×3, first 2 shown]
	s_waitcnt lgkmcnt(0)
	s_mov_b32 s1, s5
	v_rcp_iflag_f32_e32 v1, v1
	s_ashr_i32 s26, s4, 2
	s_sub_i32 s4, 0, s53
	v_writelane_b32 v255, s0, 6
	v_mul_f32_e32 v1, 0x4f7ffffe, v1
	v_cvt_u32_f32_e32 v1, v1
	v_writelane_b32 v255, s1, 7
	s_ashr_i32 s1, s52, 31
	v_writelane_b32 v255, s1, 8
	v_readfirstlane_b32 s46, v1
	s_mul_i32 s4, s4, s46
	s_mul_hi_u32 s4, s46, s4
	s_abs_i32 s1, s50
	s_add_i32 s46, s46, s4
	s_mul_hi_u32 s4, s1, s46
	s_mul_i32 s4, s4, s53
	s_sub_i32 s1, s1, s4
	s_ashr_i32 s33, s27, 3
	s_ashr_i32 s56, s48, 3
	;; [unrolled: 1-line block ×5, first 2 shown]
	s_sub_i32 s4, s1, s53
	s_cmp_ge_u32 s1, s53
	s_cselect_b32 s1, s4, s1
	s_sub_i32 s4, s1, s53
	s_cmp_ge_u32 s1, s53
	s_cselect_b32 s1, s4, s1
	s_xor_b32 s1, s1, s0
	s_sub_i32 s34, s1, s0
	s_sub_i32 s0, s54, s50
	s_add_i32 s6, s0, s34
	s_min_i32 s62, s52, s6
	s_cmp_gt_i32 s54, s50
	s_cselect_b64 s[4:5], -1, 0
	s_cmp_le_i32 s54, s50
	s_cselect_b64 s[0:1], -1, 0
	s_cmp_gt_i32 s52, s6
	v_cvt_f16_f32_e32 v1, s35
	s_cselect_b64 s[6:7], -1, 0
	v_writelane_b32 v255, s56, 9
	s_or_b64 s[0:1], s[6:7], s[0:1]
	v_bfe_u32 v145, v0, 10, 10
	v_writelane_b32 v255, s64, 10
	s_mov_b32 s61, 0
	s_and_b64 vcc, exec, s[0:1]
	v_bfe_u32 v50, v0, 10, 2
	v_lshrrev_b32_e32 v51, 10, v0
	v_add_u32_e32 v148, 4, v145
	v_add_u32_e32 v147, 8, v145
	;; [unrolled: 1-line block ×15, first 2 shown]
	v_writelane_b32 v255, s65, 11
	s_cbranch_vccnz .LBB24_352
; %bb.7:
	s_cmp_eq_u64 s[16:17], 0
	s_cselect_b64 s[58:59], -1, 0
	s_cmp_lg_u64 s[18:19], 0
	s_cselect_b64 s[0:1], -1, 0
	v_writelane_b32 v255, s0, 12
	v_and_b32_e32 v4, 15, v0
	v_bfe_u32 v6, v0, 1, 9
	v_writelane_b32 v255, s1, 13
	s_movk_i32 s0, 0x1100
	v_mad_u32_u24 v3, v145, s0, 0
	v_mul_u32_u24_e32 v5, 0x110, v4
	v_and_b32_e32 v7, 0x78, v6
	v_add3_u32 v53, v3, v5, v7
	v_bfe_u32 v3, v0, 5, 5
	v_lshl_add_u32 v57, v145, 1, v3
	v_bfe_u32 v3, v0, 4, 6
	v_lshl_add_u32 v3, v145, 2, v3
	v_mul_lo_u32 v58, s26, v3
	s_lshl_b32 s0, s26, 4
	v_add_u32_e32 v60, s0, v58
	v_add_u32_e32 v62, s0, v60
	;; [unrolled: 1-line block ×3, first 2 shown]
	v_readlane_b32 s0, v255, 4
	s_mov_b32 s1, s61
	s_lshl_b32 s60, s0, 6
	v_writelane_b32 v255, s0, 14
	s_ashr_i32 s41, s40, 31
	s_ashr_i32 s27, s26, 31
	;; [unrolled: 1-line block ×3, first 2 shown]
	s_lshl_b32 s7, s36, 4
	v_writelane_b32 v255, s1, 15
	s_lshl_b64 s[0:1], s[60:61], 3
	s_add_u32 s0, s22, s0
	s_addc_u32 s1, s23, s1
	s_abs_i32 s55, s2
	v_mul_u32_u24_e32 v5, 0x110, v3
	v_mul_lo_u32 v66, s36, v3
	v_cvt_f32_u32_e32 v3, s55
	v_and_b32_e32 v52, 0x3ff, v0
	v_lshlrev_b32_e32 v2, 2, v52
	v_and_b32_e32 v56, 60, v2
	v_rcp_iflag_f32_e32 v3, v3
	v_lshlrev_b32_e32 v12, 2, v56
	s_abs_i32 s51, s63
	v_add3_u32 v79, 0, v5, v12
	v_cvt_f32_u32_e32 v12, s51
	v_mul_f32_e32 v3, 0x4f7ffffe, v3
	v_lshlrev_b32_e32 v10, 4, v145
	v_cvt_u32_f32_e32 v3, v3
	v_or_b32_e32 v5, v10, v52
	v_mov_b32_e32 v55, 0
	v_lshlrev_b32_e32 v54, 3, v5
	v_rcp_iflag_f32_e32 v12, v12
	v_lshl_add_u64 v[72:73], s[0:1], 0, v[54:55]
	s_sub_i32 s0, 0, s55
	v_mul_lo_u32 v13, s0, v3
	v_mul_hi_u32 v13, v3, v13
	v_add_u32_e32 v149, v3, v13
	v_mul_f32_e32 v3, 0x4f7ffffe, v12
	v_cvt_u32_f32_e32 v3, v3
	v_readlane_b32 s30, v255, 1
	s_abs_i32 s60, s30
	s_abs_i32 s61, s64
	v_cvt_f32_u32_e32 v12, s60
	v_cvt_f32_u32_e32 v14, s61
	s_sub_i32 s0, 0, s51
	v_mul_lo_u32 v13, s0, v3
	v_mul_hi_u32 v13, v3, v13
	v_rcp_iflag_f32_e32 v12, v12
	v_add_u32_e32 v150, v3, v13
	v_rcp_iflag_f32_e32 v3, v14
	s_sub_i32 s0, 0, s60
	v_mul_f32_e32 v12, 0x4f7ffffe, v12
	v_cvt_u32_f32_e32 v12, v12
	v_mul_f32_e32 v3, 0x4f7ffffe, v3
	v_cvt_u32_f32_e32 v3, v3
	v_bfe_u32 v8, v0, 2, 8
	v_mul_lo_u32 v13, s0, v12
	s_movk_i32 s5, 0x110
	v_readfirstlane_b32 s0, v3
	v_and_b32_e32 v3, 31, v0
	v_lshlrev_b32_e32 v54, 2, v3
	v_or_b32_e32 v3, 3, v8
	v_lshl_add_u32 v155, v4, 1, 0
	v_mul_u32_u24_e32 v157, 0x110, v3
	v_mad_u32_u24 v158, v3, s5, v155
	v_mov_b32_e32 v3, 0x440
	v_mad_u32_u24 v159, v145, s5, v3
	v_mov_b32_e32 v3, 0x880
	;; [unrolled: 2-line block ×5, first 2 shown]
	v_and_or_b32 v11, v0, 12, v10
	v_mad_u32_u24 v163, v145, s5, v3
	v_mov_b32_e32 v3, 0x1980
	s_movk_i32 s6, 0x90
	v_lshrrev_b32_e32 v11, 2, v11
	s_movk_i32 s1, 0x1fc
	v_mad_u32_u24 v164, v145, s5, v3
	v_or_b32_e32 v3, v10, v4
	v_and_b32_e32 v9, 60, v8
	v_add_u32_e32 v152, 0, v7
	v_mad_u32_u24 v7, v11, s6, 0
	v_bitop3_b32 v6, v6, s1, 4 bitop3:0xc8
	v_mul_u32_u24_e32 v165, 0x110, v3
	s_movk_i32 s1, 0x1f0
	v_bfe_u32 v3, v0, 10, 4
	v_add_u32_e32 v153, v7, v6
	v_lshl_add_u32 v154, v9, 1, v7
	v_and_or_b32 v6, v144, s1, v3
	v_and_or_b32 v7, v140, s1, v3
	;; [unrolled: 1-line block ×3, first 2 shown]
	v_mad_u32_u24 v170, v145, s5, 0
	v_mul_u32_u24_e32 v8, 0x110, v6
	v_mad_u32_u24 v166, v6, s5, 0
	v_mul_u32_u24_e32 v6, 0x110, v7
	;; [unrolled: 2-line block ×3, first 2 shown]
	v_mad_u32_u24 v168, v3, s5, 0
	v_add_u32_e32 v3, 0x1dc0, v170
	v_add_u32_e32 v201, v3, v2
	;; [unrolled: 1-line block ×3, first 2 shown]
	scratch_store_dword off, v3, off offset:4 ; 4-byte Folded Spill
	v_add_u32_e32 v3, 0x2640, v170
	v_add_u32_e32 v3, v3, v2
	scratch_store_dword off, v3, off offset:8 ; 4-byte Folded Spill
	v_add_u32_e32 v3, 0x2a80, v170
	v_add_u32_e32 v3, v3, v2
	;; [unrolled: 1-line block ×3, first 2 shown]
	scratch_store_dword off, v3, off offset:12 ; 4-byte Folded Spill
	v_add_u32_e32 v3, 0x2ec0, v170
	v_add_u32_e32 v70, s7, v68
	;; [unrolled: 1-line block ×4, first 2 shown]
	v_cmp_gt_u32_e64 s[6:7], 16, v52
	scratch_store_dword off, v3, off offset:16 ; 4-byte Folded Spill
	v_add_u32_e32 v3, v168, v2
	v_writelane_b32 v255, s6, 16
	scratch_store_dword off, v3, off offset:24 ; 4-byte Folded Spill
	v_add_u32_e32 v3, 0x3740, v170
	v_writelane_b32 v255, s7, 17
	v_add_u32_e32 v3, v3, v2
	s_ashr_i32 s1, s2, 31
	scratch_store_dword off, v3, off offset:28 ; 4-byte Folded Spill
	v_add_u32_e32 v3, 0x3b80, v170
	v_writelane_b32 v255, s1, 18
	s_ashr_i32 s1, s63, 31
	v_add_u32_e32 v3, v3, v2
	v_writelane_b32 v255, s1, 19
	s_ashr_i32 s1, s30, 31
	v_add_u32_e32 v172, 0x440, v170
	v_add_u32_e32 v174, 0x880, v170
	;; [unrolled: 1-line block ×5, first 2 shown]
	scratch_store_dword off, v3, off offset:32 ; 4-byte Folded Spill
	v_add_u32_e32 v3, 0x3fc0, v170
	v_writelane_b32 v255, s1, 20
	s_sub_i32 s1, 0, s61
	v_add_u32_e32 v169, 0, v2
	v_add_u32_e32 v171, v170, v2
	;; [unrolled: 1-line block ×9, first 2 shown]
	s_mul_i32 s1, s1, s0
	scratch_store_dword off, v2, off offset:36 ; 4-byte Folded Spill
	s_mul_hi_u32 s1, s0, s1
	v_add_u32_e32 v2, v169, v6
	s_add_i32 s0, s0, s1
	scratch_store_dword off, v2, off        ; 4-byte Folded Spill
	v_add_u32_e32 v2, v169, v7
	v_writelane_b32 v255, s0, 21
	s_lshl_b64 s[0:1], s[40:41], 1
	scratch_store_dword off, v2, off offset:20 ; 4-byte Folded Spill
	v_lshlrev_b32_e32 v2, 1, v52
	s_mov_b32 s4, 0x10001
	v_ashrrev_i32_e32 v59, 31, v58
	v_ashrrev_i32_e32 v61, 31, v60
	;; [unrolled: 1-line block ×7, first 2 shown]
	v_mul_hi_u32 v13, v12, v13
	v_ashrrev_i32_e32 v75, 31, v74
	v_mul_u32_u24_e32 v5, 0x110, v5
	v_writelane_b32 v255, s0, 22
	v_and_b32_e32 v78, 62, v2
	v_mbcnt_lo_u32_b32 v230, -1, 0
	v_add_u32_e32 v151, v12, v13
	v_mad_u32_u24 v156, v9, s5, v155
	v_writelane_b32 v255, s1, 23
	v_mad_u32_u24 v199, v4, s5, v152
	v_lshlrev_b32_e32 v76, 4, v4
	v_mov_b32_e32 v77, v55
	s_lshl_b64 s[64:65], s[36:37], 8
	s_lshl_b64 s[66:67], s[26:27], 8
	s_mov_b32 s41, 0x3fb8aa3b
	s_mov_b32 s30, 0xc2ce8ed0
	;; [unrolled: 1-line block ×5, first 2 shown]
	v_add_u32_e32 v200, v169, v8
	s_mov_b64 s[68:69], 0x80
	v_add_u32_e32 v203, 0, v5
	v_mul_lo_u32 v204, v1, s4
	v_mul_u32_u24_e32 v205, 0x90, v57
	v_add_u32_e32 v206, 8, v57
	v_lshl_add_u32 v207, v78, 1, 0
	v_add_u32_e32 v208, 0x1100, v79
	v_add_u32_e32 v209, 0x2200, v79
	;; [unrolled: 1-line block ×6, first 2 shown]
	v_mul_u32_u24_e32 v214, 0x110, v145
	v_lshrrev_b32_e32 v215, 2, v148
	v_lshrrev_b32_e32 v216, 2, v147
	;; [unrolled: 1-line block ×15, first 2 shown]
	v_mbcnt_hi_u32_b32 v231, -1, v230
	v_mov_b32_e32 v232, 0x7f800000
	v_and_b32_e32 v80, 3, v0
	v_mad_u64_u32 v[82:83], s[4:5], v50, s56, v[52:53]
	v_lshl_add_u64 v[84:85], s[14:15], 0, v[54:55]
	v_lshl_add_u64 v[86:87], v[66:67], 2, s[12:13]
	;; [unrolled: 1-line block ×9, first 2 shown]
	s_branch .LBB24_9
.LBB24_8:                               ;   in Loop: Header=BB24_9 Depth=1
	s_or_b64 exec, exec, s[4:5]
	s_add_i32 s4, s50, s52
	s_abs_i32 s6, s4
	s_mul_hi_u32 s7, s6, s46
	s_mul_i32 s7, s7, s53
	s_sub_i32 s6, s6, s7
	s_ashr_i32 s5, s4, 31
	s_sub_i32 s7, s6, s53
	s_cmp_ge_u32 s6, s53
	s_cselect_b32 s6, s7, s6
	s_sub_i32 s7, s6, s53
	s_cmp_ge_u32 s6, s53
	s_cselect_b32 s6, s7, s6
	s_xor_b32 s6, s6, s5
	s_sub_i32 s5, s5, s6
	s_add_i32 s50, s4, s5
	s_sub_i32 s6, s54, s50
	s_min_i32 s62, s52, s6
	s_cmp_gt_i32 s54, s50
	s_cselect_b64 s[4:5], -1, 0
	s_cmp_le_i32 s52, s6
	s_cselect_b64 s[6:7], -1, 0
	s_and_b64 s[6:7], s[6:7], s[4:5]
	s_mov_b32 s34, 0
	s_and_b64 vcc, exec, s[6:7]
	s_cbranch_vccz .LBB24_352
.LBB24_9:                               ; =>This Loop Header: Depth=1
                                        ;     Child Loop BB24_80 Depth 2
                                        ;     Child Loop BB24_249 Depth 2
	s_ashr_i32 s4, s50, 31
	v_readlane_b32 s5, v255, 18
	s_xor_b32 s4, s4, s5
	s_abs_i32 s5, s50
	v_mul_hi_u32 v2, s5, v149
	v_mul_lo_u32 v3, v2, s55
	v_sub_u32_e32 v3, s5, v3
	v_add_u32_e32 v4, 1, v2
	v_subrev_u32_e32 v5, s55, v3
	v_cmp_le_u32_e32 vcc, s55, v3
	s_nop 1
	v_cndmask_b32_e32 v2, v2, v4, vcc
	v_cndmask_b32_e32 v3, v3, v5, vcc
	v_add_u32_e32 v4, 1, v2
	v_cmp_le_u32_e32 vcc, s55, v3
	s_nop 1
	v_cndmask_b32_e32 v2, v2, v4, vcc
	v_xor_b32_e32 v2, s4, v2
	v_subrev_u32_e32 v2, s4, v2
	v_mul_lo_u32 v3, v2, s2
	v_sub_u32_e32 v4, s50, v3
	v_sub_u32_e32 v5, 0, v4
	v_max_i32_e32 v5, v4, v5
	v_mul_hi_u32 v6, v5, v150
	v_mul_lo_u32 v7, v6, s51
	v_sub_u32_e32 v5, v5, v7
	v_add_u32_e32 v7, 1, v6
	v_subrev_u32_e32 v8, s51, v5
	v_cmp_le_u32_e32 vcc, s51, v5
	v_ashrrev_i32_e32 v3, 31, v4
	v_readlane_b32 s4, v255, 19
	v_cndmask_b32_e32 v6, v6, v7, vcc
	v_cndmask_b32_e32 v5, v5, v8, vcc
	v_add_u32_e32 v7, 1, v6
	v_cmp_le_u32_e32 vcc, s51, v5
	v_xor_b32_e32 v3, s4, v3
	v_readlane_b32 s4, v255, 20
	v_cndmask_b32_e32 v5, v6, v7, vcc
	v_xor_b32_e32 v5, v5, v3
	v_sub_u32_e32 v3, v5, v3
	v_mul_lo_u32 v5, v3, s63
	v_sub_u32_e32 v4, v4, v5
	v_sub_u32_e32 v6, 0, v4
	v_max_i32_e32 v6, v4, v6
	v_mul_hi_u32 v7, v6, v151
	v_mul_lo_u32 v8, v7, s60
	v_sub_u32_e32 v6, v6, v8
	v_add_u32_e32 v8, 1, v7
	v_subrev_u32_e32 v9, s60, v6
	v_cmp_le_u32_e32 vcc, s60, v6
	v_ashrrev_i32_e32 v5, 31, v4
	v_xor_b32_e32 v5, s4, v5
	v_cndmask_b32_e32 v7, v7, v8, vcc
	v_cndmask_b32_e32 v6, v6, v9, vcc
	v_add_u32_e32 v8, 1, v7
	v_cmp_le_u32_e32 vcc, s60, v6
	v_readlane_b32 s4, v255, 1
	s_nop 0
	v_cndmask_b32_e32 v6, v7, v8, vcc
	v_xor_b32_e32 v6, v6, v5
	v_sub_u32_e32 v5, v6, v5
	v_mul_lo_u32 v6, v5, s4
	v_sub_u32_e32 v4, v4, v6
	v_sub_u32_e32 v7, 0, v4
	v_ashrrev_i32_e32 v6, 31, v4
	v_max_i32_e32 v4, v4, v7
	v_mul_hi_u32 v7, v4, s46
	v_mul_lo_u32 v8, v7, s53
	v_sub_u32_e32 v4, v4, v8
	v_add_u32_e32 v8, 1, v7
	v_subrev_u32_e32 v9, s53, v4
	v_cmp_le_u32_e32 vcc, s53, v4
	v_readlane_b32 s4, v255, 8
	s_nop 0
	v_cndmask_b32_e32 v7, v7, v8, vcc
	v_cndmask_b32_e32 v4, v4, v9, vcc
	v_add_u32_e32 v8, 1, v7
	v_cmp_le_u32_e32 vcc, s53, v4
	v_xor_b32_e32 v6, s4, v6
	v_readlane_b32 s4, v255, 12
	v_cndmask_b32_e32 v4, v7, v8, vcc
	v_xor_b32_e32 v4, v4, v6
	v_readlane_b32 s5, v255, 13
	s_andn2_b64 vcc, exec, s[4:5]
	v_sub_u32_e32 v4, v4, v6
	s_cbranch_vccnz .LBB24_11
; %bb.10:                               ;   in Loop: Header=BB24_9 Depth=1
	v_readlane_b32 s4, v255, 0
	s_nop 1
	v_mul_lo_u32 v6, v2, s4
	v_add_u32_e32 v6, v4, v6
	v_ashrrev_i32_e32 v7, 31, v6
	v_lshlrev_b64 v[6:7], 2, v[6:7]
	v_lshl_add_u64 v[6:7], s[18:19], 0, v[6:7]
	global_load_dword v6, v[6:7], off
	s_waitcnt vmcnt(0)
	v_readfirstlane_b32 s4, v6
	s_ashr_i32 s5, s4, 31
	s_lshr_b32 s5, s5, 26
	s_add_i32 s4, s4, s5
	s_ashr_i32 s4, s4, 6
	s_min_i32 s62, s62, s4
.LBB24_11:                              ;   in Loop: Header=BB24_9 Depth=1
	v_mul_lo_u32 v6, v3, s3
	v_lshlrev_b32_e32 v5, 2, v5
	v_add_u32_e32 v6, v5, v6
	v_mul_lo_u32 v8, v2, s49
	v_ashrrev_i32_e32 v9, 31, v8
	v_mul_lo_u32 v10, v6, s48
	v_lshl_add_u64 v[8:9], s[8:9], 0, v[8:9]
	v_ashrrev_i32_e32 v11, 31, v10
	v_ashrrev_i32_e32 v7, 31, v2
	v_lshl_add_u64 v[122:123], v[8:9], 0, v[10:11]
	v_mul_hi_u32 v8, s28, v2
	v_mul_lo_u32 v9, s28, v7
	v_readlane_b32 s4, v255, 6
	v_add_u32_e32 v8, v8, v9
	v_mul_lo_u32 v9, s29, v2
	v_readlane_b32 s5, v255, 7
	v_add_u32_e32 v113, v8, v9
	v_mul_lo_u32 v112, s28, v2
	v_mul_lo_u32 v114, v3, s5
	v_lshl_add_u64 v[8:9], s[10:11], 0, v[112:113]
	v_ashrrev_i32_e32 v115, 31, v114
	v_lshl_add_u64 v[108:109], v[8:9], 0, v[114:115]
	v_sub_u32_e32 v8, 0, v2
	v_max_i32_e32 v8, v2, v8
	v_readlane_b32 s4, v255, 21
	v_mul_lo_u32 v118, s42, v2
	v_mul_lo_u32 v120, v3, s31
	v_mul_hi_u32 v9, v8, s4
	v_mul_lo_u32 v9, v9, s61
	v_sub_u32_e32 v8, v8, v9
	v_subrev_u32_e32 v9, s61, v8
	v_cmp_le_u32_e32 vcc, s61, v8
	s_mul_i32 s4, s24, s25
	v_ashrrev_i32_e32 v121, 31, v120
	v_cndmask_b32_e32 v8, v8, v9, vcc
	v_subrev_u32_e32 v9, s61, v8
	v_cmp_le_u32_e32 vcc, s61, v8
	v_lshlrev_b32_e32 v234, 4, v4
	s_cmp_lg_u32 s34, 0
	v_cndmask_b32_e32 v8, v8, v9, vcc
	v_xor_b32_e32 v8, v8, v7
	v_sub_u32_e32 v8, v8, v7
	v_ashrrev_i32_e32 v9, 31, v8
	v_mul_lo_u32 v9, s44, v9
	v_mul_hi_u32 v10, s44, v8
	v_add_u32_e32 v9, v10, v9
	v_mul_lo_u32 v10, s45, v8
	v_mul_lo_u32 v116, s44, v8
	;; [unrolled: 1-line block ×3, first 2 shown]
	v_add_u32_e32 v8, v6, v8
	v_lshlrev_b32_e32 v54, 6, v8
	v_add_u32_e32 v117, v9, v10
	v_lshlrev_b64 v[8:9], 3, v[54:55]
	v_lshl_add_u64 v[102:103], s[20:21], 0, v[8:9]
	v_mul_hi_u32 v8, s42, v2
	v_mul_lo_u32 v7, s42, v7
	v_add_u32_e32 v7, v8, v7
	v_mul_lo_u32 v8, s43, v2
	v_add_u32_e32 v119, v7, v8
	v_ashrrev_i32_e32 v7, 31, v6
	v_lshlrev_b64 v[2:3], 2, v[6:7]
	v_lshl_add_u64 v[2:3], s[16:17], 0, v[2:3]
	v_lshl_add_u64 v[8:9], s[12:13], 0, v[118:119]
	v_cndmask_b32_e64 v104, v2, 0, s[58:59]
	v_bfe_u32 v2, v51, 2, 8
	v_lshl_add_u64 v[110:111], s[14:15], 0, v[116:117]
	v_lshl_add_u64 v[106:107], v[8:9], 0, v[120:121]
	v_cndmask_b32_e64 v105, v3, 0, s[58:59]
	v_add_u32_e32 v233, v2, v234
	v_or_b32_e32 v235, v50, v5
	s_cbranch_scc0 .LBB24_81
; %bb.12:                               ;   in Loop: Header=BB24_9 Depth=1
	v_cmp_le_i32_e64 s[4:5], s24, v233
	v_cmp_le_i32_e64 s[6:7], s3, v235
	v_cmp_gt_i32_e32 vcc, s3, v235
	s_or_b64 s[4:5], s[4:5], s[6:7]
	s_and_saveexec_b64 s[6:7], s[4:5]
	s_xor_b64 s[4:5], exec, s[6:7]
; %bb.13:                               ;   in Loop: Header=BB24_9 Depth=1
	v_add_u32_e32 v2, v169, v214
	ds_write_b32 v2, v55
; %bb.14:                               ;   in Loop: Header=BB24_9 Depth=1
	s_andn2_saveexec_b64 s[4:5], s[4:5]
	s_cbranch_execz .LBB24_16
; %bb.15:                               ;   in Loop: Header=BB24_9 Depth=1
	v_mad_u64_u32 v[2:3], s[6:7], v233, s33, v[82:83]
	v_ashrrev_i32_e32 v3, 31, v2
	v_lshl_add_u64 v[2:3], v[2:3], 3, v[122:123]
	global_load_dwordx2 v[2:3], v[2:3], off
	s_waitcnt vmcnt(0)
	v_cvt_pk_f16_f32 v2, v2, v3
	v_pk_mul_f16 v2, v2, v204
	v_add_u32_e32 v3, v169, v214
	ds_write_b32 v3, v2
.LBB24_16:                              ;   in Loop: Header=BB24_9 Depth=1
	s_or_b64 exec, exec, s[4:5]
	v_add_u32_e32 v249, v215, v234
	v_cmp_le_i32_e64 s[4:5], s24, v249
	s_xor_b64 s[6:7], vcc, -1
	s_or_b64 s[4:5], s[4:5], s[6:7]
	s_and_saveexec_b64 s[56:57], s[4:5]
	s_xor_b64 s[4:5], exec, s[56:57]
; %bb.17:                               ;   in Loop: Header=BB24_9 Depth=1
	v_add_u32_e32 v2, v169, v159
	ds_write_b32 v2, v55
; %bb.18:                               ;   in Loop: Header=BB24_9 Depth=1
	s_andn2_saveexec_b64 s[4:5], s[4:5]
	s_cbranch_execz .LBB24_20
; %bb.19:                               ;   in Loop: Header=BB24_9 Depth=1
	v_mad_u64_u32 v[2:3], s[56:57], v249, s33, v[82:83]
	v_ashrrev_i32_e32 v3, 31, v2
	v_lshl_add_u64 v[2:3], v[2:3], 3, v[122:123]
	global_load_dwordx2 v[2:3], v[2:3], off
	s_waitcnt vmcnt(0)
	v_cvt_pk_f16_f32 v2, v2, v3
	v_pk_mul_f16 v2, v2, v204
	v_add_u32_e32 v3, v169, v159
	ds_write_b32 v3, v2
.LBB24_20:                              ;   in Loop: Header=BB24_9 Depth=1
	s_or_b64 exec, exec, s[4:5]
	v_add_u32_e32 v248, v216, v234
	v_cmp_le_i32_e32 vcc, s24, v248
	s_or_b64 s[4:5], vcc, s[6:7]
	s_and_saveexec_b64 s[56:57], s[4:5]
	s_xor_b64 s[4:5], exec, s[56:57]
; %bb.21:                               ;   in Loop: Header=BB24_9 Depth=1
	v_add_u32_e32 v2, v169, v160
	ds_write_b32 v2, v55
; %bb.22:                               ;   in Loop: Header=BB24_9 Depth=1
	s_andn2_saveexec_b64 s[4:5], s[4:5]
	s_cbranch_execz .LBB24_24
; %bb.23:                               ;   in Loop: Header=BB24_9 Depth=1
	v_mad_u64_u32 v[2:3], s[56:57], v248, s33, v[82:83]
	v_ashrrev_i32_e32 v3, 31, v2
	v_lshl_add_u64 v[2:3], v[2:3], 3, v[122:123]
	global_load_dwordx2 v[2:3], v[2:3], off
	s_waitcnt vmcnt(0)
	v_cvt_pk_f16_f32 v2, v2, v3
	v_pk_mul_f16 v2, v2, v204
	v_add_u32_e32 v3, v169, v160
	ds_write_b32 v3, v2
.LBB24_24:                              ;   in Loop: Header=BB24_9 Depth=1
	s_or_b64 exec, exec, s[4:5]
	v_add_u32_e32 v247, v217, v234
	v_cmp_le_i32_e32 vcc, s24, v247
	s_or_b64 s[4:5], vcc, s[6:7]
	;; [unrolled: 23-line block ×6, first 2 shown]
	s_and_saveexec_b64 s[56:57], s[4:5]
	s_xor_b64 s[4:5], exec, s[56:57]
; %bb.41:                               ;   in Loop: Header=BB24_9 Depth=1
	v_add_u32_e32 v2, v169, v164
	ds_write_b32 v2, v55 offset:1088
; %bb.42:                               ;   in Loop: Header=BB24_9 Depth=1
	s_andn2_saveexec_b64 s[4:5], s[4:5]
	s_cbranch_execz .LBB24_44
; %bb.43:                               ;   in Loop: Header=BB24_9 Depth=1
	v_mad_u64_u32 v[2:3], s[56:57], v243, s33, v[82:83]
	v_ashrrev_i32_e32 v3, 31, v2
	v_lshl_add_u64 v[2:3], v[2:3], 3, v[122:123]
	global_load_dwordx2 v[2:3], v[2:3], off
	s_waitcnt vmcnt(0)
	v_cvt_pk_f16_f32 v2, v2, v3
	v_pk_mul_f16 v2, v2, v204
	v_add_u32_e32 v3, v169, v164
	ds_write_b32 v3, v2 offset:1088
.LBB24_44:                              ;   in Loop: Header=BB24_9 Depth=1
	s_or_b64 exec, exec, s[4:5]
	v_add_u32_e32 v242, v222, v234
	v_cmp_le_i32_e32 vcc, s24, v242
	s_or_b64 s[4:5], vcc, s[6:7]
	s_and_saveexec_b64 s[56:57], s[4:5]
	s_xor_b64 s[4:5], exec, s[56:57]
; %bb.45:                               ;   in Loop: Header=BB24_9 Depth=1
	v_add_u32_e32 v2, v169, v164
	ds_write_b32 v2, v55 offset:2176
; %bb.46:                               ;   in Loop: Header=BB24_9 Depth=1
	s_andn2_saveexec_b64 s[4:5], s[4:5]
	s_cbranch_execz .LBB24_48
; %bb.47:                               ;   in Loop: Header=BB24_9 Depth=1
	v_mad_u64_u32 v[2:3], s[56:57], v242, s33, v[82:83]
	v_ashrrev_i32_e32 v3, 31, v2
	v_lshl_add_u64 v[2:3], v[2:3], 3, v[122:123]
	global_load_dwordx2 v[2:3], v[2:3], off
	s_waitcnt vmcnt(0)
	v_cvt_pk_f16_f32 v2, v2, v3
	v_pk_mul_f16 v2, v2, v204
	v_add_u32_e32 v3, v169, v164
	ds_write_b32 v3, v2 offset:2176
.LBB24_48:                              ;   in Loop: Header=BB24_9 Depth=1
	s_or_b64 exec, exec, s[4:5]
	v_add_u32_e32 v241, v223, v234
	v_cmp_le_i32_e32 vcc, s24, v241
	s_or_b64 s[4:5], vcc, s[6:7]
	;; [unrolled: 23-line block ×8, first 2 shown]
	s_and_saveexec_b64 s[6:7], s[4:5]
	s_xor_b64 s[4:5], exec, s[6:7]
; %bb.73:                               ;   in Loop: Header=BB24_9 Depth=1
	v_add_u32_e32 v2, v169, v164
	ds_write_b32 v2, v55 offset:9792
; %bb.74:                               ;   in Loop: Header=BB24_9 Depth=1
	s_andn2_saveexec_b64 s[4:5], s[4:5]
	s_cbranch_execz .LBB24_76
; %bb.75:                               ;   in Loop: Header=BB24_9 Depth=1
	v_mad_u64_u32 v[2:3], s[6:7], v83, s33, v[82:83]
	v_ashrrev_i32_e32 v3, 31, v2
	v_lshl_add_u64 v[2:3], v[2:3], 3, v[122:123]
	global_load_dwordx2 v[2:3], v[2:3], off
	s_waitcnt vmcnt(0)
	v_cvt_pk_f16_f32 v2, v2, v3
	v_pk_mul_f16 v2, v2, v204
	v_add_u32_e32 v3, v169, v164
	ds_write_b32 v3, v2 offset:9792
.LBB24_76:                              ;   in Loop: Header=BB24_9 Depth=1
	s_or_b64 exec, exec, s[4:5]
	s_waitcnt lgkmcnt(0)
	s_barrier
	ds_read2_b64 v[14:17], v53 offset1:4
	ds_read2_b64 v[10:13], v53 offset0:8 offset1:12
	ds_read2_b64 v[6:9], v53 offset0:16 offset1:20
	;; [unrolled: 1-line block ×3, first 2 shown]
	s_add_i32 s6, s62, -1
	v_add_u32_e32 v20, v234, v57
	v_add_u32_e32 v18, v234, v206
	s_mov_b64 s[4:5], -1
	s_cmp_lt_i32 s34, s6
	v_mul_hi_u32 v21, s38, v20
	v_mul_hi_u32 v19, s38, v18
	s_waitcnt lgkmcnt(0)
	s_barrier
                                        ; implicit-def: $vgpr124_vgpr125
                                        ; implicit-def: $vgpr126_vgpr127
                                        ; implicit-def: $vgpr250
                                        ; implicit-def: $vgpr251
                                        ; implicit-def: $vgpr252
	s_cbranch_scc1 .LBB24_78
; %bb.77:                               ;   in Loop: Header=BB24_9 Depth=1
	v_add_u32_e32 v22, v20, v21
	v_lshrrev_b32_e32 v22, s39, v22
	v_mul_lo_u32 v22, v22, s24
	v_sub_u32_e32 v22, v20, v22
	v_mad_i64_i32 v[124:125], s[4:5], v22, s40, 0
	v_add_u32_e32 v22, v18, v19
	v_lshrrev_b32_e32 v22, s39, v22
	v_mul_lo_u32 v22, v22, s24
	v_sub_u32_e32 v22, v18, v22
	v_mad_i64_i32 v[126:127], s[4:5], v22, s40, 0
	v_and_b32_e32 v22, 64, v231
	v_add_u32_e32 v250, 64, v22
	v_xor_b32_e32 v251, 32, v231
	v_xor_b32_e32 v252, 16, v231
	s_mov_b64 s[4:5], 0
.LBB24_78:                              ;   in Loop: Header=BB24_9 Depth=1
	s_andn2_b64 vcc, exec, s[4:5]
	s_cbranch_vccnz .LBB24_82
; %bb.79:                               ;   in Loop: Header=BB24_9 Depth=1
	v_add_u32_e32 v19, v18, v19
	v_lshrrev_b32_e32 v19, s39, v19
	v_mul_lo_u32 v19, v19, s24
	v_sub_u32_e32 v18, v18, v19
	v_mbcnt_hi_u32_b32 v253, -1, v230
	v_add_u32_e32 v21, v20, v21
	v_mad_i64_i32 v[126:127], s[4:5], v18, s40, 0
	v_and_b32_e32 v18, 64, v253
	v_lshrrev_b32_e32 v21, s39, v21
	v_add_u32_e32 v250, 64, v18
	v_xor_b32_e32 v251, 32, v253
	v_mul_lo_u32 v21, v21, s24
	v_cmp_lt_i32_e32 vcc, v251, v250
	v_xor_b32_e32 v252, 16, v253
	v_sub_u32_e32 v20, v20, v21
	v_cndmask_b32_e32 v18, v253, v251, vcc
	v_cmp_lt_i32_e32 vcc, v252, v250
	v_lshlrev_b32_e32 v54, 1, v78
	v_mad_i64_i32 v[124:125], s[4:5], v20, s40, 0
	v_lshlrev_b32_e32 v195, 2, v18
	v_cndmask_b32_e32 v18, v253, v252, vcc
	v_lshl_add_u64 v[128:129], v[110:111], 0, v[54:55]
	v_lshlrev_b32_e32 v198, 2, v18
	s_lshl_b32 s4, s34, 6
	v_mov_b32_e32 v46, 0
	v_mov_b32_e32 v254, 0xfeffffff
	;; [unrolled: 1-line block ×18, first 2 shown]
.LBB24_80:                              ;   Parent Loop BB24_9 Depth=1
                                        ; =>  This Inner Loop Header: Depth=2
	s_ashr_i32 s5, s4, 31
	v_lshl_add_u64 v[18:19], s[4:5], 1, v[128:129]
	v_lshl_add_u64 v[20:21], v[124:125], 1, v[18:19]
	;; [unrolled: 1-line block ×3, first 2 shown]
	global_load_dword v20, v[20:21], off
	s_mul_hi_i32 s57, s4, s26
	global_load_dword v18, v[18:19], off
	s_mul_i32 s56, s4, s26
	v_add_u32_e32 v21, v207, v205
	s_lshl_b64 s[56:57], s[56:57], 2
	v_lshlrev_b32_e32 v54, 2, v56
	v_add_u32_e32 v30, 0x1000, v199
	v_add_u32_e32 v132, 0x2000, v199
	v_mov_b32_e32 v131, v254
	v_mov_b32_e32 v130, v197
	s_add_i32 s34, s34, 1
	s_waitcnt vmcnt(1)
	ds_write_b32 v21, v20 offset:17408
	s_waitcnt vmcnt(0)
	ds_write_b32 v21, v18 offset:18560
	v_lshl_add_u64 v[18:19], v[108:109], 0, s[56:57]
	v_lshl_add_u64 v[20:21], v[58:59], 2, v[18:19]
	;; [unrolled: 1-line block ×7, first 2 shown]
	global_load_dwordx4 v[18:21], v[20:21], off
	v_lshl_add_u64 v[22:23], v[22:23], 0, v[54:55]
	v_lshl_add_u64 v[24:25], v[24:25], 0, v[54:55]
	s_mul_hi_i32 s57, s4, s36
	s_mul_i32 s56, s4, s36
	s_lshl_b64 s[56:57], s[56:57], 2
	s_add_i32 s4, s4, 64
	s_cmp_lt_i32 s34, s6
	s_waitcnt vmcnt(0)
	ds_write_b128 v79, v[18:21]
	global_load_dwordx4 v[18:21], v[22:23], off
	s_waitcnt vmcnt(0)
	ds_write_b128 v208, v[18:21]
	global_load_dwordx4 v[18:21], v[24:25], off
	;; [unrolled: 3-line block ×3, first 2 shown]
	s_waitcnt vmcnt(0)
	ds_write_b128 v210, v[18:21]
	s_waitcnt lgkmcnt(0)
	s_barrier
	ds_read2_b64 v[18:21], v199 offset1:4
	s_waitcnt lgkmcnt(0)
	v_mfma_f32_16x16x16_f16 v[22:25], v[18:19], v[14:15], 0
	v_mfma_f32_16x16x16_f16 v[18:21], v[20:21], v[16:17], v[22:25]
	s_nop 6
	ds_read2_b64 v[22:25], v199 offset0:8 offset1:12
	s_waitcnt lgkmcnt(0)
	v_mfma_f32_16x16x16_f16 v[18:21], v[22:23], v[10:11], v[18:21]
	v_mfma_f32_16x16x16_f16 v[18:21], v[24:25], v[12:13], v[18:21]
	ds_read2_b64 v[22:25], v199 offset0:16 offset1:20
	s_waitcnt lgkmcnt(0)
	v_mfma_f32_16x16x16_f16 v[18:21], v[22:23], v[6:7], v[18:21]
	v_mfma_f32_16x16x16_f16 v[18:21], v[24:25], v[8:9], v[18:21]
	;; [unrolled: 4-line block ×4, first 2 shown]
	s_nop 6
	ds_read2_b64 v[26:29], v30 offset0:40 offset1:44
	s_waitcnt lgkmcnt(0)
	v_mfma_f32_16x16x16_f16 v[22:25], v[26:27], v[10:11], v[22:25]
	v_mfma_f32_16x16x16_f16 v[22:25], v[28:29], v[12:13], v[22:25]
	ds_read2_b64 v[26:29], v30 offset0:48 offset1:52
	s_waitcnt lgkmcnt(0)
	v_mfma_f32_16x16x16_f16 v[22:25], v[26:27], v[6:7], v[22:25]
	v_mfma_f32_16x16x16_f16 v[22:25], v[28:29], v[8:9], v[22:25]
	;; [unrolled: 4-line block ×4, first 2 shown]
	s_nop 6
	ds_read2_b64 v[30:33], v132 offset0:72 offset1:76
	s_waitcnt lgkmcnt(0)
	v_mfma_f32_16x16x16_f16 v[26:29], v[30:31], v[10:11], v[26:29]
	v_mfma_f32_16x16x16_f16 v[26:29], v[32:33], v[12:13], v[26:29]
	ds_read2_b64 v[30:33], v132 offset0:80 offset1:84
	s_waitcnt lgkmcnt(0)
	v_mfma_f32_16x16x16_f16 v[26:29], v[30:31], v[6:7], v[26:29]
	v_mfma_f32_16x16x16_f16 v[26:29], v[32:33], v[8:9], v[26:29]
	ds_read2_b64 v[30:33], v132 offset0:88 offset1:92
	v_add_u32_e32 v132, 0x3000, v199
	s_waitcnt lgkmcnt(0)
	v_mfma_f32_16x16x16_f16 v[26:29], v[30:31], v[2:3], v[26:29]
	v_mfma_f32_16x16x16_f16 v[26:29], v[32:33], v[4:5], v[26:29]
	ds_read2_b64 v[30:33], v132 offset0:96 offset1:100
	s_waitcnt lgkmcnt(0)
	v_mfma_f32_16x16x16_f16 v[182:185], v[30:31], v[14:15], 0
	v_mfma_f32_16x16x16_f16 v[30:33], v[32:33], v[16:17], v[182:185]
	s_nop 6
	ds_read2_b64 v[182:185], v132 offset0:104 offset1:108
	s_waitcnt lgkmcnt(0)
	v_mfma_f32_16x16x16_f16 v[30:33], v[182:183], v[10:11], v[30:33]
	v_mfma_f32_16x16x16_f16 v[30:33], v[184:185], v[12:13], v[30:33]
	ds_read2_b64 v[182:185], v132 offset0:112 offset1:116
	s_waitcnt lgkmcnt(0)
	v_mfma_f32_16x16x16_f16 v[30:33], v[182:183], v[6:7], v[30:33]
	v_mfma_f32_16x16x16_f16 v[30:33], v[184:185], v[8:9], v[30:33]
	ds_read2_b64 v[182:185], v132 offset0:120 offset1:124
	s_waitcnt lgkmcnt(0)
	s_barrier
	ds_read_b32 v132, v154 offset:17408
	v_mfma_f32_16x16x16_f16 v[30:33], v[182:183], v[2:3], v[30:33]
	s_waitcnt lgkmcnt(0)
	v_cvt_f32_f16_e32 v133, v132
	v_cvt_f32_f16_sdwa v132, v132 dst_sel:DWORD dst_unused:UNUSED_PAD src0_sel:WORD_1
	v_add_f32_e32 v133, v18, v133
	ds_read_b32 v18, v153 offset:17408
	v_add_f32_e32 v132, v19, v132
	v_mfma_f32_16x16x16_f16 v[30:33], v[184:185], v[4:5], v[30:33]
	s_waitcnt lgkmcnt(0)
	v_cvt_f32_f16_e32 v19, v18
	v_cvt_f32_f16_sdwa v18, v18 dst_sel:DWORD dst_unused:UNUSED_PAD src0_sel:WORD_1
	v_add_f32_e32 v20, v20, v19
	v_add_f32_e32 v21, v21, v18
	v_add_u32_e32 v18, 0x4400, v211
	ds_read2_b32 v[18:19], v18 offset1:1
	s_waitcnt lgkmcnt(0)
	v_cvt_f32_f16_e32 v182, v18
	v_cvt_f32_f16_sdwa v18, v18 dst_sel:DWORD dst_unused:UNUSED_PAD src0_sel:WORD_1
	v_add_f32_e32 v182, v22, v182
	v_add_f32_e32 v23, v23, v18
	v_cvt_f32_f16_e32 v18, v19
	v_cvt_f32_f16_sdwa v19, v19 dst_sel:DWORD dst_unused:UNUSED_PAD src0_sel:WORD_1
	v_add_f32_e32 v24, v24, v18
	v_add_u32_e32 v18, 0x4400, v212
	v_add_f32_e32 v25, v25, v19
	ds_read2_b32 v[18:19], v18 offset1:1
	s_waitcnt lgkmcnt(0)
	v_cvt_f32_f16_e32 v22, v18
	v_cvt_f32_f16_sdwa v18, v18 dst_sel:DWORD dst_unused:UNUSED_PAD src0_sel:WORD_1
	v_add_f32_e32 v183, v26, v22
	v_add_f32_e32 v27, v27, v18
	v_cvt_f32_f16_e32 v18, v19
	v_cvt_f32_f16_sdwa v19, v19 dst_sel:DWORD dst_unused:UNUSED_PAD src0_sel:WORD_1
	v_add_f32_e32 v28, v28, v18
	v_add_u32_e32 v18, 0x4400, v213
	v_add_f32_e32 v29, v29, v19
	ds_read2_b32 v[18:19], v18 offset1:1
	s_waitcnt lgkmcnt(0)
	v_cvt_f32_f16_e32 v22, v18
	v_cvt_f32_f16_sdwa v18, v18 dst_sel:DWORD dst_unused:UNUSED_PAD src0_sel:WORD_1
	v_add_f32_e32 v30, v30, v22
	v_add_f32_e32 v31, v31, v18
	v_cvt_f32_f16_e32 v18, v19
	v_cvt_f32_f16_sdwa v19, v19 dst_sel:DWORD dst_unused:UNUSED_PAD src0_sel:WORD_1
	v_add_f32_e32 v22, 0x40051340, v21
	v_add_f32_e32 v184, v32, v18
	;; [unrolled: 1-line block ×5, first 2 shown]
	v_max3_f32 v18, v131, v18, v19
	v_add_f32_e32 v19, 0x40051340, v20
	v_max3_f32 v18, v18, v19, v22
	v_add_f32_e32 v19, 0x40051340, v182
	v_add_f32_e32 v22, 0x40051340, v23
	v_max3_f32 v18, v18, v19, v22
	v_add_f32_e32 v19, 0x40051340, v24
	;; [unrolled: 3-line block ×6, first 2 shown]
	v_add_f32_e32 v22, 0x40051340, v33
	v_max3_f32 v18, v18, v19, v22
	ds_bpermute_b32 v19, v195, v18
	s_waitcnt lgkmcnt(0)
	v_max_f32_e32 v19, v19, v19
	v_max_f32_e32 v18, v18, v19
	ds_bpermute_b32 v19, v198, v18
	s_waitcnt lgkmcnt(0)
	v_max_f32_e32 v19, v19, v19
	v_max_f32_e32 v254, v18, v19
	v_sub_f32_e32 v18, v133, v254
	v_mul_f32_e32 v19, 0x3fb8aa3b, v18
	v_fma_f32 v22, v18, s41, -v19
	v_rndne_f32_e32 v26, v19
	v_fmac_f32_e32 v22, 0x32a5705f, v18
	v_sub_f32_e32 v19, v19, v26
	v_add_f32_e32 v19, v19, v22
	v_exp_f32_e32 v19, v19
	v_cvt_i32_f32_e32 v22, v26
	v_cmp_ngt_f32_e32 vcc, s30, v18
	v_sub_f32_e32 v20, v20, v254
	v_sub_f32_e32 v21, v21, v254
	v_ldexp_f32 v19, v19, v22
	v_cndmask_b32_e32 v19, 0, v19, vcc
	v_cmp_nlt_f32_e32 vcc, s47, v18
	v_sub_f32_e32 v23, v23, v254
	v_sub_f32_e32 v24, v24, v254
	v_cndmask_b32_e32 v18, v232, v19, vcc
	v_sub_f32_e32 v19, v132, v254
	v_mul_f32_e32 v22, 0x3fb8aa3b, v19
	v_fma_f32 v26, v19, s41, -v22
	v_rndne_f32_e32 v32, v22
	v_fmac_f32_e32 v26, 0x32a5705f, v19
	v_sub_f32_e32 v22, v22, v32
	v_add_f32_e32 v22, v22, v26
	v_exp_f32_e32 v22, v22
	v_cvt_i32_f32_e32 v26, v32
	v_cmp_ngt_f32_e32 vcc, s30, v19
	v_sub_f32_e32 v25, v25, v254
	v_sub_f32_e32 v27, v27, v254
	v_ldexp_f32 v22, v22, v26
	v_mul_f32_e32 v26, 0x3fb8aa3b, v20
	v_fma_f32 v32, v20, s41, -v26
	v_rndne_f32_e32 v132, v26
	v_fmac_f32_e32 v32, 0x32a5705f, v20
	v_sub_f32_e32 v26, v26, v132
	v_add_f32_e32 v26, v26, v32
	v_exp_f32_e32 v26, v26
	v_cvt_i32_f32_e32 v32, v132
	v_cndmask_b32_e32 v22, 0, v22, vcc
	v_cmp_nlt_f32_e32 vcc, s47, v19
	v_sub_f32_e32 v28, v28, v254
	v_ldexp_f32 v26, v26, v32
	v_cndmask_b32_e32 v19, v232, v22, vcc
	v_cmp_ngt_f32_e32 vcc, s30, v20
	v_add_f32_e32 v22, v18, v19
	v_sub_f32_e32 v29, v29, v254
	v_cndmask_b32_e32 v26, 0, v26, vcc
	v_cmp_nlt_f32_e32 vcc, s47, v20
	v_sub_f32_e32 v31, v31, v254
	s_nop 0
	v_cndmask_b32_e32 v20, v232, v26, vcc
	v_add_f32_e32 v26, v20, v22
	v_mul_f32_e32 v22, 0x3fb8aa3b, v21
	v_fma_f32 v32, v21, s41, -v22
	v_rndne_f32_e32 v132, v22
	v_fmac_f32_e32 v32, 0x32a5705f, v21
	v_sub_f32_e32 v22, v22, v132
	v_add_f32_e32 v22, v22, v32
	v_exp_f32_e32 v22, v22
	v_cvt_i32_f32_e32 v32, v132
	v_cmp_ngt_f32_e32 vcc, s30, v21
	v_ldexp_f32 v22, v22, v32
	s_nop 0
	v_cndmask_b32_e32 v22, 0, v22, vcc
	v_cmp_nlt_f32_e32 vcc, s47, v21
	v_sub_f32_e32 v21, v182, v254
	v_mul_f32_e32 v32, 0x3fb8aa3b, v21
	v_fma_f32 v132, v21, s41, -v32
	v_rndne_f32_e32 v133, v32
	v_fmac_f32_e32 v132, 0x32a5705f, v21
	v_sub_f32_e32 v32, v32, v133
	v_add_f32_e32 v32, v32, v132
	v_exp_f32_e32 v32, v32
	v_cvt_i32_f32_e32 v132, v133
	v_cndmask_b32_e32 v22, v232, v22, vcc
	v_cmp_ngt_f32_e32 vcc, s30, v21
	v_add_f32_e32 v26, v22, v26
	v_ldexp_f32 v32, v32, v132
	v_cndmask_b32_e32 v32, 0, v32, vcc
	v_cmp_nlt_f32_e32 vcc, s47, v21
	s_nop 1
	v_cndmask_b32_e32 v21, v232, v32, vcc
	v_mul_f32_e32 v32, 0x3fb8aa3b, v23
	v_fma_f32 v132, v23, s41, -v32
	v_rndne_f32_e32 v133, v32
	v_fmac_f32_e32 v132, 0x32a5705f, v23
	v_sub_f32_e32 v32, v32, v133
	v_add_f32_e32 v32, v32, v132
	v_exp_f32_e32 v32, v32
	v_cvt_i32_f32_e32 v132, v133
	v_cmp_ngt_f32_e32 vcc, s30, v23
	v_add_f32_e32 v26, v21, v26
	v_ldexp_f32 v32, v32, v132
	v_cndmask_b32_e32 v32, 0, v32, vcc
	v_cmp_nlt_f32_e32 vcc, s47, v23
	s_nop 1
	v_cndmask_b32_e32 v23, v232, v32, vcc
	v_mul_f32_e32 v32, 0x3fb8aa3b, v24
	v_fma_f32 v132, v24, s41, -v32
	v_rndne_f32_e32 v133, v32
	v_fmac_f32_e32 v132, 0x32a5705f, v24
	v_sub_f32_e32 v32, v32, v133
	v_add_f32_e32 v32, v32, v132
	v_exp_f32_e32 v32, v32
	v_cvt_i32_f32_e32 v132, v133
	v_cmp_ngt_f32_e32 vcc, s30, v24
	v_add_f32_e32 v26, v23, v26
	v_ldexp_f32 v32, v32, v132
	v_cndmask_b32_e32 v32, 0, v32, vcc
	v_cmp_nlt_f32_e32 vcc, s47, v24
	s_nop 1
	v_cndmask_b32_e32 v24, v232, v32, vcc
	v_add_f32_e32 v32, v24, v26
	v_mul_f32_e32 v26, 0x3fb8aa3b, v25
	v_fma_f32 v132, v25, s41, -v26
	v_rndne_f32_e32 v133, v26
	v_fmac_f32_e32 v132, 0x32a5705f, v25
	v_sub_f32_e32 v26, v26, v133
	v_add_f32_e32 v26, v26, v132
	v_exp_f32_e32 v26, v26
	v_cvt_i32_f32_e32 v132, v133
	v_cmp_ngt_f32_e32 vcc, s30, v25
	v_ldexp_f32 v26, v26, v132
	s_nop 0
	v_cndmask_b32_e32 v26, 0, v26, vcc
	v_cmp_nlt_f32_e32 vcc, s47, v25
	v_sub_f32_e32 v25, v183, v254
	v_mul_f32_e32 v132, 0x3fb8aa3b, v25
	v_fma_f32 v133, v25, s41, -v132
	v_rndne_f32_e32 v182, v132
	v_fmac_f32_e32 v133, 0x32a5705f, v25
	v_sub_f32_e32 v132, v132, v182
	v_add_f32_e32 v132, v132, v133
	v_exp_f32_e32 v132, v132
	v_cvt_i32_f32_e32 v133, v182
	v_cndmask_b32_e32 v26, v232, v26, vcc
	v_cmp_ngt_f32_e32 vcc, s30, v25
	v_add_f32_e32 v32, v26, v32
	v_ldexp_f32 v132, v132, v133
	v_cndmask_b32_e32 v132, 0, v132, vcc
	v_cmp_nlt_f32_e32 vcc, s47, v25
	s_nop 1
	v_cndmask_b32_e32 v25, v232, v132, vcc
	v_mul_f32_e32 v132, 0x3fb8aa3b, v27
	v_fma_f32 v133, v27, s41, -v132
	v_rndne_f32_e32 v182, v132
	v_fmac_f32_e32 v133, 0x32a5705f, v27
	v_sub_f32_e32 v132, v132, v182
	v_add_f32_e32 v132, v132, v133
	v_exp_f32_e32 v132, v132
	v_cvt_i32_f32_e32 v133, v182
	v_cmp_ngt_f32_e32 vcc, s30, v27
	v_add_f32_e32 v32, v25, v32
	v_ldexp_f32 v132, v132, v133
	v_cndmask_b32_e32 v132, 0, v132, vcc
	v_cmp_nlt_f32_e32 vcc, s47, v27
	s_nop 1
	v_cndmask_b32_e32 v27, v232, v132, vcc
	v_mul_f32_e32 v132, 0x3fb8aa3b, v28
	v_fma_f32 v133, v28, s41, -v132
	v_rndne_f32_e32 v182, v132
	v_fmac_f32_e32 v133, 0x32a5705f, v28
	v_sub_f32_e32 v132, v132, v182
	v_add_f32_e32 v132, v132, v133
	v_exp_f32_e32 v132, v132
	v_cvt_i32_f32_e32 v133, v182
	v_cmp_ngt_f32_e32 vcc, s30, v28
	v_add_f32_e32 v32, v27, v32
	v_ldexp_f32 v132, v132, v133
	v_cndmask_b32_e32 v132, 0, v132, vcc
	v_cmp_nlt_f32_e32 vcc, s47, v28
	s_nop 1
	v_cndmask_b32_e32 v28, v232, v132, vcc
	v_add_f32_e32 v132, v28, v32
	v_mul_f32_e32 v32, 0x3fb8aa3b, v29
	v_fma_f32 v133, v29, s41, -v32
	v_rndne_f32_e32 v182, v32
	v_fmac_f32_e32 v133, 0x32a5705f, v29
	v_sub_f32_e32 v32, v32, v182
	v_add_f32_e32 v32, v32, v133
	v_exp_f32_e32 v32, v32
	v_cvt_i32_f32_e32 v133, v182
	v_cmp_ngt_f32_e32 vcc, s30, v29
	v_ldexp_f32 v32, v32, v133
	s_nop 0
	v_cndmask_b32_e32 v32, 0, v32, vcc
	v_cmp_nlt_f32_e32 vcc, s47, v29
	v_sub_f32_e32 v29, v30, v254
	v_mul_f32_e32 v30, 0x3fb8aa3b, v29
	v_fma_f32 v133, v29, s41, -v30
	v_rndne_f32_e32 v182, v30
	v_fmac_f32_e32 v133, 0x32a5705f, v29
	v_sub_f32_e32 v30, v30, v182
	v_add_f32_e32 v30, v30, v133
	v_exp_f32_e32 v30, v30
	v_cvt_i32_f32_e32 v133, v182
	v_cndmask_b32_e32 v32, v232, v32, vcc
	v_cmp_ngt_f32_e32 vcc, s30, v29
	v_add_f32_e32 v132, v32, v132
	v_ldexp_f32 v30, v30, v133
	v_cndmask_b32_e32 v30, 0, v30, vcc
	v_cmp_nlt_f32_e32 vcc, s47, v29
	s_nop 1
	v_cndmask_b32_e32 v29, v232, v30, vcc
	v_add_f32_e32 v30, v29, v132
	v_mul_f32_e32 v132, 0x3fb8aa3b, v31
	v_fma_f32 v133, v31, s41, -v132
	v_rndne_f32_e32 v182, v132
	v_fmac_f32_e32 v133, 0x32a5705f, v31
	v_sub_f32_e32 v132, v132, v182
	v_add_f32_e32 v132, v132, v133
	v_exp_f32_e32 v132, v132
	v_cvt_i32_f32_e32 v133, v182
	v_cmp_ngt_f32_e32 vcc, s30, v31
	v_ldexp_f32 v132, v132, v133
	s_nop 0
	v_cndmask_b32_e32 v132, 0, v132, vcc
	v_cmp_nlt_f32_e32 vcc, s47, v31
	v_sub_f32_e32 v31, v184, v254
	v_mul_f32_e32 v133, 0x3fb8aa3b, v31
	v_fma_f32 v182, v31, s41, -v133
	v_rndne_f32_e32 v183, v133
	v_fmac_f32_e32 v182, 0x32a5705f, v31
	v_sub_f32_e32 v133, v133, v183
	v_add_f32_e32 v133, v133, v182
	v_exp_f32_e32 v133, v133
	v_cvt_i32_f32_e32 v182, v183
	v_cndmask_b32_e32 v132, v232, v132, vcc
	v_cmp_ngt_f32_e32 vcc, s30, v31
	v_add_f32_e32 v30, v132, v30
	v_ldexp_f32 v133, v133, v182
	v_cndmask_b32_e32 v133, 0, v133, vcc
	v_cmp_nlt_f32_e32 vcc, s47, v31
	v_sub_f32_e32 v31, v33, v254
	v_mul_f32_e32 v33, 0x3fb8aa3b, v31
	v_fma_f32 v182, v31, s41, -v33
	v_rndne_f32_e32 v183, v33
	v_fmac_f32_e32 v182, 0x32a5705f, v31
	v_sub_f32_e32 v33, v33, v183
	v_add_f32_e32 v33, v33, v182
	v_exp_f32_e32 v33, v33
	v_cvt_i32_f32_e32 v182, v183
	v_cndmask_b32_e32 v133, v232, v133, vcc
	v_cmp_ngt_f32_e32 vcc, s30, v31
	v_add_f32_e32 v30, v133, v30
	v_ldexp_f32 v33, v33, v182
	v_cndmask_b32_e32 v33, 0, v33, vcc
	v_cmp_nlt_f32_e32 vcc, s47, v31
	v_cvt_pk_f16_f32 v132, v29, v132
	s_nop 0
	v_cndmask_b32_e32 v194, v232, v33, vcc
	v_add_f32_e32 v197, v194, v30
	v_sub_f32_e32 v30, v131, v254
	v_mul_f32_e32 v31, 0x3fb8aa3b, v30
	v_fma_f32 v33, v30, s41, -v31
	v_rndne_f32_e32 v131, v31
	v_fmac_f32_e32 v33, 0x32a5705f, v30
	v_sub_f32_e32 v31, v31, v131
	v_add_f32_e32 v31, v31, v33
	v_exp_f32_e32 v31, v31
	v_cvt_i32_f32_e32 v33, v131
	v_cmp_ngt_f32_e32 vcc, s30, v30
	v_cvt_pk_f16_f32 v133, v133, v194
	v_ldexp_f32 v31, v31, v33
	v_cndmask_b32_e32 v31, 0, v31, vcc
	v_cmp_nlt_f32_e32 vcc, s47, v30
	s_nop 1
	v_cndmask_b32_e32 v31, v232, v31, vcc
	v_cmp_le_f32_e32 vcc, s0, v30
	s_nop 1
	v_cndmask_b32_e32 v30, 0, v31, vcc
	v_fmac_f32_e32 v197, v130, v30
	v_cvt_f16_f32_e32 v30, v30
	v_mul_u32_u24_e32 v130, 0x10001, v30
	v_pk_mul_f16 v31, v37, v130
	v_pk_mul_f16 v30, v36, v130
	v_lshl_add_u64 v[36:37], v[106:107], 0, s[56:57]
	v_pk_mul_f16 v196, v46, v130
	v_pk_mul_f16 v193, v47, v130
	v_lshl_add_u64 v[46:47], v[66:67], 2, v[36:37]
	v_lshl_add_u64 v[46:47], v[46:47], 0, v[54:55]
	;; [unrolled: 1-line block ×4, first 2 shown]
	global_load_dwordx4 v[182:185], v[46:47], off
	v_pk_mul_f16 v49, v49, v130
	v_pk_mul_f16 v48, v48, v130
	;; [unrolled: 1-line block ×12, first 2 shown]
	v_lshl_add_u64 v[130:131], v[68:69], 2, v[36:37]
	v_lshl_add_u64 v[130:131], v[130:131], 0, v[54:55]
	;; [unrolled: 1-line block ×4, first 2 shown]
	v_cvt_pk_f16_f32 v47, v20, v22
	v_cvt_pk_f16_f32 v46, v18, v19
	s_waitcnt vmcnt(0)
	ds_write_b128 v79, v[182:185]
	global_load_dwordx4 v[182:185], v[130:131], off
	v_cvt_pk_f16_f32 v131, v28, v32
	v_cvt_pk_f16_f32 v130, v25, v27
	s_waitcnt vmcnt(0)
	ds_write_b128 v208, v[182:185]
	global_load_dwordx4 v[182:185], v[186:187], off
	s_waitcnt vmcnt(0)
	ds_write_b128 v209, v[182:185]
	global_load_dwordx4 v[182:185], v[36:37], off
	s_waitcnt vmcnt(0)
	ds_write_b128 v210, v[182:185]
	s_waitcnt lgkmcnt(0)
	s_barrier
	ds_read_u16 v36, v156 offset:272
	ds_read_u16 v37, v156 offset:544
	ds_read_u16 v40, v158
	ds_read_u16 v54, v158 offset:32
	v_cvt_f32_f16_e32 v182, v49
	v_cvt_f32_f16_sdwa v183, v49 dst_sel:DWORD dst_unused:UNUSED_PAD src0_sel:WORD_1
	v_cvt_f32_f16_e32 v184, v48
	s_waitcnt lgkmcnt(1)
	v_perm_b32 v37, v40, v37, s1
	ds_read_u16 v40, v156
	ds_read_u16 v186, v156 offset:32
	v_cvt_f32_f16_sdwa v185, v48 dst_sel:DWORD dst_unused:UNUSED_PAD src0_sel:WORD_1
	v_cvt_pk_f16_f32 v49, v24, v26
	s_waitcnt lgkmcnt(1)
	v_perm_b32 v36, v36, v40, s1
	s_nop 1
	v_mfma_f32_16x16x16_f16 v[182:185], v[36:37], v[46:47], v[182:185]
	ds_read_u16 v36, v156 offset:4352
	ds_read_u16 v37, v156 offset:4624
	;; [unrolled: 1-line block ×4, first 2 shown]
	s_nop 3
	v_cvt_f16_f32_e32 v18, v182
	v_cvt_f16_f32_e32 v19, v183
	v_cvt_f16_f32_e32 v20, v184
	v_cvt_f16_f32_e32 v22, v185
	v_cvt_f32_f16_e32 v182, v18
	v_cvt_f32_f16_e32 v183, v19
	s_waitcnt lgkmcnt(0)
	v_perm_b32 v19, v48, v40, s1
	v_perm_b32 v18, v37, v36, s1
	v_cvt_f32_f16_e32 v184, v20
	v_cvt_f32_f16_e32 v185, v22
	v_cvt_pk_f16_f32 v48, v21, v23
	ds_read_u16 v22, v156 offset:8704
	ds_read_u16 v24, v156 offset:8976
	;; [unrolled: 1-line block ×4, first 2 shown]
	v_mfma_f32_16x16x16_f16 v[18:21], v[18:19], v[48:49], v[182:185]
	s_waitcnt lgkmcnt(2)
	v_perm_b32 v22, v24, v22, s1
	s_waitcnt lgkmcnt(0)
	v_perm_b32 v23, v26, v23, s1
	v_cvt_f32_f16_e32 v182, v31
	s_nop 2
	v_cvt_f16_f32_e32 v18, v18
	v_cvt_f16_f32_e32 v19, v19
	;; [unrolled: 1-line block ×4, first 2 shown]
	v_cvt_f32_f16_e32 v18, v18
	v_cvt_f32_f16_e32 v19, v19
	v_cvt_f32_f16_e32 v20, v20
	v_cvt_f32_f16_e32 v21, v21
	v_cvt_f32_f16_sdwa v183, v31 dst_sel:DWORD dst_unused:UNUSED_PAD src0_sel:WORD_1
	v_cvt_f32_f16_e32 v184, v30
	v_mfma_f32_16x16x16_f16 v[18:21], v[22:23], v[130:131], v[18:21]
	ds_read_u16 v22, v156 offset:13056
	ds_read_u16 v24, v156 offset:13328
	;; [unrolled: 1-line block ×6, first 2 shown]
	v_cvt_f32_f16_sdwa v185, v30 dst_sel:DWORD dst_unused:UNUSED_PAD src0_sel:WORD_1
	s_nop 0
	v_cvt_f16_f32_e32 v18, v18
	v_cvt_f16_f32_e32 v19, v19
	;; [unrolled: 1-line block ×4, first 2 shown]
	s_waitcnt lgkmcnt(2)
	v_perm_b32 v23, v25, v23, s1
	v_perm_b32 v22, v24, v22, s1
	v_cvt_f32_f16_e32 v18, v18
	v_cvt_f32_f16_e32 v19, v19
	;; [unrolled: 1-line block ×4, first 2 shown]
	s_waitcnt lgkmcnt(0)
	v_perm_b32 v27, v54, v27, s1
	v_perm_b32 v26, v26, v186, s1
	v_mfma_f32_16x16x16_f16 v[18:21], v[22:23], v[132:133], v[18:21]
	v_cvt_f32_f16_e32 v22, v45
	v_cvt_f32_f16_sdwa v23, v45 dst_sel:DWORD dst_unused:UNUSED_PAD src0_sel:WORD_1
	v_cvt_f32_f16_e32 v24, v44
	v_cvt_f32_f16_sdwa v25, v44 dst_sel:DWORD dst_unused:UNUSED_PAD src0_sel:WORD_1
	s_nop 1
	v_mfma_f32_16x16x16_f16 v[22:25], v[26:27], v[46:47], v[22:25]
	ds_read_u16 v26, v156 offset:4384
	ds_read_u16 v28, v156 offset:4656
	;; [unrolled: 1-line block ×4, first 2 shown]
	s_nop 3
	v_cvt_f16_f32_e32 v22, v22
	v_cvt_f16_f32_e32 v23, v23
	;; [unrolled: 1-line block ×4, first 2 shown]
	s_waitcnt lgkmcnt(0)
	v_perm_b32 v27, v29, v27, s1
	v_perm_b32 v26, v28, v26, s1
	v_cvt_f32_f16_e32 v22, v22
	v_cvt_f32_f16_e32 v23, v23
	;; [unrolled: 1-line block ×4, first 2 shown]
	s_nop 1
	v_mfma_f32_16x16x16_f16 v[22:25], v[26:27], v[48:49], v[22:25]
	ds_read_u16 v26, v156 offset:8736
	ds_read_u16 v28, v156 offset:9008
	;; [unrolled: 1-line block ×4, first 2 shown]
	s_nop 3
	v_cvt_f16_f32_e32 v22, v22
	v_cvt_f16_f32_e32 v23, v23
	;; [unrolled: 1-line block ×4, first 2 shown]
	s_waitcnt lgkmcnt(0)
	v_perm_b32 v27, v29, v27, s1
	v_perm_b32 v26, v28, v26, s1
	v_cvt_f32_f16_e32 v22, v22
	v_cvt_f32_f16_e32 v23, v23
	;; [unrolled: 1-line block ×4, first 2 shown]
	s_nop 1
	v_mfma_f32_16x16x16_f16 v[22:25], v[26:27], v[130:131], v[22:25]
	ds_read_u16 v26, v156 offset:13088
	ds_read_u16 v28, v156 offset:13360
	;; [unrolled: 1-line block ×8, first 2 shown]
	v_cvt_f16_f32_e32 v22, v22
	v_cvt_f16_f32_e32 v23, v23
	;; [unrolled: 1-line block ×4, first 2 shown]
	s_waitcnt lgkmcnt(4)
	v_perm_b32 v27, v29, v27, s1
	v_perm_b32 v26, v28, v26, s1
	v_cvt_f32_f16_e32 v22, v22
	v_cvt_f32_f16_e32 v23, v23
	;; [unrolled: 1-line block ×5, first 2 shown]
	v_cvt_f32_f16_sdwa v29, v33 dst_sel:DWORD dst_unused:UNUSED_PAD src0_sel:WORD_1
	s_waitcnt lgkmcnt(0)
	v_perm_b32 v33, v40, v37, s1
	v_perm_b32 v32, v36, v32, s1
	v_mfma_f32_16x16x16_f16 v[22:25], v[26:27], v[132:133], v[22:25]
	v_cvt_f32_f16_e32 v26, v41
	v_cvt_f32_f16_sdwa v27, v41 dst_sel:DWORD dst_unused:UNUSED_PAD src0_sel:WORD_1
	s_nop 1
	v_mfma_f32_16x16x16_f16 v[26:29], v[32:33], v[46:47], v[26:29]
	ds_read_u16 v32, v156 offset:4416
	ds_read_u16 v36, v156 offset:4688
	ds_read_u16 v33, v156 offset:4960
	ds_read_u16 v37, v158 offset:4416
	s_nop 3
	v_cvt_f16_f32_e32 v26, v26
	v_cvt_f16_f32_e32 v27, v27
	v_cvt_f16_f32_e32 v28, v28
	v_cvt_f16_f32_e32 v29, v29
	s_waitcnt lgkmcnt(0)
	v_perm_b32 v33, v37, v33, s1
	v_perm_b32 v32, v36, v32, s1
	v_cvt_f32_f16_e32 v26, v26
	v_cvt_f32_f16_e32 v27, v27
	v_cvt_f32_f16_e32 v28, v28
	v_cvt_f32_f16_e32 v29, v29
	s_nop 1
	v_mfma_f32_16x16x16_f16 v[26:29], v[32:33], v[48:49], v[26:29]
	ds_read_u16 v32, v156 offset:8768
	ds_read_u16 v36, v156 offset:9040
	ds_read_u16 v33, v156 offset:9312
	ds_read_u16 v37, v158 offset:8768
	s_nop 3
	v_cvt_f16_f32_e32 v26, v26
	v_cvt_f16_f32_e32 v27, v27
	v_cvt_f16_f32_e32 v28, v28
	v_cvt_f16_f32_e32 v29, v29
	s_waitcnt lgkmcnt(0)
	v_perm_b32 v33, v37, v33, s1
	v_perm_b32 v32, v36, v32, s1
	v_cvt_f32_f16_e32 v26, v26
	v_cvt_f32_f16_e32 v27, v27
	v_cvt_f32_f16_e32 v28, v28
	v_cvt_f32_f16_e32 v29, v29
	;; [unrolled: 18-line block ×3, first 2 shown]
	s_nop 1
	v_mfma_f32_16x16x16_f16 v[26:29], v[32:33], v[132:133], v[26:29]
	ds_read_u16 v32, v156 offset:96
	ds_read_u16 v33, v156 offset:368
	;; [unrolled: 1-line block ×4, first 2 shown]
	s_waitcnt lgkmcnt(2)
	v_perm_b32 v30, v33, v32, s1
	s_waitcnt lgkmcnt(0)
	v_perm_b32 v31, v37, v36, s1
	ds_read_u16 v36, v156 offset:4448
	ds_read_u16 v40, v156 offset:4720
	;; [unrolled: 1-line block ×4, first 2 shown]
	v_mfma_f32_16x16x16_f16 v[30:33], v[30:31], v[46:47], v[182:185]
	s_waitcnt lgkmcnt(0)
	v_perm_b32 v37, v41, v37, s1
	v_perm_b32 v36, v40, v36, s1
	v_cvt_f32_f16_e32 v182, v35
	s_nop 3
	v_cvt_f16_f32_e32 v30, v30
	v_cvt_f16_f32_e32 v31, v31
	;; [unrolled: 1-line block ×4, first 2 shown]
	v_cvt_f32_f16_e32 v30, v30
	v_cvt_f32_f16_e32 v31, v31
	;; [unrolled: 1-line block ×4, first 2 shown]
	v_cvt_f32_f16_sdwa v183, v35 dst_sel:DWORD dst_unused:UNUSED_PAD src0_sel:WORD_1
	v_cvt_f32_f16_e32 v184, v34
	v_mfma_f32_16x16x16_f16 v[30:33], v[36:37], v[48:49], v[30:33]
	ds_read_u16 v36, v156 offset:8800
	ds_read_u16 v40, v156 offset:9072
	;; [unrolled: 1-line block ×4, first 2 shown]
	v_cvt_f32_f16_sdwa v185, v34 dst_sel:DWORD dst_unused:UNUSED_PAD src0_sel:WORD_1
	s_nop 2
	v_cvt_f16_f32_e32 v30, v30
	v_cvt_f16_f32_e32 v31, v31
	v_cvt_f16_f32_e32 v32, v32
	v_cvt_f16_f32_e32 v33, v33
	s_waitcnt lgkmcnt(0)
	v_perm_b32 v37, v41, v37, s1
	v_perm_b32 v36, v40, v36, s1
	v_cvt_f32_f16_e32 v30, v30
	v_cvt_f32_f16_e32 v31, v31
	;; [unrolled: 1-line block ×4, first 2 shown]
	s_nop 1
	v_mfma_f32_16x16x16_f16 v[30:33], v[36:37], v[130:131], v[30:33]
	ds_read_u16 v36, v156 offset:13152
	ds_read_u16 v40, v156 offset:13424
	ds_read_u16 v37, v156 offset:13696
	ds_read_u16 v41, v158 offset:13152
	s_nop 3
	v_cvt_f16_f32_e32 v30, v30
	v_cvt_f16_f32_e32 v31, v31
	;; [unrolled: 1-line block ×4, first 2 shown]
	s_waitcnt lgkmcnt(0)
	v_perm_b32 v37, v41, v37, s1
	v_perm_b32 v36, v40, v36, s1
	v_cvt_f32_f16_e32 v30, v30
	v_cvt_f32_f16_e32 v31, v31
	;; [unrolled: 1-line block ×4, first 2 shown]
	s_nop 1
	v_mfma_f32_16x16x16_f16 v[30:33], v[36:37], v[132:133], v[30:33]
	ds_read_u16 v36, v156 offset:128
	ds_read_u16 v37, v156 offset:400
	;; [unrolled: 1-line block ×4, first 2 shown]
	s_waitcnt lgkmcnt(2)
	v_perm_b32 v34, v37, v36, s1
	s_waitcnt lgkmcnt(0)
	v_perm_b32 v35, v41, v40, s1
	ds_read_u16 v40, v156 offset:4480
	ds_read_u16 v44, v156 offset:4752
	;; [unrolled: 1-line block ×4, first 2 shown]
	v_mfma_f32_16x16x16_f16 v[34:37], v[34:35], v[46:47], v[182:185]
	s_waitcnt lgkmcnt(0)
	v_perm_b32 v41, v45, v41, s1
	v_perm_b32 v40, v44, v40, s1
	v_cvt_f32_f16_e32 v182, v39
	s_nop 3
	v_cvt_f16_f32_e32 v34, v34
	v_cvt_f16_f32_e32 v35, v35
	;; [unrolled: 1-line block ×4, first 2 shown]
	v_cvt_f32_f16_e32 v34, v34
	v_cvt_f32_f16_e32 v35, v35
	;; [unrolled: 1-line block ×4, first 2 shown]
	v_cvt_f32_f16_sdwa v183, v39 dst_sel:DWORD dst_unused:UNUSED_PAD src0_sel:WORD_1
	v_cvt_f32_f16_e32 v184, v38
	v_mfma_f32_16x16x16_f16 v[34:37], v[40:41], v[48:49], v[34:37]
	ds_read_u16 v40, v156 offset:8832
	ds_read_u16 v44, v156 offset:9104
	;; [unrolled: 1-line block ×4, first 2 shown]
	v_cvt_f32_f16_sdwa v185, v38 dst_sel:DWORD dst_unused:UNUSED_PAD src0_sel:WORD_1
	s_nop 2
	v_cvt_f16_f32_e32 v34, v34
	v_cvt_f16_f32_e32 v35, v35
	;; [unrolled: 1-line block ×4, first 2 shown]
	s_waitcnt lgkmcnt(0)
	v_perm_b32 v41, v45, v41, s1
	v_perm_b32 v40, v44, v40, s1
	v_cvt_f32_f16_e32 v34, v34
	v_cvt_f32_f16_e32 v35, v35
	;; [unrolled: 1-line block ×4, first 2 shown]
	s_nop 1
	v_mfma_f32_16x16x16_f16 v[34:37], v[40:41], v[130:131], v[34:37]
	ds_read_u16 v40, v156 offset:13184
	ds_read_u16 v44, v156 offset:13456
	;; [unrolled: 1-line block ×4, first 2 shown]
	s_nop 3
	v_cvt_f16_f32_e32 v34, v34
	v_cvt_f16_f32_e32 v35, v35
	;; [unrolled: 1-line block ×4, first 2 shown]
	s_waitcnt lgkmcnt(0)
	v_perm_b32 v41, v45, v41, s1
	v_perm_b32 v40, v44, v40, s1
	v_cvt_f32_f16_e32 v34, v34
	v_cvt_f32_f16_e32 v35, v35
	;; [unrolled: 1-line block ×4, first 2 shown]
	s_nop 1
	v_mfma_f32_16x16x16_f16 v[34:37], v[40:41], v[132:133], v[34:37]
	ds_read_u16 v40, v156 offset:160
	ds_read_u16 v41, v156 offset:432
	;; [unrolled: 1-line block ×4, first 2 shown]
	s_waitcnt lgkmcnt(2)
	v_perm_b32 v38, v41, v40, s1
	s_nop 1
	v_cvt_pk_f16_f32 v35, v34, v35
	s_waitcnt lgkmcnt(0)
	v_perm_b32 v39, v45, v44, s1
	v_cvt_pk_f16_f32 v34, v36, v37
	v_cvt_pk_f16_f32 v37, v30, v31
	v_mfma_f32_16x16x16_f16 v[38:41], v[38:39], v[46:47], v[182:185]
	ds_read_u16 v44, v156 offset:4512
	ds_read_u16 v54, v156 offset:4784
	;; [unrolled: 1-line block ×4, first 2 shown]
	v_cvt_f32_f16_sdwa v183, v43 dst_sel:DWORD dst_unused:UNUSED_PAD src0_sel:WORD_1
	v_cvt_f32_f16_e32 v184, v42
	s_nop 1
	v_cvt_f16_f32_e32 v38, v38
	v_cvt_f16_f32_e32 v39, v39
	;; [unrolled: 1-line block ×4, first 2 shown]
	s_waitcnt lgkmcnt(0)
	v_perm_b32 v45, v182, v45, s1
	v_perm_b32 v44, v54, v44, s1
	v_cvt_f32_f16_e32 v38, v38
	v_cvt_f32_f16_e32 v39, v39
	v_cvt_f32_f16_e32 v40, v40
	v_cvt_f32_f16_e32 v41, v41
	v_cvt_f32_f16_sdwa v185, v42 dst_sel:DWORD dst_unused:UNUSED_PAD src0_sel:WORD_1
	v_cvt_pk_f16_f32 v36, v32, v33
	v_mfma_f32_16x16x16_f16 v[38:41], v[44:45], v[48:49], v[38:41]
	ds_read_u16 v44, v156 offset:8864
	ds_read_u16 v54, v156 offset:9136
	;; [unrolled: 1-line block ×4, first 2 shown]
	s_nop 3
	v_cvt_f16_f32_e32 v38, v38
	v_cvt_f16_f32_e32 v39, v39
	v_cvt_f16_f32_e32 v40, v40
	v_cvt_f16_f32_e32 v41, v41
	s_waitcnt lgkmcnt(0)
	v_perm_b32 v45, v182, v45, s1
	v_perm_b32 v44, v54, v44, s1
	v_cvt_f32_f16_e32 v38, v38
	v_cvt_f32_f16_e32 v39, v39
	;; [unrolled: 1-line block ×4, first 2 shown]
	s_nop 1
	v_mfma_f32_16x16x16_f16 v[38:41], v[44:45], v[130:131], v[38:41]
	ds_read_u16 v44, v156 offset:13216
	ds_read_u16 v54, v156 offset:13488
	;; [unrolled: 1-line block ×4, first 2 shown]
	s_nop 3
	v_cvt_f16_f32_e32 v38, v38
	v_cvt_f16_f32_e32 v39, v39
	;; [unrolled: 1-line block ×4, first 2 shown]
	s_waitcnt lgkmcnt(0)
	v_perm_b32 v45, v182, v45, s1
	v_perm_b32 v44, v54, v44, s1
	v_cvt_f32_f16_e32 v38, v38
	v_cvt_f32_f16_e32 v39, v39
	;; [unrolled: 1-line block ×5, first 2 shown]
	s_nop 0
	v_mfma_f32_16x16x16_f16 v[38:41], v[44:45], v[132:133], v[38:41]
	ds_read_u16 v44, v156 offset:192
	ds_read_u16 v45, v156 offset:464
	;; [unrolled: 1-line block ×4, first 2 shown]
	s_waitcnt lgkmcnt(2)
	v_perm_b32 v42, v45, v44, s1
	s_nop 1
	v_cvt_pk_f16_f32 v39, v38, v39
	s_waitcnt lgkmcnt(0)
	v_perm_b32 v43, v186, v54, s1
	v_cvt_pk_f16_f32 v38, v40, v41
	v_cvt_pk_f16_f32 v41, v26, v27
	v_mfma_f32_16x16x16_f16 v[42:45], v[42:43], v[46:47], v[182:185]
	ds_read_u16 v54, v156 offset:4544
	s_nop 1
	ds_read_u16 v182, v156 offset:4816
	ds_read_u16 v183, v156 offset:5088
	;; [unrolled: 1-line block ×3, first 2 shown]
	v_cvt_f32_f16_sdwa v185, v193 dst_sel:DWORD dst_unused:UNUSED_PAD src0_sel:WORD_1
	v_cvt_pk_f16_f32 v40, v28, v29
	v_cvt_f16_f32_e32 v42, v42
	v_cvt_f16_f32_e32 v43, v43
	;; [unrolled: 1-line block ×4, first 2 shown]
	s_waitcnt lgkmcnt(0)
	v_perm_b32 v183, v184, v183, s1
	v_perm_b32 v182, v182, v54, s1
	v_cvt_f32_f16_e32 v42, v42
	v_cvt_f32_f16_e32 v43, v43
	;; [unrolled: 1-line block ×4, first 2 shown]
	s_nop 1
	v_mfma_f32_16x16x16_f16 v[42:45], v[182:183], v[48:49], v[42:45]
	ds_read_u16 v54, v156 offset:8896
	ds_read_u16 v182, v156 offset:9168
	;; [unrolled: 1-line block ×4, first 2 shown]
	s_nop 3
	v_cvt_f16_f32_e32 v42, v42
	v_cvt_f16_f32_e32 v43, v43
	;; [unrolled: 1-line block ×4, first 2 shown]
	s_waitcnt lgkmcnt(0)
	v_perm_b32 v183, v184, v183, s1
	v_perm_b32 v182, v182, v54, s1
	v_cvt_f32_f16_e32 v42, v42
	v_cvt_f32_f16_e32 v43, v43
	;; [unrolled: 1-line block ×4, first 2 shown]
	s_nop 1
	v_mfma_f32_16x16x16_f16 v[42:45], v[182:183], v[130:131], v[42:45]
	ds_read_u16 v54, v156 offset:13248
	ds_read_u16 v182, v156 offset:13520
	ds_read_u16 v183, v156 offset:13792
	ds_read_u16 v184, v158 offset:13248
	s_nop 3
	v_cvt_f16_f32_e32 v42, v42
	v_cvt_f16_f32_e32 v43, v43
	;; [unrolled: 1-line block ×4, first 2 shown]
	s_waitcnt lgkmcnt(2)
	v_perm_b32 v182, v182, v54, s1
	ds_read_u16 v54, v156 offset:224
	ds_read_u16 v186, v156 offset:496
	;; [unrolled: 1-line block ×4, first 2 shown]
	s_waitcnt lgkmcnt(4)
	v_perm_b32 v183, v184, v183, s1
	v_cvt_f32_f16_e32 v42, v42
	v_cvt_f32_f16_e32 v43, v43
	;; [unrolled: 1-line block ×4, first 2 shown]
	s_waitcnt lgkmcnt(0)
	v_perm_b32 v187, v188, v187, s1
	v_perm_b32 v186, v186, v54, s1
	v_mfma_f32_16x16x16_f16 v[42:45], v[182:183], v[132:133], v[42:45]
	v_cvt_f32_f16_e32 v182, v196
	v_cvt_f32_f16_sdwa v183, v196 dst_sel:DWORD dst_unused:UNUSED_PAD src0_sel:WORD_1
	v_cvt_f32_f16_e32 v184, v193
	s_nop 1
	v_mfma_f32_16x16x16_f16 v[182:185], v[186:187], v[46:47], v[182:185]
	ds_read_u16 v186, v156 offset:4576
	ds_read_u16 v187, v156 offset:4848
	;; [unrolled: 1-line block ×4, first 2 shown]
	v_cvt_pk_f16_f32 v43, v42, v43
	v_cvt_pk_f16_f32 v42, v44, v45
	s_nop 1
	v_cvt_f16_f32_e32 v46, v182
	v_cvt_f16_f32_e32 v47, v183
	;; [unrolled: 1-line block ×4, first 2 shown]
	v_cvt_f32_f16_e32 v182, v46
	v_cvt_f32_f16_e32 v183, v47
	s_waitcnt lgkmcnt(0)
	v_perm_b32 v47, v189, v188, s1
	v_perm_b32 v46, v187, v186, s1
	v_cvt_f32_f16_e32 v184, v54
	v_cvt_f32_f16_e32 v185, v185
	v_cvt_pk_f16_f32 v45, v22, v23
	v_cvt_pk_f16_f32 v44, v24, v25
	v_mfma_f32_16x16x16_f16 v[46:49], v[46:47], v[48:49], v[182:185]
	ds_read_u16 v54, v156 offset:8928
	s_nop 1
	ds_read_u16 v182, v156 offset:9200
	ds_read_u16 v183, v156 offset:9472
	;; [unrolled: 1-line block ×3, first 2 shown]
	s_nop 1
	v_cvt_f16_f32_e32 v46, v46
	v_cvt_f16_f32_e32 v47, v47
	;; [unrolled: 1-line block ×4, first 2 shown]
	s_waitcnt lgkmcnt(0)
	v_perm_b32 v183, v184, v183, s1
	v_perm_b32 v182, v182, v54, s1
	v_cvt_f32_f16_e32 v46, v46
	v_cvt_f32_f16_e32 v47, v47
	;; [unrolled: 1-line block ×4, first 2 shown]
	s_nop 1
	v_mfma_f32_16x16x16_f16 v[46:49], v[182:183], v[130:131], v[46:49]
	ds_read_u16 v54, v156 offset:13280
	ds_read_u16 v130, v156 offset:13552
	;; [unrolled: 1-line block ×4, first 2 shown]
	s_waitcnt lgkmcnt(0)
	s_barrier
	s_nop 1
	v_cvt_f16_f32_e32 v46, v46
	v_cvt_f16_f32_e32 v47, v47
	;; [unrolled: 1-line block ×4, first 2 shown]
	v_perm_b32 v131, v182, v131, s1
	v_perm_b32 v130, v130, v54, s1
	v_cvt_f32_f16_e32 v46, v46
	v_cvt_f32_f16_e32 v47, v47
	;; [unrolled: 1-line block ×4, first 2 shown]
	s_nop 1
	v_mfma_f32_16x16x16_f16 v[46:49], v[130:131], v[132:133], v[46:49]
	s_nop 7
	v_cvt_pk_f16_f32 v46, v46, v47
	v_cvt_pk_f16_f32 v47, v48, v49
	;; [unrolled: 1-line block ×4, first 2 shown]
	s_cbranch_scc1 .LBB24_80
	s_branch .LBB24_83
.LBB24_81:                              ;   in Loop: Header=BB24_9 Depth=1
	s_mov_b64 s[6:7], 0
                                        ; implicit-def: $vgpr2_vgpr3
                                        ; implicit-def: $vgpr83
	s_cbranch_execnz .LBB24_181
	s_branch .LBB24_350
.LBB24_82:                              ;   in Loop: Header=BB24_9 Depth=1
	v_mov_b32_e32 v254, 0xfeffffff
	v_mov_b32_e32 v197, 0
	;; [unrolled: 1-line block ×19, first 2 shown]
.LBB24_83:                              ;   in Loop: Header=BB24_9 Depth=1
	s_lshl_b32 s4, s34, 6
	s_ashr_i32 s5, s4, 31
	s_lshl_b64 s[6:7], s[4:5], 1
	v_lshl_add_u64 v[18:19], v[110:111], 0, s[6:7]
	v_lshlrev_b32_e32 v54, 1, v78
	v_lshl_add_u64 v[18:19], v[18:19], 0, v[54:55]
	v_lshl_add_u64 v[20:21], v[124:125], 1, v[18:19]
	;; [unrolled: 1-line block ×3, first 2 shown]
	global_load_dword v20, v[20:21], off
	s_mul_hi_i32 s7, s26, s4
	global_load_dword v18, v[18:19], off
	s_mul_i32 s6, s26, s4
	v_add_u32_e32 v21, v207, v205
	s_lshl_b64 s[6:7], s[6:7], 2
	v_lshlrev_b32_e32 v54, 2, v56
	v_add_u32_e32 v30, 0x1000, v199
	v_add_u32_e32 v124, 0x2000, v199
	v_add_u32_e32 v128, 0x3000, v199
	v_cmp_lt_i32_e32 vcc, v251, v250
	s_mul_hi_i32 s5, s36, s4
	s_mul_i32 s4, s36, s4
	s_lshl_b64 s[4:5], s[4:5], 2
	s_waitcnt vmcnt(1)
	ds_write_b32 v21, v20 offset:17408
	s_waitcnt vmcnt(0)
	ds_write_b32 v21, v18 offset:18560
	v_lshl_add_u64 v[18:19], v[108:109], 0, s[6:7]
	v_lshl_add_u64 v[20:21], v[58:59], 2, v[18:19]
	;; [unrolled: 1-line block ×7, first 2 shown]
	global_load_dwordx4 v[18:21], v[20:21], off
	v_lshl_add_u64 v[22:23], v[22:23], 0, v[54:55]
	v_lshl_add_u64 v[24:25], v[24:25], 0, v[54:55]
	s_waitcnt vmcnt(0)
	ds_write_b128 v79, v[18:21]
	global_load_dwordx4 v[18:21], v[22:23], off
	s_waitcnt vmcnt(0)
	ds_write_b128 v208, v[18:21]
	global_load_dwordx4 v[18:21], v[24:25], off
	;; [unrolled: 3-line block ×3, first 2 shown]
	s_waitcnt vmcnt(0)
	ds_write_b128 v210, v[18:21]
	s_waitcnt lgkmcnt(0)
	s_barrier
	ds_read2_b64 v[18:21], v199 offset1:4
	s_waitcnt lgkmcnt(0)
	v_mfma_f32_16x16x16_f16 v[22:25], v[18:19], v[14:15], 0
	v_mfma_f32_16x16x16_f16 v[18:21], v[20:21], v[16:17], v[22:25]
	s_nop 6
	ds_read2_b64 v[22:25], v199 offset0:8 offset1:12
	s_waitcnt lgkmcnt(0)
	v_mfma_f32_16x16x16_f16 v[18:21], v[22:23], v[10:11], v[18:21]
	v_mfma_f32_16x16x16_f16 v[18:21], v[24:25], v[12:13], v[18:21]
	ds_read2_b64 v[22:25], v199 offset0:16 offset1:20
	s_waitcnt lgkmcnt(0)
	v_mfma_f32_16x16x16_f16 v[18:21], v[22:23], v[6:7], v[18:21]
	v_mfma_f32_16x16x16_f16 v[18:21], v[24:25], v[8:9], v[18:21]
	;; [unrolled: 4-line block ×3, first 2 shown]
	s_nop 6
	ds_read2_b64 v[18:21], v30 offset0:32 offset1:36
	s_waitcnt lgkmcnt(0)
	v_mfma_f32_16x16x16_f16 v[22:25], v[18:19], v[14:15], 0
	v_mfma_f32_16x16x16_f16 v[18:21], v[20:21], v[16:17], v[22:25]
	s_nop 6
	ds_read2_b64 v[22:25], v30 offset0:40 offset1:44
	s_waitcnt lgkmcnt(0)
	v_mfma_f32_16x16x16_f16 v[18:21], v[22:23], v[10:11], v[18:21]
	v_mfma_f32_16x16x16_f16 v[18:21], v[24:25], v[12:13], v[18:21]
	ds_read2_b64 v[22:25], v30 offset0:48 offset1:52
	s_waitcnt lgkmcnt(0)
	v_mfma_f32_16x16x16_f16 v[18:21], v[22:23], v[6:7], v[18:21]
	v_mfma_f32_16x16x16_f16 v[18:21], v[24:25], v[8:9], v[18:21]
	;; [unrolled: 4-line block ×4, first 2 shown]
	s_nop 6
	ds_read2_b64 v[30:33], v124 offset0:72 offset1:76
	s_waitcnt lgkmcnt(0)
	v_mfma_f32_16x16x16_f16 v[22:25], v[30:31], v[10:11], v[22:25]
	v_mfma_f32_16x16x16_f16 v[22:25], v[32:33], v[12:13], v[22:25]
	ds_read2_b64 v[30:33], v124 offset0:80 offset1:84
	s_waitcnt lgkmcnt(0)
	v_mfma_f32_16x16x16_f16 v[22:25], v[30:31], v[6:7], v[22:25]
	v_mfma_f32_16x16x16_f16 v[22:25], v[32:33], v[8:9], v[22:25]
	;; [unrolled: 4-line block ×5, first 2 shown]
	s_nop 6
	ds_read2_b64 v[14:17], v128 offset0:112 offset1:116
	s_waitcnt lgkmcnt(0)
	v_mfma_f32_16x16x16_f16 v[10:13], v[14:15], v[6:7], v[10:13]
	v_mfma_f32_16x16x16_f16 v[6:9], v[16:17], v[8:9], v[10:13]
	s_nop 6
	ds_read2_b64 v[10:13], v128 offset0:120 offset1:124
	s_waitcnt lgkmcnt(0)
	v_mfma_f32_16x16x16_f16 v[6:9], v[10:11], v[2:3], v[6:9]
	s_barrier
	v_mfma_f32_16x16x16_f16 v[2:5], v[12:13], v[4:5], v[6:9]
	s_nop 5
	ds_read_b32 v6, v154 offset:17408
	s_waitcnt lgkmcnt(0)
	v_cvt_f32_f16_e32 v7, v6
	v_cvt_f32_f16_sdwa v6, v6 dst_sel:DWORD dst_unused:UNUSED_PAD src0_sel:WORD_1
	v_add_f32_e32 v17, v26, v7
	v_add_f32_e32 v26, v27, v6
	ds_read_b32 v6, v153 offset:17408
	s_waitcnt lgkmcnt(0)
	v_cvt_f32_f16_e32 v7, v6
	v_cvt_f32_f16_sdwa v6, v6 dst_sel:DWORD dst_unused:UNUSED_PAD src0_sel:WORD_1
	v_add_f32_e32 v27, v28, v7
	v_add_f32_e32 v16, v29, v6
	v_add_u32_e32 v6, 0x4400, v211
	ds_read2_b32 v[6:7], v6 offset1:1
	s_waitcnt lgkmcnt(0)
	v_cvt_f32_f16_e32 v8, v6
	v_cvt_f32_f16_sdwa v6, v6 dst_sel:DWORD dst_unused:UNUSED_PAD src0_sel:WORD_1
	v_add_f32_e32 v29, v18, v8
	v_add_f32_e32 v15, v19, v6
	v_cvt_f32_f16_e32 v6, v7
	v_cvt_f32_f16_sdwa v7, v7 dst_sel:DWORD dst_unused:UNUSED_PAD src0_sel:WORD_1
	v_add_f32_e32 v14, v20, v6
	v_add_u32_e32 v6, 0x4400, v212
	v_add_f32_e32 v13, v21, v7
	ds_read2_b32 v[6:7], v6 offset1:1
	s_waitcnt lgkmcnt(0)
	v_cvt_f32_f16_e32 v8, v6
	v_cvt_f32_f16_sdwa v6, v6 dst_sel:DWORD dst_unused:UNUSED_PAD src0_sel:WORD_1
	v_add_f32_e32 v12, v22, v8
	v_add_f32_e32 v10, v23, v6
	v_cvt_f32_f16_e32 v6, v7
	v_cvt_f32_f16_sdwa v7, v7 dst_sel:DWORD dst_unused:UNUSED_PAD src0_sel:WORD_1
	v_add_f32_e32 v9, v24, v6
	v_add_u32_e32 v6, 0x4400, v213
	v_add_f32_e32 v8, v25, v7
	ds_read2_b32 v[6:7], v6 offset1:1
	s_waitcnt lgkmcnt(0)
	v_cvt_f32_f16_e32 v11, v6
	v_cvt_f32_f16_sdwa v6, v6 dst_sel:DWORD dst_unused:UNUSED_PAD src0_sel:WORD_1
	v_add_f32_e32 v11, v2, v11
	v_add_f32_e32 v2, v3, v6
	v_cvt_f32_f16_e32 v3, v7
	v_cvt_f32_f16_sdwa v6, v7 dst_sel:DWORD dst_unused:UNUSED_PAD src0_sel:WORD_1
	v_add_f32_e32 v7, 0x40051340, v16
	v_add_f32_e32 v4, v4, v3
	v_add_f32_e32 v3, v5, v6
	v_add_f32_e32 v5, 0x40051340, v17
	v_add_f32_e32 v6, 0x40051340, v26
	v_max3_f32 v5, v254, v5, v6
	v_add_f32_e32 v6, 0x40051340, v27
	v_max3_f32 v5, v5, v6, v7
	v_add_f32_e32 v6, 0x40051340, v29
	v_add_f32_e32 v7, 0x40051340, v15
	v_max3_f32 v5, v5, v6, v7
	v_add_f32_e32 v6, 0x40051340, v14
	;; [unrolled: 3-line block ×6, first 2 shown]
	v_add_f32_e32 v7, 0x40051340, v3
	v_max3_f32 v5, v5, v6, v7
	v_cndmask_b32_e32 v6, v253, v251, vcc
	v_lshlrev_b32_e32 v28, 2, v6
	ds_bpermute_b32 v6, v28, v5
	v_cmp_lt_i32_e32 vcc, v252, v250
	s_waitcnt lgkmcnt(0)
	v_max_f32_e32 v6, v6, v6
	v_max_f32_e32 v5, v5, v6
	v_cndmask_b32_e32 v6, v253, v252, vcc
	v_lshlrev_b32_e32 v21, 2, v6
	ds_bpermute_b32 v6, v21, v5
	s_waitcnt lgkmcnt(0)
	v_max_f32_e32 v6, v6, v6
	v_max_f32_e32 v20, v5, v6
	v_sub_f32_e32 v5, v17, v20
	v_mul_f32_e32 v6, 0x3fb8aa3b, v5
	v_fma_f32 v7, v5, s41, -v6
	v_rndne_f32_e32 v17, v6
	v_fmac_f32_e32 v7, 0x32a5705f, v5
	v_sub_f32_e32 v6, v6, v17
	v_add_f32_e32 v6, v6, v7
	v_exp_f32_e32 v6, v6
	v_cvt_i32_f32_e32 v7, v17
	v_cmp_ngt_f32_e32 vcc, s30, v5
	v_sub_f32_e32 v16, v16, v20
	v_sub_f32_e32 v15, v15, v20
	v_ldexp_f32 v6, v6, v7
	v_cndmask_b32_e32 v6, 0, v6, vcc
	v_cmp_nlt_f32_e32 vcc, s47, v5
	v_sub_f32_e32 v5, v26, v20
	v_mul_f32_e32 v7, 0x3fb8aa3b, v5
	v_fma_f32 v17, v5, s41, -v7
	v_rndne_f32_e32 v18, v7
	v_fmac_f32_e32 v17, 0x32a5705f, v5
	v_sub_f32_e32 v7, v7, v18
	v_add_f32_e32 v7, v7, v17
	v_exp_f32_e32 v7, v7
	v_cvt_i32_f32_e32 v17, v18
	v_cndmask_b32_e32 v6, v232, v6, vcc
	v_cmp_ngt_f32_e32 vcc, s30, v5
	v_sub_f32_e32 v14, v14, v20
	v_ldexp_f32 v7, v7, v17
	v_sub_f32_e32 v17, v27, v20
	v_mul_f32_e32 v18, 0x3fb8aa3b, v17
	v_fma_f32 v19, v17, s41, -v18
	v_rndne_f32_e32 v22, v18
	v_fmac_f32_e32 v19, 0x32a5705f, v17
	v_sub_f32_e32 v18, v18, v22
	v_add_f32_e32 v18, v18, v19
	v_exp_f32_e32 v18, v18
	v_cvt_i32_f32_e32 v19, v22
	v_cndmask_b32_e32 v7, 0, v7, vcc
	v_cmp_nlt_f32_e32 vcc, s47, v5
	v_sub_f32_e32 v13, v13, v20
	v_ldexp_f32 v18, v18, v19
	v_cndmask_b32_e32 v7, v232, v7, vcc
	v_cmp_ngt_f32_e32 vcc, s30, v17
	v_sub_f32_e32 v12, v12, v20
	v_sub_f32_e32 v10, v10, v20
	v_cndmask_b32_e32 v18, 0, v18, vcc
	v_cmp_nlt_f32_e32 vcc, s47, v17
	v_mul_f32_e32 v17, 0x3fb8aa3b, v16
	v_fma_f32 v19, v16, s41, -v17
	v_rndne_f32_e32 v22, v17
	v_fmac_f32_e32 v19, 0x32a5705f, v16
	v_sub_f32_e32 v17, v17, v22
	v_add_f32_e32 v17, v17, v19
	v_exp_f32_e32 v17, v17
	v_cvt_i32_f32_e32 v19, v22
	v_cndmask_b32_e32 v18, v232, v18, vcc
	v_cmp_ngt_f32_e32 vcc, s30, v16
	v_sub_f32_e32 v9, v9, v20
	v_ldexp_f32 v17, v17, v19
	v_cndmask_b32_e32 v17, 0, v17, vcc
	v_cmp_nlt_f32_e32 vcc, s47, v16
	v_sub_f32_e32 v16, v29, v20
	v_sub_f32_e32 v8, v8, v20
	v_cndmask_b32_e32 v19, v232, v17, vcc
	v_mul_f32_e32 v17, 0x3fb8aa3b, v16
	v_fma_f32 v22, v16, s41, -v17
	v_rndne_f32_e32 v23, v17
	v_fmac_f32_e32 v22, 0x32a5705f, v16
	v_sub_f32_e32 v17, v17, v23
	v_add_f32_e32 v17, v17, v22
	v_exp_f32_e32 v17, v17
	v_cvt_i32_f32_e32 v22, v23
	v_cmp_ngt_f32_e32 vcc, s30, v16
	v_add_f32_e32 v5, v6, v7
	v_sub_f32_e32 v2, v2, v20
	v_ldexp_f32 v17, v17, v22
	v_cndmask_b32_e32 v17, 0, v17, vcc
	v_cmp_nlt_f32_e32 vcc, s47, v16
	v_mul_f32_e32 v16, 0x3fb8aa3b, v15
	v_rndne_f32_e32 v23, v16
	v_cndmask_b32_e32 v22, v232, v17, vcc
	v_fma_f32 v17, v15, s41, -v16
	v_fmac_f32_e32 v17, 0x32a5705f, v15
	v_sub_f32_e32 v16, v16, v23
	v_add_f32_e32 v16, v16, v17
	v_exp_f32_e32 v16, v16
	v_cvt_i32_f32_e32 v17, v23
	v_cmp_ngt_f32_e32 vcc, s30, v15
	v_add_f32_e32 v5, v18, v5
	v_add_f32_e32 v5, v19, v5
	v_ldexp_f32 v16, v16, v17
	v_cndmask_b32_e32 v16, 0, v16, vcc
	v_cmp_nlt_f32_e32 vcc, s47, v15
	v_mul_f32_e32 v15, 0x3fb8aa3b, v14
	v_rndne_f32_e32 v17, v15
	v_cndmask_b32_e32 v23, v232, v16, vcc
	v_fma_f32 v16, v14, s41, -v15
	v_fmac_f32_e32 v16, 0x32a5705f, v14
	v_sub_f32_e32 v15, v15, v17
	v_add_f32_e32 v15, v15, v16
	v_exp_f32_e32 v15, v15
	v_cvt_i32_f32_e32 v16, v17
	v_cmp_ngt_f32_e32 vcc, s30, v14
	v_add_f32_e32 v5, v22, v5
	v_add_f32_e32 v5, v23, v5
	v_ldexp_f32 v15, v15, v16
	v_cndmask_b32_e32 v15, 0, v15, vcc
	v_cmp_nlt_f32_e32 vcc, s47, v14
	v_mul_f32_e32 v14, 0x3fb8aa3b, v13
	v_rndne_f32_e32 v16, v14
	v_cndmask_b32_e32 v24, v232, v15, vcc
	v_fma_f32 v15, v13, s41, -v14
	v_fmac_f32_e32 v15, 0x32a5705f, v13
	v_sub_f32_e32 v14, v14, v16
	v_add_f32_e32 v14, v14, v15
	v_exp_f32_e32 v14, v14
	v_cvt_i32_f32_e32 v15, v16
	v_cmp_ngt_f32_e32 vcc, s30, v13
	v_add_f32_e32 v5, v24, v5
	v_sub_f32_e32 v4, v4, v20
	v_ldexp_f32 v14, v14, v15
	v_cndmask_b32_e32 v14, 0, v14, vcc
	v_cmp_nlt_f32_e32 vcc, s47, v13
	v_mul_f32_e32 v13, 0x3fb8aa3b, v12
	v_rndne_f32_e32 v15, v13
	v_cndmask_b32_e32 v25, v232, v14, vcc
	v_fma_f32 v14, v12, s41, -v13
	v_fmac_f32_e32 v14, 0x32a5705f, v12
	v_sub_f32_e32 v13, v13, v15
	v_add_f32_e32 v13, v13, v14
	v_exp_f32_e32 v13, v13
	v_cvt_i32_f32_e32 v14, v15
	v_cmp_ngt_f32_e32 vcc, s30, v12
	v_add_f32_e32 v5, v25, v5
	v_sub_f32_e32 v3, v3, v20
	v_ldexp_f32 v13, v13, v14
	v_cndmask_b32_e32 v13, 0, v13, vcc
	v_cmp_nlt_f32_e32 vcc, s47, v12
	v_mul_f32_e32 v12, 0x3fb8aa3b, v10
	v_rndne_f32_e32 v14, v12
	v_cndmask_b32_e32 v30, v232, v13, vcc
	v_fma_f32 v13, v10, s41, -v12
	v_fmac_f32_e32 v13, 0x32a5705f, v10
	v_sub_f32_e32 v12, v12, v14
	v_add_f32_e32 v12, v12, v13
	v_exp_f32_e32 v12, v12
	v_cvt_i32_f32_e32 v13, v14
	v_cmp_ngt_f32_e32 vcc, s30, v10
	v_add_f32_e32 v5, v30, v5
	v_cvt_pk_f16_f32 v25, v24, v25
	v_ldexp_f32 v12, v12, v13
	v_cndmask_b32_e32 v12, 0, v12, vcc
	v_cmp_nlt_f32_e32 vcc, s47, v10
	v_mul_f32_e32 v10, 0x3fb8aa3b, v9
	v_rndne_f32_e32 v13, v10
	v_cndmask_b32_e32 v31, v232, v12, vcc
	v_fma_f32 v12, v9, s41, -v10
	v_fmac_f32_e32 v12, 0x32a5705f, v9
	v_sub_f32_e32 v10, v10, v13
	v_add_f32_e32 v10, v10, v12
	v_exp_f32_e32 v10, v10
	v_cvt_i32_f32_e32 v12, v13
	v_cmp_ngt_f32_e32 vcc, s30, v9
	v_add_f32_e32 v5, v31, v5
	v_cvt_pk_f16_f32 v24, v22, v23
	;; [unrolled: 15-line block ×3, first 2 shown]
	v_ldexp_f32 v9, v9, v10
	v_cndmask_b32_e32 v9, 0, v9, vcc
	v_cmp_nlt_f32_e32 vcc, s47, v8
	v_sub_f32_e32 v8, v11, v20
	s_nop 0
	v_cndmask_b32_e32 v124, v232, v9, vcc
	v_mul_f32_e32 v9, 0x3fb8aa3b, v8
	v_fma_f32 v10, v8, s41, -v9
	v_rndne_f32_e32 v11, v9
	v_fmac_f32_e32 v10, 0x32a5705f, v8
	v_sub_f32_e32 v9, v9, v11
	v_add_f32_e32 v9, v9, v10
	v_exp_f32_e32 v9, v9
	v_cvt_i32_f32_e32 v10, v11
	v_cmp_ngt_f32_e32 vcc, s30, v8
	v_add_f32_e32 v5, v124, v5
	v_cvt_pk_f16_f32 v23, v32, v124
	v_ldexp_f32 v9, v9, v10
	v_cndmask_b32_e32 v9, 0, v9, vcc
	v_cmp_nlt_f32_e32 vcc, s47, v8
	v_mul_f32_e32 v8, 0x3fb8aa3b, v2
	v_rndne_f32_e32 v10, v8
	v_cndmask_b32_e32 v33, v232, v9, vcc
	v_fma_f32 v9, v2, s41, -v8
	v_fmac_f32_e32 v9, 0x32a5705f, v2
	v_sub_f32_e32 v8, v8, v10
	v_add_f32_e32 v8, v8, v9
	v_exp_f32_e32 v8, v8
	v_cvt_i32_f32_e32 v9, v10
	v_cmp_ngt_f32_e32 vcc, s30, v2
	v_add_f32_e32 v5, v33, v5
	v_ldexp_f32 v8, v8, v9
	v_cndmask_b32_e32 v8, 0, v8, vcc
	v_cmp_nlt_f32_e32 vcc, s47, v2
	s_nop 1
	v_cndmask_b32_e32 v125, v232, v8, vcc
	v_add_f32_e32 v2, v125, v5
	v_mul_f32_e32 v5, 0x3fb8aa3b, v4
	v_fma_f32 v8, v4, s41, -v5
	v_rndne_f32_e32 v9, v5
	v_fmac_f32_e32 v8, 0x32a5705f, v4
	v_sub_f32_e32 v5, v5, v9
	v_add_f32_e32 v5, v5, v8
	v_exp_f32_e32 v5, v5
	v_cvt_i32_f32_e32 v8, v9
	v_cmp_ngt_f32_e32 vcc, s30, v4
	v_ldexp_f32 v5, v5, v8
	s_nop 0
	v_cndmask_b32_e32 v5, 0, v5, vcc
	v_cmp_nlt_f32_e32 vcc, s47, v4
	v_mul_f32_e32 v4, 0x3fb8aa3b, v3
	v_rndne_f32_e32 v8, v4
	v_cndmask_b32_e32 v126, v232, v5, vcc
	v_fma_f32 v5, v3, s41, -v4
	v_fmac_f32_e32 v5, 0x32a5705f, v3
	v_sub_f32_e32 v4, v4, v8
	v_add_f32_e32 v4, v4, v5
	v_exp_f32_e32 v4, v4
	v_cvt_i32_f32_e32 v5, v8
	v_cmp_ngt_f32_e32 vcc, s30, v3
	v_add_f32_e32 v2, v126, v2
	v_ldexp_f32 v4, v4, v5
	v_cndmask_b32_e32 v4, 0, v4, vcc
	v_cmp_nlt_f32_e32 vcc, s47, v3
	s_nop 1
	v_cndmask_b32_e32 v127, v232, v4, vcc
	v_add_f32_e32 v29, v127, v2
	v_sub_f32_e32 v2, v254, v20
	v_mul_f32_e32 v3, 0x3fb8aa3b, v2
	v_fma_f32 v4, v2, s41, -v3
	v_rndne_f32_e32 v5, v3
	v_fmac_f32_e32 v4, 0x32a5705f, v2
	v_sub_f32_e32 v3, v3, v5
	v_add_f32_e32 v3, v3, v4
	v_exp_f32_e32 v3, v3
	v_cvt_i32_f32_e32 v4, v5
	v_cmp_ngt_f32_e32 vcc, s30, v2
	v_ldexp_f32 v3, v3, v4
	s_nop 0
	v_cndmask_b32_e32 v3, 0, v3, vcc
	v_cmp_nlt_f32_e32 vcc, s47, v2
	s_nop 1
	v_cndmask_b32_e32 v3, v232, v3, vcc
	v_cmp_le_f32_e32 vcc, s0, v2
	s_nop 1
	v_cndmask_b32_e32 v2, 0, v3, vcc
	v_fmac_f32_e32 v29, v197, v2
	v_cvt_f16_f32_e32 v2, v2
	v_cmp_eq_u64_e32 vcc, 0, v[104:105]
	s_and_b64 vcc, exec, vcc
	v_mul_u32_u24_e32 v2, 0x10001, v2
	v_pk_mul_f16 v27, v49, v2
	v_pk_mul_f16 v26, v48, v2
	;; [unrolled: 1-line block ×16, first 2 shown]
	v_lshl_add_u64 v[2:3], v[106:107], 0, s[4:5]
	v_lshl_add_u64 v[4:5], v[66:67], 2, v[2:3]
	;; [unrolled: 1-line block ×7, first 2 shown]
	global_load_dwordx4 v[2:5], v[4:5], off
	v_lshl_add_u64 v[36:37], v[36:37], 0, v[54:55]
	v_lshl_add_u64 v[38:39], v[38:39], 0, v[54:55]
	s_waitcnt vmcnt(0)
	ds_write_b128 v79, v[2:5]
	global_load_dwordx4 v[2:5], v[36:37], off
	v_add_u32_e32 v37, v155, v157
	s_waitcnt vmcnt(0)
	ds_write_b128 v208, v[2:5]
	global_load_dwordx4 v[2:5], v[38:39], off
	s_waitcnt vmcnt(0)
	ds_write_b128 v209, v[2:5]
	global_load_dwordx4 v[2:5], v[40:41], off
	v_cvt_f32_f16_sdwa v41, v8 dst_sel:DWORD dst_unused:UNUSED_PAD src0_sel:WORD_1
	s_waitcnt vmcnt(0)
	ds_write_b128 v210, v[2:5]
	s_waitcnt lgkmcnt(0)
	s_barrier
	ds_read_u16 v36, v156 offset:272
	ds_read_u16 v39, v156 offset:544
	v_cvt_f32_f16_e32 v4, v26
	v_cvt_f32_f16_sdwa v5, v26 dst_sel:DWORD dst_unused:UNUSED_PAD src0_sel:WORD_1
	ds_read_u16 v26, v156
	ds_read_u16 v40, v156 offset:32
	v_cvt_f32_f16_e32 v2, v27
	v_cvt_f32_f16_sdwa v3, v27 dst_sel:DWORD dst_unused:UNUSED_PAD src0_sel:WORD_1
	v_cvt_pk_f16_f32 v27, v18, v19
	s_waitcnt lgkmcnt(1)
	v_perm_b32 v38, v36, v26, s1
	ds_read_u16 v26, v37
	ds_read_u16 v36, v37 offset:32
	s_waitcnt lgkmcnt(1)
	v_perm_b32 v39, v26, v39, s1
	v_cvt_pk_f16_f32 v26, v6, v7
	ds_read_u16 v6, v156 offset:4352
	ds_read_u16 v7, v156 offset:4624
	;; [unrolled: 1-line block ×4, first 2 shown]
	v_mfma_f32_16x16x16_f16 v[2:5], v[38:39], v[26:27], v[2:5]
	s_waitcnt lgkmcnt(2)
	v_perm_b32 v6, v7, v6, s1
	s_waitcnt lgkmcnt(0)
	v_perm_b32 v7, v19, v18, s1
	v_cvt_f32_f16_e32 v38, v9
	s_nop 2
	v_cvt_f16_f32_e32 v2, v2
	v_cvt_f16_f32_e32 v3, v3
	;; [unrolled: 1-line block ×4, first 2 shown]
	v_cvt_f32_f16_e32 v2, v2
	v_cvt_f32_f16_e32 v3, v3
	;; [unrolled: 1-line block ×4, first 2 shown]
	v_cvt_f32_f16_sdwa v39, v9 dst_sel:DWORD dst_unused:UNUSED_PAD src0_sel:WORD_1
	s_nop 0
	v_mfma_f32_16x16x16_f16 v[2:5], v[6:7], v[24:25], v[2:5]
	ds_read_u16 v6, v156 offset:8704
	ds_read_u16 v7, v156 offset:8976
	;; [unrolled: 1-line block ×4, first 2 shown]
	s_nop 3
	v_cvt_f16_f32_e32 v2, v2
	v_cvt_f16_f32_e32 v3, v3
	;; [unrolled: 1-line block ×4, first 2 shown]
	s_waitcnt lgkmcnt(2)
	v_perm_b32 v6, v7, v6, s1
	s_waitcnt lgkmcnt(0)
	v_perm_b32 v7, v19, v18, s1
	v_cvt_f32_f16_e32 v2, v2
	v_cvt_f32_f16_e32 v3, v3
	;; [unrolled: 1-line block ×4, first 2 shown]
	s_nop 1
	v_mfma_f32_16x16x16_f16 v[2:5], v[6:7], v[22:23], v[2:5]
	ds_read_u16 v6, v156 offset:13056
	ds_read_u16 v7, v156 offset:13328
	;; [unrolled: 1-line block ×4, first 2 shown]
	s_nop 3
	v_cvt_f16_f32_e32 v2, v2
	v_cvt_f16_f32_e32 v3, v3
	;; [unrolled: 1-line block ×4, first 2 shown]
	s_waitcnt lgkmcnt(2)
	v_perm_b32 v6, v7, v6, s1
	s_waitcnt lgkmcnt(0)
	v_perm_b32 v7, v19, v18, s1
	v_cvt_f32_f16_e32 v2, v2
	v_cvt_f32_f16_e32 v3, v3
	;; [unrolled: 1-line block ×4, first 2 shown]
	v_cvt_pk_f16_f32 v19, v126, v127
	v_cvt_pk_f16_f32 v18, v33, v125
	ds_read_u16 v31, v156 offset:304
	ds_read_u16 v33, v156 offset:576
	v_mfma_f32_16x16x16_f16 v[2:5], v[6:7], v[18:19], v[2:5]
	v_cvt_f32_f16_e32 v6, v44
	v_cvt_f32_f16_sdwa v7, v44 dst_sel:DWORD dst_unused:UNUSED_PAD src0_sel:WORD_1
	s_waitcnt lgkmcnt(1)
	v_perm_b32 v32, v31, v40, s1
	s_waitcnt lgkmcnt(0)
	v_perm_b32 v33, v36, v33, s1
	v_cvt_f32_f16_e32 v40, v8
	s_nop 0
	v_cvt_f16_f32_e32 v4, v4
	v_cvt_f16_f32_e32 v5, v5
	v_perm_b32 v30, v5, v4, s1
	v_cvt_f32_f16_e32 v4, v45
	v_cvt_f32_f16_sdwa v5, v45 dst_sel:DWORD dst_unused:UNUSED_PAD src0_sel:WORD_1
	s_nop 1
	v_mfma_f32_16x16x16_f16 v[4:7], v[32:33], v[26:27], v[4:7]
	ds_read_u16 v31, v156 offset:4384
	ds_read_u16 v32, v156 offset:4656
	ds_read_u16 v33, v156 offset:4928
	ds_read_u16 v36, v37 offset:4384
	s_nop 3
	v_cvt_f16_f32_e32 v4, v4
	v_cvt_f16_f32_e32 v5, v5
	v_cvt_f16_f32_e32 v6, v6
	v_cvt_f16_f32_e32 v7, v7
	s_waitcnt lgkmcnt(2)
	v_perm_b32 v32, v32, v31, s1
	s_waitcnt lgkmcnt(0)
	v_perm_b32 v33, v36, v33, s1
	v_cvt_f32_f16_e32 v4, v4
	v_cvt_f32_f16_e32 v5, v5
	v_cvt_f32_f16_e32 v6, v6
	v_cvt_f32_f16_e32 v7, v7
	s_nop 1
	v_mfma_f32_16x16x16_f16 v[4:7], v[32:33], v[24:25], v[4:7]
	ds_read_u16 v31, v156 offset:8736
	ds_read_u16 v32, v156 offset:9008
	ds_read_u16 v33, v156 offset:9280
	ds_read_u16 v36, v37 offset:8736
	s_nop 3
	v_cvt_f16_f32_e32 v4, v4
	v_cvt_f16_f32_e32 v5, v5
	v_cvt_f16_f32_e32 v6, v6
	v_cvt_f16_f32_e32 v7, v7
	s_waitcnt lgkmcnt(2)
	v_perm_b32 v32, v32, v31, s1
	s_waitcnt lgkmcnt(0)
	v_perm_b32 v33, v36, v33, s1
	v_cvt_f32_f16_e32 v4, v4
	v_cvt_f32_f16_e32 v5, v5
	v_cvt_f32_f16_e32 v6, v6
	v_cvt_f32_f16_e32 v7, v7
	;; [unrolled: 19-line block ×3, first 2 shown]
	s_nop 1
	v_mfma_f32_16x16x16_f16 v[4:7], v[32:33], v[18:19], v[4:7]
	s_nop 7
	v_cvt_f16_f32_e32 v6, v6
	v_cvt_f16_f32_e32 v7, v7
	v_perm_b32 v31, v7, v6, s1
	ds_read_u16 v6, v156 offset:64
	ds_read_u16 v7, v156 offset:336
	;; [unrolled: 1-line block ×4, first 2 shown]
	s_waitcnt lgkmcnt(2)
	v_perm_b32 v6, v7, v6, s1
	s_waitcnt lgkmcnt(0)
	v_perm_b32 v7, v33, v32, s1
	s_nop 1
	v_mfma_f32_16x16x16_f16 v[6:9], v[6:7], v[26:27], v[38:41]
	ds_read_u16 v32, v156 offset:4416
	ds_read_u16 v33, v156 offset:4688
	;; [unrolled: 1-line block ×4, first 2 shown]
	v_cvt_f32_f16_sdwa v39, v11 dst_sel:DWORD dst_unused:UNUSED_PAD src0_sel:WORD_1
	v_cvt_f32_f16_e32 v40, v10
	s_nop 1
	v_cvt_f16_f32_e32 v6, v6
	v_cvt_f16_f32_e32 v7, v7
	;; [unrolled: 1-line block ×4, first 2 shown]
	s_waitcnt lgkmcnt(2)
	v_perm_b32 v32, v33, v32, s1
	s_waitcnt lgkmcnt(0)
	v_perm_b32 v33, v38, v36, s1
	v_cvt_f32_f16_e32 v6, v6
	v_cvt_f32_f16_e32 v7, v7
	;; [unrolled: 1-line block ×4, first 2 shown]
	v_cvt_f32_f16_sdwa v41, v10 dst_sel:DWORD dst_unused:UNUSED_PAD src0_sel:WORD_1
	s_nop 0
	v_mfma_f32_16x16x16_f16 v[6:9], v[32:33], v[24:25], v[6:9]
	ds_read_u16 v32, v156 offset:8768
	ds_read_u16 v33, v156 offset:9040
	;; [unrolled: 1-line block ×4, first 2 shown]
	s_nop 3
	v_cvt_f16_f32_e32 v6, v6
	v_cvt_f16_f32_e32 v7, v7
	;; [unrolled: 1-line block ×4, first 2 shown]
	s_waitcnt lgkmcnt(2)
	v_perm_b32 v32, v33, v32, s1
	s_waitcnt lgkmcnt(0)
	v_perm_b32 v33, v38, v36, s1
	v_cvt_f32_f16_e32 v6, v6
	v_cvt_f32_f16_e32 v7, v7
	;; [unrolled: 1-line block ×4, first 2 shown]
	s_nop 1
	v_mfma_f32_16x16x16_f16 v[6:9], v[32:33], v[22:23], v[6:9]
	ds_read_u16 v32, v156 offset:13120
	ds_read_u16 v33, v156 offset:13392
	;; [unrolled: 1-line block ×4, first 2 shown]
	s_nop 3
	v_cvt_f16_f32_e32 v6, v6
	v_cvt_f16_f32_e32 v7, v7
	;; [unrolled: 1-line block ×4, first 2 shown]
	s_waitcnt lgkmcnt(2)
	v_perm_b32 v32, v33, v32, s1
	s_waitcnt lgkmcnt(0)
	v_perm_b32 v33, v38, v36, s1
	v_cvt_f32_f16_e32 v6, v6
	v_cvt_f32_f16_e32 v7, v7
	;; [unrolled: 1-line block ×5, first 2 shown]
	s_nop 0
	v_mfma_f32_16x16x16_f16 v[6:9], v[32:33], v[18:19], v[6:9]
	s_nop 7
	v_cvt_f16_f32_e32 v8, v8
	v_cvt_f16_f32_e32 v9, v9
	v_perm_b32 v32, v9, v8, s1
	ds_read_u16 v8, v156 offset:96
	ds_read_u16 v9, v156 offset:368
	;; [unrolled: 1-line block ×4, first 2 shown]
	s_waitcnt lgkmcnt(2)
	v_perm_b32 v8, v9, v8, s1
	s_waitcnt lgkmcnt(0)
	v_perm_b32 v9, v36, v33, s1
	s_nop 1
	v_mfma_f32_16x16x16_f16 v[8:11], v[8:9], v[26:27], v[38:41]
	ds_read_u16 v33, v156 offset:4448
	ds_read_u16 v36, v156 offset:4720
	s_nop 0
	ds_read_u16 v39, v156 offset:4992
	ds_read_u16 v40, v37 offset:4448
	v_cvt_f32_f16_sdwa v41, v12 dst_sel:DWORD dst_unused:UNUSED_PAD src0_sel:WORD_1
	s_nop 1
	v_cvt_f16_f32_e32 v8, v8
	v_cvt_f16_f32_e32 v9, v9
	;; [unrolled: 1-line block ×4, first 2 shown]
	s_waitcnt lgkmcnt(2)
	v_perm_b32 v38, v36, v33, s1
	s_waitcnt lgkmcnt(0)
	v_perm_b32 v39, v40, v39, s1
	v_cvt_f32_f16_e32 v8, v8
	v_cvt_f32_f16_e32 v9, v9
	v_cvt_f32_f16_e32 v10, v10
	v_cvt_f32_f16_e32 v11, v11
	s_nop 1
	v_mfma_f32_16x16x16_f16 v[8:11], v[38:39], v[24:25], v[8:11]
	ds_read_u16 v33, v156 offset:8800
	ds_read_u16 v36, v156 offset:9072
	ds_read_u16 v39, v156 offset:9344
	ds_read_u16 v40, v37 offset:8800
	s_nop 3
	v_cvt_f16_f32_e32 v8, v8
	v_cvt_f16_f32_e32 v9, v9
	;; [unrolled: 1-line block ×4, first 2 shown]
	s_waitcnt lgkmcnt(2)
	v_perm_b32 v38, v36, v33, s1
	s_waitcnt lgkmcnt(0)
	v_perm_b32 v39, v40, v39, s1
	v_cvt_f32_f16_e32 v8, v8
	v_cvt_f32_f16_e32 v9, v9
	v_cvt_f32_f16_e32 v10, v10
	v_cvt_f32_f16_e32 v11, v11
	s_nop 1
	v_mfma_f32_16x16x16_f16 v[8:11], v[38:39], v[22:23], v[8:11]
	ds_read_u16 v33, v156 offset:13152
	ds_read_u16 v36, v156 offset:13424
	;; [unrolled: 1-line block ×4, first 2 shown]
	s_nop 3
	v_cvt_f16_f32_e32 v8, v8
	v_cvt_f16_f32_e32 v9, v9
	;; [unrolled: 1-line block ×4, first 2 shown]
	s_waitcnt lgkmcnt(2)
	v_perm_b32 v38, v36, v33, s1
	s_waitcnt lgkmcnt(0)
	v_perm_b32 v39, v40, v39, s1
	v_cvt_f32_f16_e32 v8, v8
	v_cvt_f32_f16_e32 v9, v9
	;; [unrolled: 1-line block ×5, first 2 shown]
	s_nop 0
	v_mfma_f32_16x16x16_f16 v[8:11], v[38:39], v[18:19], v[8:11]
	v_cvt_f32_f16_e32 v38, v13
	v_cvt_f32_f16_sdwa v39, v13 dst_sel:DWORD dst_unused:UNUSED_PAD src0_sel:WORD_1
	s_nop 5
	v_cvt_f16_f32_e32 v10, v10
	v_cvt_f16_f32_e32 v11, v11
	v_perm_b32 v33, v11, v10, s1
	ds_read_u16 v10, v156 offset:128
	ds_read_u16 v11, v156 offset:400
	;; [unrolled: 1-line block ×4, first 2 shown]
	s_waitcnt lgkmcnt(2)
	v_perm_b32 v10, v11, v10, s1
	s_waitcnt lgkmcnt(0)
	v_perm_b32 v11, v42, v36, s1
	s_nop 1
	v_mfma_f32_16x16x16_f16 v[10:13], v[10:11], v[26:27], v[38:41]
	ds_read_u16 v36, v156 offset:4480
	s_nop 1
	ds_read_u16 v38, v156 offset:4752
	ds_read_u16 v39, v156 offset:5024
	;; [unrolled: 1-line block ×3, first 2 shown]
	v_cvt_f32_f16_sdwa v41, v14 dst_sel:DWORD dst_unused:UNUSED_PAD src0_sel:WORD_1
	s_nop 0
	v_cvt_f16_f32_e32 v10, v10
	v_cvt_f16_f32_e32 v11, v11
	;; [unrolled: 1-line block ×4, first 2 shown]
	s_waitcnt lgkmcnt(2)
	v_perm_b32 v38, v38, v36, s1
	s_waitcnt lgkmcnt(0)
	v_perm_b32 v39, v40, v39, s1
	v_cvt_f32_f16_e32 v10, v10
	v_cvt_f32_f16_e32 v11, v11
	;; [unrolled: 1-line block ×4, first 2 shown]
	s_nop 1
	v_mfma_f32_16x16x16_f16 v[10:13], v[38:39], v[24:25], v[10:13]
	ds_read_u16 v36, v156 offset:8832
	ds_read_u16 v38, v156 offset:9104
	;; [unrolled: 1-line block ×4, first 2 shown]
	s_nop 3
	v_cvt_f16_f32_e32 v10, v10
	v_cvt_f16_f32_e32 v11, v11
	;; [unrolled: 1-line block ×4, first 2 shown]
	s_waitcnt lgkmcnt(2)
	v_perm_b32 v38, v38, v36, s1
	s_waitcnt lgkmcnt(0)
	v_perm_b32 v39, v40, v39, s1
	v_cvt_f32_f16_e32 v10, v10
	v_cvt_f32_f16_e32 v11, v11
	;; [unrolled: 1-line block ×4, first 2 shown]
	s_nop 1
	v_mfma_f32_16x16x16_f16 v[10:13], v[38:39], v[22:23], v[10:13]
	ds_read_u16 v36, v156 offset:13184
	ds_read_u16 v38, v156 offset:13456
	;; [unrolled: 1-line block ×4, first 2 shown]
	s_nop 3
	v_cvt_f16_f32_e32 v10, v10
	v_cvt_f16_f32_e32 v11, v11
	;; [unrolled: 1-line block ×4, first 2 shown]
	s_waitcnt lgkmcnt(2)
	v_perm_b32 v38, v38, v36, s1
	s_waitcnt lgkmcnt(0)
	v_perm_b32 v39, v40, v39, s1
	v_cvt_f32_f16_e32 v10, v10
	v_cvt_f32_f16_e32 v11, v11
	;; [unrolled: 1-line block ×5, first 2 shown]
	s_nop 0
	v_mfma_f32_16x16x16_f16 v[10:13], v[38:39], v[18:19], v[10:13]
	v_cvt_f32_f16_e32 v38, v15
	v_cvt_f32_f16_sdwa v39, v15 dst_sel:DWORD dst_unused:UNUSED_PAD src0_sel:WORD_1
	s_nop 5
	v_cvt_f16_f32_e32 v12, v12
	v_cvt_f16_f32_e32 v13, v13
	v_perm_b32 v36, v13, v12, s1
	ds_read_u16 v12, v156 offset:160
	ds_read_u16 v13, v156 offset:432
	;; [unrolled: 1-line block ×4, first 2 shown]
	s_waitcnt lgkmcnt(2)
	v_perm_b32 v12, v13, v12, s1
	s_waitcnt lgkmcnt(0)
	v_perm_b32 v13, v43, v42, s1
	v_cvt_f32_f16_e32 v42, v16
	s_nop 0
	v_mfma_f32_16x16x16_f16 v[12:15], v[12:13], v[26:27], v[38:41]
	s_nop 2
	ds_read_u16 v38, v156 offset:4512
	ds_read_u16 v39, v156 offset:4784
	;; [unrolled: 1-line block ×4, first 2 shown]
	v_cvt_f32_f16_sdwa v43, v16 dst_sel:DWORD dst_unused:UNUSED_PAD src0_sel:WORD_1
	v_cvt_f16_f32_e32 v12, v12
	v_cvt_f16_f32_e32 v13, v13
	;; [unrolled: 1-line block ×4, first 2 shown]
	s_waitcnt lgkmcnt(2)
	v_perm_b32 v38, v39, v38, s1
	s_waitcnt lgkmcnt(0)
	v_perm_b32 v39, v41, v40, s1
	v_cvt_f32_f16_e32 v12, v12
	v_cvt_f32_f16_e32 v13, v13
	v_cvt_f32_f16_e32 v14, v14
	v_cvt_f32_f16_e32 v15, v15
	s_nop 1
	v_mfma_f32_16x16x16_f16 v[12:15], v[38:39], v[24:25], v[12:15]
	ds_read_u16 v38, v156 offset:8864
	ds_read_u16 v39, v156 offset:9136
	;; [unrolled: 1-line block ×4, first 2 shown]
	s_nop 3
	v_cvt_f16_f32_e32 v12, v12
	v_cvt_f16_f32_e32 v13, v13
	;; [unrolled: 1-line block ×4, first 2 shown]
	s_waitcnt lgkmcnt(2)
	v_perm_b32 v38, v39, v38, s1
	s_waitcnt lgkmcnt(0)
	v_perm_b32 v39, v41, v40, s1
	v_cvt_f32_f16_e32 v12, v12
	v_cvt_f32_f16_e32 v13, v13
	;; [unrolled: 1-line block ×4, first 2 shown]
	s_nop 1
	v_mfma_f32_16x16x16_f16 v[12:15], v[38:39], v[22:23], v[12:15]
	ds_read_u16 v38, v156 offset:13216
	ds_read_u16 v39, v156 offset:13488
	;; [unrolled: 1-line block ×4, first 2 shown]
	s_nop 3
	v_cvt_f16_f32_e32 v12, v12
	v_cvt_f16_f32_e32 v13, v13
	;; [unrolled: 1-line block ×4, first 2 shown]
	s_waitcnt lgkmcnt(2)
	v_perm_b32 v38, v39, v38, s1
	s_waitcnt lgkmcnt(0)
	v_perm_b32 v39, v41, v40, s1
	v_cvt_f32_f16_e32 v12, v12
	v_cvt_f32_f16_e32 v13, v13
	;; [unrolled: 1-line block ×5, first 2 shown]
	v_cvt_f32_f16_sdwa v41, v17 dst_sel:DWORD dst_unused:UNUSED_PAD src0_sel:WORD_1
	v_mfma_f32_16x16x16_f16 v[12:15], v[38:39], v[18:19], v[12:15]
	s_nop 7
	v_cvt_f16_f32_e32 v14, v14
	v_cvt_f16_f32_e32 v15, v15
	v_perm_b32 v38, v15, v14, s1
	ds_read_u16 v14, v156 offset:192
	ds_read_u16 v15, v156 offset:464
	;; [unrolled: 1-line block ×4, first 2 shown]
	s_waitcnt lgkmcnt(2)
	v_perm_b32 v14, v15, v14, s1
	s_waitcnt lgkmcnt(0)
	v_perm_b32 v15, v44, v39, s1
	s_nop 1
	v_mfma_f32_16x16x16_f16 v[14:17], v[14:15], v[26:27], v[40:43]
	ds_read_u16 v39, v156 offset:4544
	s_nop 1
	ds_read_u16 v40, v156 offset:4816
	ds_read_u16 v41, v156 offset:5088
	;; [unrolled: 1-line block ×3, first 2 shown]
	v_cvt_f32_f16_sdwa v43, v34 dst_sel:DWORD dst_unused:UNUSED_PAD src0_sel:WORD_1
	s_nop 0
	v_cvt_f16_f32_e32 v14, v14
	v_cvt_f16_f32_e32 v15, v15
	;; [unrolled: 1-line block ×4, first 2 shown]
	s_waitcnt lgkmcnt(2)
	v_perm_b32 v40, v40, v39, s1
	s_waitcnt lgkmcnt(0)
	v_perm_b32 v41, v42, v41, s1
	v_cvt_f32_f16_e32 v14, v14
	v_cvt_f32_f16_e32 v15, v15
	;; [unrolled: 1-line block ×4, first 2 shown]
	s_nop 1
	v_mfma_f32_16x16x16_f16 v[14:17], v[40:41], v[24:25], v[14:17]
	ds_read_u16 v39, v156 offset:8896
	ds_read_u16 v40, v156 offset:9168
	;; [unrolled: 1-line block ×4, first 2 shown]
	s_nop 3
	v_cvt_f16_f32_e32 v14, v14
	v_cvt_f16_f32_e32 v15, v15
	;; [unrolled: 1-line block ×4, first 2 shown]
	s_waitcnt lgkmcnt(2)
	v_perm_b32 v40, v40, v39, s1
	s_waitcnt lgkmcnt(0)
	v_perm_b32 v41, v42, v41, s1
	v_cvt_f32_f16_e32 v14, v14
	v_cvt_f32_f16_e32 v15, v15
	;; [unrolled: 1-line block ×4, first 2 shown]
	s_nop 1
	v_mfma_f32_16x16x16_f16 v[14:17], v[40:41], v[22:23], v[14:17]
	ds_read_u16 v39, v156 offset:13248
	ds_read_u16 v40, v156 offset:13520
	;; [unrolled: 1-line block ×4, first 2 shown]
	s_nop 3
	v_cvt_f16_f32_e32 v14, v14
	v_cvt_f16_f32_e32 v15, v15
	;; [unrolled: 1-line block ×4, first 2 shown]
	s_waitcnt lgkmcnt(2)
	v_perm_b32 v40, v40, v39, s1
	s_waitcnt lgkmcnt(0)
	v_perm_b32 v41, v42, v41, s1
	v_cvt_f32_f16_e32 v14, v14
	v_cvt_f32_f16_e32 v15, v15
	;; [unrolled: 1-line block ×5, first 2 shown]
	s_nop 0
	v_mfma_f32_16x16x16_f16 v[14:17], v[40:41], v[18:19], v[14:17]
	v_cvt_f32_f16_e32 v40, v35
	v_cvt_f32_f16_sdwa v41, v35 dst_sel:DWORD dst_unused:UNUSED_PAD src0_sel:WORD_1
	s_nop 5
	v_cvt_f16_f32_e32 v16, v16
	v_cvt_f16_f32_e32 v17, v17
	v_perm_b32 v39, v17, v16, s1
	ds_read_u16 v16, v156 offset:224
	ds_read_u16 v17, v156 offset:496
	;; [unrolled: 1-line block ×4, first 2 shown]
	s_waitcnt lgkmcnt(2)
	v_perm_b32 v16, v17, v16, s1
	s_waitcnt lgkmcnt(0)
	v_perm_b32 v17, v45, v44, s1
	ds_read_u16 v34, v156 offset:4576
	ds_read_u16 v35, v156 offset:4848
	;; [unrolled: 1-line block ×4, first 2 shown]
	v_mfma_f32_16x16x16_f16 v[40:43], v[16:17], v[26:27], v[40:43]
	s_nop 7
	v_cvt_f16_f32_e32 v16, v40
	v_cvt_f16_f32_e32 v17, v41
	;; [unrolled: 1-line block ×4, first 2 shown]
	v_cvt_f32_f16_e32 v40, v16
	v_cvt_f32_f16_e32 v41, v17
	s_waitcnt lgkmcnt(2)
	v_perm_b32 v16, v35, v34, s1
	s_waitcnt lgkmcnt(0)
	v_perm_b32 v17, v45, v44, s1
	v_cvt_f32_f16_e32 v42, v26
	v_cvt_f32_f16_e32 v43, v27
	s_nop 1
	v_mfma_f32_16x16x16_f16 v[24:27], v[16:17], v[24:25], v[40:43]
	ds_read_u16 v34, v156 offset:8928
	ds_read_u16 v35, v156 offset:9200
	s_nop 0
	ds_read_u16 v40, v156 offset:9472
	ds_read_u16 v41, v37 offset:8928
	s_nop 2
	v_cvt_f16_f32_e32 v16, v24
	v_cvt_f16_f32_e32 v17, v25
	;; [unrolled: 1-line block ×4, first 2 shown]
	v_cvt_f32_f16_e32 v24, v16
	v_cvt_f32_f16_e32 v25, v17
	s_waitcnt lgkmcnt(2)
	v_perm_b32 v16, v35, v34, s1
	s_waitcnt lgkmcnt(0)
	v_perm_b32 v17, v41, v40, s1
	v_cvt_f32_f16_e32 v26, v26
	v_cvt_f32_f16_e32 v27, v27
	s_nop 1
	v_mfma_f32_16x16x16_f16 v[22:25], v[16:17], v[22:23], v[24:27]
	s_nop 7
	v_cvt_f16_f32_e32 v16, v22
	v_cvt_f16_f32_e32 v17, v23
	;; [unrolled: 1-line block ×4, first 2 shown]
	ds_read_u16 v24, v156 offset:13280
	ds_read_u16 v25, v156 offset:13552
	;; [unrolled: 1-line block ×4, first 2 shown]
	v_cvt_f32_f16_e32 v40, v16
	v_cvt_f32_f16_e32 v41, v17
	s_waitcnt lgkmcnt(2)
	v_perm_b32 v16, v25, v24, s1
	v_cvt_f32_f16_e32 v42, v22
	s_waitcnt lgkmcnt(0)
	v_perm_b32 v17, v27, v26, s1
	v_cvt_f32_f16_e32 v43, v23
	s_barrier
	s_nop 0
	v_mfma_f32_16x16x16_f16 v[16:19], v[16:17], v[18:19], v[40:43]
	s_nop 7
	v_cvt_f16_f32_e32 v18, v18
	v_cvt_f16_f32_e32 v19, v19
	v_perm_b32 v18, v19, v18, s1
	ds_bpermute_b32 v19, v28, v29
	s_waitcnt lgkmcnt(0)
	v_add_f32_e32 v19, v29, v19
	ds_bpermute_b32 v21, v21, v19
	s_waitcnt lgkmcnt(0)
	v_add_f32_e32 v21, v19, v21
	s_cbranch_vccnz .LBB24_85
; %bb.84:                               ;   in Loop: Header=BB24_9 Depth=1
	v_lshlrev_b32_e32 v19, 2, v80
	v_readfirstlane_b32 s4, v104
	v_readfirstlane_b32 s5, v105
	v_cvt_pk_f16_f32 v2, v2, v3
	v_cvt_pk_f16_f32 v3, v4, v5
	;; [unrolled: 1-line block ×3, first 2 shown]
	v_max_f32_e32 v6, v20, v20
	v_cvt_pk_f16_f32 v22, v10, v11
	global_load_dword v19, v19, s[4:5]
	v_cvt_pk_f16_f32 v5, v8, v9
	v_cvt_pk_f16_f32 v12, v12, v13
	;; [unrolled: 1-line block ×4, first 2 shown]
	s_waitcnt vmcnt(0)
	v_max_f32_e32 v7, v19, v19
	v_max_f32_e32 v10, v6, v7
	v_sub_f32_e32 v6, v20, v10
	v_sub_f32_e32 v7, v19, v10
	v_mul_f32_e32 v8, 0x3fb8aa3b, v6
	v_mul_f32_e32 v9, 0x3fb8aa3b, v7
	v_fma_f32 v11, v6, s41, -v8
	v_rndne_f32_e32 v13, v8
	v_fma_f32 v19, v7, s41, -v9
	v_rndne_f32_e32 v20, v9
	v_fmac_f32_e32 v11, 0x32a5705f, v6
	v_sub_f32_e32 v8, v8, v13
	v_fmac_f32_e32 v19, 0x32a5705f, v7
	v_sub_f32_e32 v9, v9, v20
	v_add_f32_e32 v8, v8, v11
	v_cvt_i32_f32_e32 v13, v13
	v_add_f32_e32 v9, v9, v19
	v_exp_f32_e32 v8, v8
	v_cvt_i32_f32_e32 v20, v20
	v_exp_f32_e32 v9, v9
	v_cmp_ngt_f32_e32 vcc, s30, v6
	v_ldexp_f32 v8, v8, v13
	v_ldexp_f32 v9, v9, v20
	v_cndmask_b32_e32 v8, 0, v8, vcc
	v_cmp_ngt_f32_e32 vcc, s30, v7
	s_nop 1
	v_cndmask_b32_e32 v9, 0, v9, vcc
	v_cmp_nlt_f32_e32 vcc, s47, v6
	s_nop 1
	v_cndmask_b32_e32 v8, v232, v8, vcc
	v_cmp_le_f32_e32 vcc, s0, v6
	s_nop 1
	v_cndmask_b32_e32 v6, 0, v8, vcc
	v_cvt_f16_f32_e32 v8, v6
	v_cmp_nlt_f32_e32 vcc, s47, v7
	v_mul_u32_u24_e32 v13, 0x10001, v8
	s_nop 0
	v_cndmask_b32_e32 v11, v232, v9, vcc
	v_fmac_f32_e32 v11, v21, v6
	v_pk_mul_f16 v9, v2, v13
	v_pk_mul_f16 v30, v30, v13
	;; [unrolled: 1-line block ×16, first 2 shown]
	v_mov_b64_e32 v[20:21], v[10:11]
	s_branch .LBB24_86
.LBB24_85:                              ;   in Loop: Header=BB24_9 Depth=1
	v_cvt_f16_f32_e32 v19, v2
	v_cvt_f16_f32_e32 v22, v3
	;; [unrolled: 1-line block ×16, first 2 shown]
	v_perm_b32 v2, v9, v2, s1
	v_perm_b32 v3, v10, v3, s1
	;; [unrolled: 1-line block ×8, first 2 shown]
.LBB24_86:                              ;   in Loop: Header=BB24_9 Depth=1
	s_barrier
	s_mov_b64 s[4:5], exec
	v_readlane_b32 s6, v255, 16
	v_readlane_b32 s7, v255, 17
	s_and_b64 s[6:7], s[4:5], s[6:7]
	s_mov_b64 exec, s[6:7]
	s_cbranch_execz .LBB24_88
; %bb.87:                               ;   in Loop: Header=BB24_9 Depth=1
	global_store_dwordx2 v[72:73], v[20:21], off
.LBB24_88:                              ;   in Loop: Header=BB24_9 Depth=1
	s_or_b64 exec, exec, s[4:5]
	v_add_u32_e32 v10, v152, v165
	v_cmp_gt_i32_e64 s[4:5], s24, v233
	v_cmp_gt_i32_e64 s[6:7], s3, v235
	ds_write2_b32 v10, v9, v30 offset1:1
	ds_write2_b32 v10, v8, v31 offset0:8 offset1:9
	ds_write2_b32 v10, v7, v32 offset0:16 offset1:17
	ds_write2_b32 v10, v6, v33 offset0:24 offset1:25
	ds_write2_b32 v10, v5, v36 offset0:32 offset1:33
	ds_write2_b32 v10, v4, v38 offset0:40 offset1:41
	ds_write2_b32 v10, v3, v39 offset0:48 offset1:49
	ds_write2_b32 v10, v2, v18 offset0:56 offset1:57
	v_cmp_le_i32_e32 vcc, s3, v235
	s_and_b64 s[6:7], s[4:5], s[6:7]
	v_mov_b32_e32 v2, 50
	s_waitcnt lgkmcnt(0)
	s_barrier
	s_and_saveexec_b64 s[4:5], s[6:7]
	s_cbranch_execz .LBB24_90
; %bb.89:                               ;   in Loop: Header=BB24_9 Depth=1
	v_add_u32_e32 v2, v169, v214
	ds_read_b32 v5, v2
	v_mad_u64_u32 v[2:3], s[6:7], v233, s25, v[50:51]
	v_lshl_add_u32 v2, v2, 6, v52
	v_ashrrev_i32_e32 v3, 31, v2
	s_waitcnt lgkmcnt(0)
	v_cvt_f32_f16_e32 v4, v5
	v_cvt_f32_f16_sdwa v5, v5 dst_sel:DWORD dst_unused:UNUSED_PAD src0_sel:WORD_1
	v_lshl_add_u64 v[2:3], v[2:3], 3, v[102:103]
	v_pk_add_f32 v[4:5], v[4:5], 0 op_sel_hi:[1,0]
	global_store_dwordx2 v[2:3], v[4:5], off
	v_mov_b32_e32 v2, 0
.LBB24_90:                              ;   in Loop: Header=BB24_9 Depth=1
	s_or_b64 exec, exec, s[4:5]
	v_cmp_gt_i32_e64 s[4:5], 50, v2
	s_mov_b64 s[72:73], -1
	s_and_saveexec_b64 s[6:7], s[4:5]
; %bb.91:                               ;   in Loop: Header=BB24_9 Depth=1
	v_cmp_eq_u32_e64 s[4:5], 0, v2
	s_orn2_b64 s[72:73], s[4:5], exec
; %bb.92:                               ;   in Loop: Header=BB24_9 Depth=1
	s_or_b64 exec, exec, s[6:7]
	s_mov_b64 s[56:57], 0
	s_mov_b64 s[6:7], 0
                                        ; implicit-def: $vgpr2_vgpr3
	s_and_saveexec_b64 s[70:71], s[72:73]
	s_cbranch_execz .LBB24_180
; %bb.93:                               ;   in Loop: Header=BB24_9 Depth=1
	v_cmp_gt_i32_e64 s[4:5], s24, v249
	s_xor_b64 s[72:73], vcc, -1
	s_and_b64 s[6:7], s[4:5], s[72:73]
	v_mov_b32_e32 v2, 50
	s_and_saveexec_b64 s[4:5], s[6:7]
	s_cbranch_execz .LBB24_95
; %bb.94:                               ;   in Loop: Header=BB24_9 Depth=1
	v_add_u32_e32 v2, v169, v159
	ds_read_b32 v5, v2
	v_mad_u64_u32 v[2:3], s[6:7], v249, s25, v[50:51]
	v_lshl_add_u32 v2, v2, 6, v52
	v_ashrrev_i32_e32 v3, 31, v2
	s_waitcnt lgkmcnt(0)
	v_cvt_f32_f16_e32 v4, v5
	v_cvt_f32_f16_sdwa v5, v5 dst_sel:DWORD dst_unused:UNUSED_PAD src0_sel:WORD_1
	v_lshl_add_u64 v[2:3], v[2:3], 3, v[102:103]
	v_pk_add_f32 v[4:5], v[4:5], 0 op_sel_hi:[1,0]
	global_store_dwordx2 v[2:3], v[4:5], off
	v_mov_b32_e32 v2, 0
.LBB24_95:                              ;   in Loop: Header=BB24_9 Depth=1
	s_or_b64 exec, exec, s[4:5]
	v_cmp_gt_i32_e32 vcc, 50, v2
	s_mov_b64 s[74:75], -1
	s_and_saveexec_b64 s[4:5], vcc
; %bb.96:                               ;   in Loop: Header=BB24_9 Depth=1
	v_cmp_eq_u32_e32 vcc, 0, v2
	s_orn2_b64 s[74:75], vcc, exec
; %bb.97:                               ;   in Loop: Header=BB24_9 Depth=1
	s_or_b64 exec, exec, s[4:5]
	s_mov_b64 s[6:7], 0
                                        ; implicit-def: $vgpr2_vgpr3
	s_and_saveexec_b64 s[4:5], s[74:75]
	s_cbranch_execz .LBB24_179
; %bb.98:                               ;   in Loop: Header=BB24_9 Depth=1
	v_cmp_gt_i32_e32 vcc, s24, v248
	s_and_b64 s[34:35], vcc, s[72:73]
	v_mov_b32_e32 v2, 50
	s_and_saveexec_b64 s[6:7], s[34:35]
	s_cbranch_execz .LBB24_100
; %bb.99:                               ;   in Loop: Header=BB24_9 Depth=1
	v_add_u32_e32 v2, v169, v160
	ds_read_b32 v5, v2
	v_mad_u64_u32 v[2:3], s[34:35], v248, s25, v[50:51]
	v_lshl_add_u32 v2, v2, 6, v52
	v_ashrrev_i32_e32 v3, 31, v2
	s_waitcnt lgkmcnt(0)
	v_cvt_f32_f16_e32 v4, v5
	v_cvt_f32_f16_sdwa v5, v5 dst_sel:DWORD dst_unused:UNUSED_PAD src0_sel:WORD_1
	v_lshl_add_u64 v[2:3], v[2:3], 3, v[102:103]
	v_pk_add_f32 v[4:5], v[4:5], 0 op_sel_hi:[1,0]
	global_store_dwordx2 v[2:3], v[4:5], off
	v_mov_b32_e32 v2, 0
.LBB24_100:                             ;   in Loop: Header=BB24_9 Depth=1
	s_or_b64 exec, exec, s[6:7]
	v_cmp_gt_i32_e32 vcc, 50, v2
	s_mov_b64 s[76:77], -1
	s_and_saveexec_b64 s[6:7], vcc
; %bb.101:                              ;   in Loop: Header=BB24_9 Depth=1
	v_cmp_eq_u32_e32 vcc, 0, v2
	s_orn2_b64 s[76:77], vcc, exec
; %bb.102:                              ;   in Loop: Header=BB24_9 Depth=1
	s_or_b64 exec, exec, s[6:7]
	s_mov_b64 s[74:75], 0
                                        ; implicit-def: $vgpr2_vgpr3
	s_and_saveexec_b64 s[6:7], s[76:77]
	s_cbranch_execz .LBB24_178
; %bb.103:                              ;   in Loop: Header=BB24_9 Depth=1
	v_cmp_gt_i32_e32 vcc, s24, v247
	s_and_b64 s[34:35], vcc, s[72:73]
	v_mov_b32_e32 v2, 50
	s_and_saveexec_b64 s[74:75], s[34:35]
	s_cbranch_execz .LBB24_105
; %bb.104:                              ;   in Loop: Header=BB24_9 Depth=1
	v_add_u32_e32 v2, v169, v161
	ds_read_b32 v5, v2
	v_mad_u64_u32 v[2:3], s[34:35], v247, s25, v[50:51]
	v_lshl_add_u32 v2, v2, 6, v52
	v_ashrrev_i32_e32 v3, 31, v2
	s_waitcnt lgkmcnt(0)
	v_cvt_f32_f16_e32 v4, v5
	v_cvt_f32_f16_sdwa v5, v5 dst_sel:DWORD dst_unused:UNUSED_PAD src0_sel:WORD_1
	v_lshl_add_u64 v[2:3], v[2:3], 3, v[102:103]
	v_pk_add_f32 v[4:5], v[4:5], 0 op_sel_hi:[1,0]
	global_store_dwordx2 v[2:3], v[4:5], off
	v_mov_b32_e32 v2, 0
.LBB24_105:                             ;   in Loop: Header=BB24_9 Depth=1
	s_or_b64 exec, exec, s[74:75]
	v_cmp_gt_i32_e32 vcc, 50, v2
	s_mov_b64 s[78:79], -1
	s_and_saveexec_b64 s[34:35], vcc
; %bb.106:                              ;   in Loop: Header=BB24_9 Depth=1
	v_cmp_eq_u32_e32 vcc, 0, v2
	s_orn2_b64 s[78:79], vcc, exec
; %bb.107:                              ;   in Loop: Header=BB24_9 Depth=1
	s_or_b64 exec, exec, s[34:35]
	s_mov_b64 s[76:77], 0
                                        ; implicit-def: $vgpr2_vgpr3
	s_and_saveexec_b64 s[74:75], s[78:79]
	s_cbranch_execz .LBB24_177
; %bb.108:                              ;   in Loop: Header=BB24_9 Depth=1
	v_cmp_gt_i32_e32 vcc, s24, v246
	s_and_b64 s[34:35], vcc, s[72:73]
	v_mov_b32_e32 v2, 50
	s_and_saveexec_b64 s[76:77], s[34:35]
	s_cbranch_execz .LBB24_110
; %bb.109:                              ;   in Loop: Header=BB24_9 Depth=1
	ds_read_b32 v5, v200
	v_mad_u64_u32 v[2:3], s[34:35], v246, s25, v[50:51]
	v_lshl_add_u32 v2, v2, 6, v52
	v_ashrrev_i32_e32 v3, 31, v2
	s_waitcnt lgkmcnt(0)
	v_cvt_f32_f16_e32 v4, v5
	v_cvt_f32_f16_sdwa v5, v5 dst_sel:DWORD dst_unused:UNUSED_PAD src0_sel:WORD_1
	v_lshl_add_u64 v[2:3], v[2:3], 3, v[102:103]
	v_pk_add_f32 v[4:5], v[4:5], 0 op_sel_hi:[1,0]
	global_store_dwordx2 v[2:3], v[4:5], off
	v_mov_b32_e32 v2, 0
.LBB24_110:                             ;   in Loop: Header=BB24_9 Depth=1
	s_or_b64 exec, exec, s[76:77]
	v_cmp_gt_i32_e32 vcc, 50, v2
	s_mov_b64 s[80:81], -1
	s_and_saveexec_b64 s[34:35], vcc
; %bb.111:                              ;   in Loop: Header=BB24_9 Depth=1
	v_cmp_eq_u32_e32 vcc, 0, v2
	s_orn2_b64 s[80:81], vcc, exec
; %bb.112:                              ;   in Loop: Header=BB24_9 Depth=1
	s_or_b64 exec, exec, s[34:35]
	s_mov_b64 s[78:79], 0
                                        ; implicit-def: $vgpr2_vgpr3
	s_and_saveexec_b64 s[76:77], s[80:81]
	s_cbranch_execz .LBB24_176
; %bb.113:                              ;   in Loop: Header=BB24_9 Depth=1
	v_cmp_gt_i32_e32 vcc, s24, v245
	s_and_b64 s[34:35], vcc, s[72:73]
	v_mov_b32_e32 v2, 50
	s_and_saveexec_b64 s[78:79], s[34:35]
	s_cbranch_execz .LBB24_115
; %bb.114:                              ;   in Loop: Header=BB24_9 Depth=1
	v_add_u32_e32 v2, v169, v161
	ds_read_b32 v5, v2 offset:2176
	v_mad_u64_u32 v[2:3], s[34:35], v245, s25, v[50:51]
	v_lshl_add_u32 v2, v2, 6, v52
	v_ashrrev_i32_e32 v3, 31, v2
	s_waitcnt lgkmcnt(0)
	v_cvt_f32_f16_e32 v4, v5
	v_cvt_f32_f16_sdwa v5, v5 dst_sel:DWORD dst_unused:UNUSED_PAD src0_sel:WORD_1
	v_lshl_add_u64 v[2:3], v[2:3], 3, v[102:103]
	v_pk_add_f32 v[4:5], v[4:5], 0 op_sel_hi:[1,0]
	global_store_dwordx2 v[2:3], v[4:5], off
	v_mov_b32_e32 v2, 0
.LBB24_115:                             ;   in Loop: Header=BB24_9 Depth=1
	s_or_b64 exec, exec, s[78:79]
	v_cmp_gt_i32_e32 vcc, 50, v2
	s_mov_b64 s[82:83], -1
	s_and_saveexec_b64 s[34:35], vcc
; %bb.116:                              ;   in Loop: Header=BB24_9 Depth=1
	v_cmp_eq_u32_e32 vcc, 0, v2
	s_orn2_b64 s[82:83], vcc, exec
; %bb.117:                              ;   in Loop: Header=BB24_9 Depth=1
	s_or_b64 exec, exec, s[34:35]
	s_mov_b64 s[80:81], 0
                                        ; implicit-def: $vgpr2_vgpr3
	s_and_saveexec_b64 s[78:79], s[82:83]
	s_cbranch_execz .LBB24_175
; %bb.118:                              ;   in Loop: Header=BB24_9 Depth=1
	v_cmp_gt_i32_e32 vcc, s24, v244
	s_and_b64 s[34:35], vcc, s[72:73]
	v_mov_b32_e32 v2, 50
	s_and_saveexec_b64 s[80:81], s[34:35]
	s_cbranch_execz .LBB24_120
; %bb.119:                              ;   in Loop: Header=BB24_9 Depth=1
	v_add_u32_e32 v2, v169, v161
	ds_read_b32 v5, v2 offset:3264
	v_mad_u64_u32 v[2:3], s[34:35], v244, s25, v[50:51]
	v_lshl_add_u32 v2, v2, 6, v52
	v_ashrrev_i32_e32 v3, 31, v2
	s_waitcnt lgkmcnt(0)
	v_cvt_f32_f16_e32 v4, v5
	v_cvt_f32_f16_sdwa v5, v5 dst_sel:DWORD dst_unused:UNUSED_PAD src0_sel:WORD_1
	v_lshl_add_u64 v[2:3], v[2:3], 3, v[102:103]
	v_pk_add_f32 v[4:5], v[4:5], 0 op_sel_hi:[1,0]
	global_store_dwordx2 v[2:3], v[4:5], off
	v_mov_b32_e32 v2, 0
.LBB24_120:                             ;   in Loop: Header=BB24_9 Depth=1
	;; [unrolled: 33-line block ×3, first 2 shown]
	s_or_b64 exec, exec, s[82:83]
	v_cmp_gt_i32_e32 vcc, 50, v2
	s_mov_b64 s[86:87], -1
	s_and_saveexec_b64 s[34:35], vcc
; %bb.126:                              ;   in Loop: Header=BB24_9 Depth=1
	v_cmp_eq_u32_e32 vcc, 0, v2
	s_orn2_b64 s[86:87], vcc, exec
; %bb.127:                              ;   in Loop: Header=BB24_9 Depth=1
	s_or_b64 exec, exec, s[34:35]
	s_mov_b64 s[84:85], 0
                                        ; implicit-def: $vgpr2_vgpr3
	s_and_saveexec_b64 s[82:83], s[86:87]
	s_cbranch_execz .LBB24_173
; %bb.128:                              ;   in Loop: Header=BB24_9 Depth=1
	v_cmp_gt_i32_e32 vcc, s24, v242
	s_and_b64 s[34:35], vcc, s[72:73]
	v_mov_b32_e32 v2, 50
	s_and_saveexec_b64 s[84:85], s[34:35]
	s_cbranch_execz .LBB24_130
; %bb.129:                              ;   in Loop: Header=BB24_9 Depth=1
	scratch_load_dword v2, off, off         ; 4-byte Folded Reload
	s_waitcnt vmcnt(0)
	ds_read_b32 v5, v2
	v_mad_u64_u32 v[2:3], s[34:35], v242, s25, v[50:51]
	v_lshl_add_u32 v2, v2, 6, v52
	v_ashrrev_i32_e32 v3, 31, v2
	s_waitcnt lgkmcnt(0)
	v_cvt_f32_f16_e32 v4, v5
	v_cvt_f32_f16_sdwa v5, v5 dst_sel:DWORD dst_unused:UNUSED_PAD src0_sel:WORD_1
	v_lshl_add_u64 v[2:3], v[2:3], 3, v[102:103]
	v_pk_add_f32 v[4:5], v[4:5], 0 op_sel_hi:[1,0]
	global_store_dwordx2 v[2:3], v[4:5], off
	v_mov_b32_e32 v2, 0
.LBB24_130:                             ;   in Loop: Header=BB24_9 Depth=1
	s_or_b64 exec, exec, s[84:85]
	v_cmp_gt_i32_e32 vcc, 50, v2
	s_mov_b64 s[88:89], -1
	s_and_saveexec_b64 s[34:35], vcc
; %bb.131:                              ;   in Loop: Header=BB24_9 Depth=1
	v_cmp_eq_u32_e32 vcc, 0, v2
	s_orn2_b64 s[88:89], vcc, exec
; %bb.132:                              ;   in Loop: Header=BB24_9 Depth=1
	s_or_b64 exec, exec, s[34:35]
	s_mov_b64 s[86:87], 0
                                        ; implicit-def: $vgpr2_vgpr3
	s_and_saveexec_b64 s[84:85], s[88:89]
	s_cbranch_execz .LBB24_172
; %bb.133:                              ;   in Loop: Header=BB24_9 Depth=1
	v_cmp_gt_i32_e32 vcc, s24, v241
	s_and_b64 s[34:35], vcc, s[72:73]
	v_mov_b32_e32 v2, 50
	s_and_saveexec_b64 s[86:87], s[34:35]
	s_cbranch_execz .LBB24_135
; %bb.134:                              ;   in Loop: Header=BB24_9 Depth=1
	v_add_u32_e32 v2, v169, v161
	ds_read_b32 v5, v2 offset:6528
	v_mad_u64_u32 v[2:3], s[34:35], v241, s25, v[50:51]
	v_lshl_add_u32 v2, v2, 6, v52
	v_ashrrev_i32_e32 v3, 31, v2
	s_waitcnt lgkmcnt(0)
	v_cvt_f32_f16_e32 v4, v5
	v_cvt_f32_f16_sdwa v5, v5 dst_sel:DWORD dst_unused:UNUSED_PAD src0_sel:WORD_1
	v_lshl_add_u64 v[2:3], v[2:3], 3, v[102:103]
	v_pk_add_f32 v[4:5], v[4:5], 0 op_sel_hi:[1,0]
	global_store_dwordx2 v[2:3], v[4:5], off
	v_mov_b32_e32 v2, 0
.LBB24_135:                             ;   in Loop: Header=BB24_9 Depth=1
	s_or_b64 exec, exec, s[86:87]
	v_cmp_gt_i32_e32 vcc, 50, v2
	s_mov_b64 s[90:91], -1
	s_and_saveexec_b64 s[34:35], vcc
; %bb.136:                              ;   in Loop: Header=BB24_9 Depth=1
	v_cmp_eq_u32_e32 vcc, 0, v2
	s_orn2_b64 s[90:91], vcc, exec
; %bb.137:                              ;   in Loop: Header=BB24_9 Depth=1
	s_or_b64 exec, exec, s[34:35]
	s_mov_b64 s[88:89], 0
                                        ; implicit-def: $vgpr2_vgpr3
	s_and_saveexec_b64 s[86:87], s[90:91]
	s_cbranch_execz .LBB24_171
; %bb.138:                              ;   in Loop: Header=BB24_9 Depth=1
	v_cmp_gt_i32_e32 vcc, s24, v240
	s_and_b64 s[34:35], vcc, s[72:73]
	v_mov_b32_e32 v2, 50
	s_and_saveexec_b64 s[88:89], s[34:35]
	s_cbranch_execz .LBB24_140
; %bb.139:                              ;   in Loop: Header=BB24_9 Depth=1
	v_add_u32_e32 v2, v169, v161
	ds_read_b32 v5, v2 offset:7616
	v_mad_u64_u32 v[2:3], s[34:35], v240, s25, v[50:51]
	v_lshl_add_u32 v2, v2, 6, v52
	v_ashrrev_i32_e32 v3, 31, v2
	s_waitcnt lgkmcnt(0)
	v_cvt_f32_f16_e32 v4, v5
	v_cvt_f32_f16_sdwa v5, v5 dst_sel:DWORD dst_unused:UNUSED_PAD src0_sel:WORD_1
	v_lshl_add_u64 v[2:3], v[2:3], 3, v[102:103]
	v_pk_add_f32 v[4:5], v[4:5], 0 op_sel_hi:[1,0]
	global_store_dwordx2 v[2:3], v[4:5], off
	v_mov_b32_e32 v2, 0
.LBB24_140:                             ;   in Loop: Header=BB24_9 Depth=1
	;; [unrolled: 33-line block ×3, first 2 shown]
	s_or_b64 exec, exec, s[90:91]
	v_cmp_gt_i32_e32 vcc, 50, v2
	s_mov_b64 s[94:95], -1
	s_and_saveexec_b64 s[34:35], vcc
; %bb.146:                              ;   in Loop: Header=BB24_9 Depth=1
	v_cmp_eq_u32_e32 vcc, 0, v2
	s_orn2_b64 s[94:95], vcc, exec
; %bb.147:                              ;   in Loop: Header=BB24_9 Depth=1
	s_or_b64 exec, exec, s[34:35]
	s_mov_b64 s[92:93], 0
                                        ; implicit-def: $vgpr2_vgpr3
	s_and_saveexec_b64 s[90:91], s[94:95]
	s_cbranch_execz .LBB24_169
; %bb.148:                              ;   in Loop: Header=BB24_9 Depth=1
	v_cmp_gt_i32_e32 vcc, s24, v238
	s_and_b64 s[34:35], vcc, s[72:73]
	v_mov_b32_e32 v2, 50
	s_and_saveexec_b64 s[92:93], s[34:35]
	s_cbranch_execz .LBB24_150
; %bb.149:                              ;   in Loop: Header=BB24_9 Depth=1
	scratch_load_dword v2, off, off offset:20 ; 4-byte Folded Reload
	s_waitcnt vmcnt(0)
	ds_read_b32 v5, v2
	v_mad_u64_u32 v[2:3], s[34:35], v238, s25, v[50:51]
	v_lshl_add_u32 v2, v2, 6, v52
	v_ashrrev_i32_e32 v3, 31, v2
	s_waitcnt lgkmcnt(0)
	v_cvt_f32_f16_e32 v4, v5
	v_cvt_f32_f16_sdwa v5, v5 dst_sel:DWORD dst_unused:UNUSED_PAD src0_sel:WORD_1
	v_lshl_add_u64 v[2:3], v[2:3], 3, v[102:103]
	v_pk_add_f32 v[4:5], v[4:5], 0 op_sel_hi:[1,0]
	global_store_dwordx2 v[2:3], v[4:5], off
	v_mov_b32_e32 v2, 0
.LBB24_150:                             ;   in Loop: Header=BB24_9 Depth=1
	s_or_b64 exec, exec, s[92:93]
	v_cmp_gt_i32_e32 vcc, 50, v2
	s_mov_b64 s[96:97], -1
	s_and_saveexec_b64 s[34:35], vcc
; %bb.151:                              ;   in Loop: Header=BB24_9 Depth=1
	v_cmp_eq_u32_e32 vcc, 0, v2
	s_orn2_b64 s[96:97], vcc, exec
; %bb.152:                              ;   in Loop: Header=BB24_9 Depth=1
	s_or_b64 exec, exec, s[34:35]
	s_mov_b64 s[94:95], 0
                                        ; implicit-def: $vgpr2_vgpr3
	s_and_saveexec_b64 s[92:93], s[96:97]
	s_cbranch_execz .LBB24_168
; %bb.153:                              ;   in Loop: Header=BB24_9 Depth=1
	v_cmp_gt_i32_e32 vcc, s24, v237
	s_and_b64 s[34:35], vcc, s[72:73]
	v_mov_b32_e32 v2, 50
	s_and_saveexec_b64 s[94:95], s[34:35]
	s_cbranch_execz .LBB24_155
; %bb.154:                              ;   in Loop: Header=BB24_9 Depth=1
	v_add_u32_e32 v2, v169, v161
	ds_read_b32 v5, v2 offset:10880
	v_mad_u64_u32 v[2:3], s[34:35], v237, s25, v[50:51]
	v_lshl_add_u32 v2, v2, 6, v52
	v_ashrrev_i32_e32 v3, 31, v2
	s_waitcnt lgkmcnt(0)
	v_cvt_f32_f16_e32 v4, v5
	v_cvt_f32_f16_sdwa v5, v5 dst_sel:DWORD dst_unused:UNUSED_PAD src0_sel:WORD_1
	v_lshl_add_u64 v[2:3], v[2:3], 3, v[102:103]
	v_pk_add_f32 v[4:5], v[4:5], 0 op_sel_hi:[1,0]
	global_store_dwordx2 v[2:3], v[4:5], off
	v_mov_b32_e32 v2, 0
.LBB24_155:                             ;   in Loop: Header=BB24_9 Depth=1
	s_or_b64 exec, exec, s[94:95]
	v_cmp_gt_i32_e32 vcc, 50, v2
	s_mov_b64 s[98:99], -1
	s_and_saveexec_b64 s[34:35], vcc
; %bb.156:                              ;   in Loop: Header=BB24_9 Depth=1
	v_cmp_eq_u32_e32 vcc, 0, v2
	s_orn2_b64 s[98:99], vcc, exec
; %bb.157:                              ;   in Loop: Header=BB24_9 Depth=1
	s_or_b64 exec, exec, s[34:35]
	s_mov_b64 s[96:97], 0
                                        ; implicit-def: $vgpr2_vgpr3
	s_and_saveexec_b64 s[94:95], s[98:99]
	s_cbranch_execz .LBB24_167
; %bb.158:                              ;   in Loop: Header=BB24_9 Depth=1
	v_writelane_b32 v255, s94, 24
	v_cmp_gt_i32_e32 vcc, s24, v236
	s_and_b64 s[34:35], vcc, s[72:73]
	v_writelane_b32 v255, s95, 25
	v_mov_b32_e32 v2, 50
	s_and_saveexec_b64 s[96:97], s[34:35]
	s_cbranch_execz .LBB24_160
; %bb.159:                              ;   in Loop: Header=BB24_9 Depth=1
	v_add_u32_e32 v2, v169, v161
	ds_read_b32 v5, v2 offset:11968
	v_mad_u64_u32 v[2:3], s[34:35], v236, s25, v[50:51]
	v_lshl_add_u32 v2, v2, 6, v52
	v_ashrrev_i32_e32 v3, 31, v2
	s_waitcnt lgkmcnt(0)
	v_cvt_f32_f16_e32 v4, v5
	v_cvt_f32_f16_sdwa v5, v5 dst_sel:DWORD dst_unused:UNUSED_PAD src0_sel:WORD_1
	v_lshl_add_u64 v[2:3], v[2:3], 3, v[102:103]
	v_pk_add_f32 v[4:5], v[4:5], 0 op_sel_hi:[1,0]
	global_store_dwordx2 v[2:3], v[4:5], off
	v_mov_b32_e32 v2, 0
.LBB24_160:                             ;   in Loop: Header=BB24_9 Depth=1
	s_or_b64 exec, exec, s[96:97]
	v_cmp_gt_i32_e32 vcc, 50, v2
	s_mov_b64 s[94:95], -1
	s_and_saveexec_b64 s[34:35], vcc
; %bb.161:                              ;   in Loop: Header=BB24_9 Depth=1
	v_cmp_eq_u32_e32 vcc, 0, v2
	s_orn2_b64 s[94:95], vcc, exec
; %bb.162:                              ;   in Loop: Header=BB24_9 Depth=1
	s_or_b64 exec, exec, s[34:35]
	s_mov_b64 s[98:99], 0
                                        ; implicit-def: $vgpr2_vgpr3
	s_and_saveexec_b64 s[96:97], s[94:95]
	s_cbranch_execz .LBB24_166
; %bb.163:                              ;   in Loop: Header=BB24_9 Depth=1
	v_cmp_gt_i32_e32 vcc, s24, v83
	s_and_b64 s[34:35], vcc, s[72:73]
	s_mov_b64 s[72:73], 0
                                        ; implicit-def: $vgpr2_vgpr3
	s_and_saveexec_b64 s[94:95], s[34:35]
	s_xor_b64 s[98:99], exec, s[94:95]
	s_cbranch_execz .LBB24_165
; %bb.164:                              ;   in Loop: Header=BB24_9 Depth=1
	v_add_u32_e32 v2, v169, v161
	ds_read_b32 v3, v2 offset:13056
	s_mov_b64 s[72:73], exec
	s_waitcnt lgkmcnt(0)
	v_cvt_f32_f16_e32 v2, v3
	v_cvt_f32_f16_sdwa v3, v3 dst_sel:DWORD dst_unused:UNUSED_PAD src0_sel:WORD_1
	v_pk_add_f32 v[2:3], v[2:3], 0 op_sel_hi:[1,0]
.LBB24_165:                             ;   in Loop: Header=BB24_9 Depth=1
	s_or_b64 exec, exec, s[98:99]
	s_and_b64 s[98:99], s[72:73], exec
.LBB24_166:                             ;   in Loop: Header=BB24_9 Depth=1
	s_or_b64 exec, exec, s[96:97]
	v_readlane_b32 s94, v255, 24
	s_and_b64 s[96:97], s[98:99], exec
	v_readlane_b32 s95, v255, 25
.LBB24_167:                             ;   in Loop: Header=BB24_9 Depth=1
	s_or_b64 exec, exec, s[94:95]
	s_and_b64 s[94:95], s[96:97], exec
.LBB24_168:                             ;   in Loop: Header=BB24_9 Depth=1
	s_or_b64 exec, exec, s[92:93]
	s_and_b64 s[92:93], s[94:95], exec
.LBB24_169:                             ;   in Loop: Header=BB24_9 Depth=1
	s_or_b64 exec, exec, s[90:91]
	s_and_b64 s[90:91], s[92:93], exec
.LBB24_170:                             ;   in Loop: Header=BB24_9 Depth=1
	s_or_b64 exec, exec, s[88:89]
	s_and_b64 s[88:89], s[90:91], exec
.LBB24_171:                             ;   in Loop: Header=BB24_9 Depth=1
	s_or_b64 exec, exec, s[86:87]
	s_and_b64 s[86:87], s[88:89], exec
.LBB24_172:                             ;   in Loop: Header=BB24_9 Depth=1
	s_or_b64 exec, exec, s[84:85]
	s_and_b64 s[84:85], s[86:87], exec
.LBB24_173:                             ;   in Loop: Header=BB24_9 Depth=1
	s_or_b64 exec, exec, s[82:83]
	s_and_b64 s[82:83], s[84:85], exec
.LBB24_174:                             ;   in Loop: Header=BB24_9 Depth=1
	s_or_b64 exec, exec, s[80:81]
	s_and_b64 s[80:81], s[82:83], exec
.LBB24_175:                             ;   in Loop: Header=BB24_9 Depth=1
	s_or_b64 exec, exec, s[78:79]
	s_and_b64 s[78:79], s[80:81], exec
.LBB24_176:                             ;   in Loop: Header=BB24_9 Depth=1
	s_or_b64 exec, exec, s[76:77]
	s_and_b64 s[76:77], s[78:79], exec
.LBB24_177:                             ;   in Loop: Header=BB24_9 Depth=1
	s_or_b64 exec, exec, s[74:75]
	s_and_b64 s[74:75], s[76:77], exec
.LBB24_178:                             ;   in Loop: Header=BB24_9 Depth=1
	s_or_b64 exec, exec, s[6:7]
	s_and_b64 s[6:7], s[74:75], exec
.LBB24_179:                             ;   in Loop: Header=BB24_9 Depth=1
	s_or_b64 exec, exec, s[4:5]
	s_and_b64 s[6:7], s[6:7], exec
.LBB24_180:                             ;   in Loop: Header=BB24_9 Depth=1
	s_or_b64 exec, exec, s[70:71]
	s_and_b64 vcc, exec, s[56:57]
	s_cbranch_vccz .LBB24_350
.LBB24_181:                             ;   in Loop: Header=BB24_9 Depth=1
	v_cmp_gt_i32_e64 s[4:5], s24, v233
	v_cmp_gt_i32_e32 vcc, s3, v235
	s_and_b64 s[98:99], s[4:5], vcc
	s_xor_b64 s[4:5], s[98:99], -1
	s_and_saveexec_b64 s[34:35], s[4:5]
	s_xor_b64 s[4:5], exec, s[34:35]
; %bb.182:                              ;   in Loop: Header=BB24_9 Depth=1
	v_add_u32_e32 v2, v169, v214
	ds_write_b32 v2, v55
; %bb.183:                              ;   in Loop: Header=BB24_9 Depth=1
	s_andn2_saveexec_b64 s[4:5], s[4:5]
	s_cbranch_execz .LBB24_185
; %bb.184:                              ;   in Loop: Header=BB24_9 Depth=1
	v_mad_u64_u32 v[2:3], s[34:35], v233, s33, v[82:83]
	v_ashrrev_i32_e32 v3, 31, v2
	v_lshl_add_u64 v[2:3], v[2:3], 3, v[122:123]
	global_load_dwordx2 v[2:3], v[2:3], off
	s_waitcnt vmcnt(0)
	v_cvt_pk_f16_f32 v2, v2, v3
	v_pk_mul_f16 v2, v2, v204
	v_add_u32_e32 v3, v169, v214
	ds_write_b32 v3, v2
.LBB24_185:                             ;   in Loop: Header=BB24_9 Depth=1
	s_or_b64 exec, exec, s[4:5]
	v_add_u32_e32 v236, v215, v234
	v_cmp_gt_i32_e64 s[4:5], s24, v236
	s_and_b64 s[96:97], s[4:5], vcc
	s_xor_b64 s[4:5], s[96:97], -1
	s_and_saveexec_b64 s[34:35], s[4:5]
	s_xor_b64 s[4:5], exec, s[34:35]
; %bb.186:                              ;   in Loop: Header=BB24_9 Depth=1
	v_add_u32_e32 v2, v169, v159
	ds_write_b32 v2, v55
; %bb.187:                              ;   in Loop: Header=BB24_9 Depth=1
	s_andn2_saveexec_b64 s[4:5], s[4:5]
	s_cbranch_execz .LBB24_189
; %bb.188:                              ;   in Loop: Header=BB24_9 Depth=1
	v_mad_u64_u32 v[2:3], s[34:35], v236, s33, v[82:83]
	v_ashrrev_i32_e32 v3, 31, v2
	v_lshl_add_u64 v[2:3], v[2:3], 3, v[122:123]
	global_load_dwordx2 v[2:3], v[2:3], off
	s_waitcnt vmcnt(0)
	v_cvt_pk_f16_f32 v2, v2, v3
	v_pk_mul_f16 v2, v2, v204
	v_add_u32_e32 v3, v169, v159
	ds_write_b32 v3, v2
.LBB24_189:                             ;   in Loop: Header=BB24_9 Depth=1
	s_or_b64 exec, exec, s[4:5]
	v_add_u32_e32 v235, v216, v234
	v_cmp_gt_i32_e64 s[4:5], s24, v235
	;; [unrolled: 24-line block ×7, first 2 shown]
	s_and_b64 s[84:85], s[4:5], vcc
	s_xor_b64 s[4:5], s[84:85], -1
	s_and_saveexec_b64 s[34:35], s[4:5]
	s_xor_b64 s[4:5], exec, s[34:35]
; %bb.210:                              ;   in Loop: Header=BB24_9 Depth=1
	v_add_u32_e32 v2, v169, v164
	ds_write_b32 v2, v55 offset:1088
; %bb.211:                              ;   in Loop: Header=BB24_9 Depth=1
	s_andn2_saveexec_b64 s[4:5], s[4:5]
	s_cbranch_execz .LBB24_213
; %bb.212:                              ;   in Loop: Header=BB24_9 Depth=1
	v_mad_u64_u32 v[2:3], s[34:35], v129, s33, v[82:83]
	v_ashrrev_i32_e32 v3, 31, v2
	v_lshl_add_u64 v[2:3], v[2:3], 3, v[122:123]
	global_load_dwordx2 v[2:3], v[2:3], off
	s_waitcnt vmcnt(0)
	v_cvt_pk_f16_f32 v2, v2, v3
	v_pk_mul_f16 v2, v2, v204
	v_add_u32_e32 v3, v169, v164
	ds_write_b32 v3, v2 offset:1088
.LBB24_213:                             ;   in Loop: Header=BB24_9 Depth=1
	s_or_b64 exec, exec, s[4:5]
	v_add_u32_e32 v128, v222, v234
	v_cmp_gt_i32_e64 s[4:5], s24, v128
	s_and_b64 s[82:83], s[4:5], vcc
	s_xor_b64 s[4:5], s[82:83], -1
	s_and_saveexec_b64 s[34:35], s[4:5]
	s_xor_b64 s[4:5], exec, s[34:35]
; %bb.214:                              ;   in Loop: Header=BB24_9 Depth=1
	v_add_u32_e32 v2, v169, v164
	ds_write_b32 v2, v55 offset:2176
; %bb.215:                              ;   in Loop: Header=BB24_9 Depth=1
	s_andn2_saveexec_b64 s[4:5], s[4:5]
	s_cbranch_execz .LBB24_217
; %bb.216:                              ;   in Loop: Header=BB24_9 Depth=1
	v_mad_u64_u32 v[2:3], s[34:35], v128, s33, v[82:83]
	v_ashrrev_i32_e32 v3, 31, v2
	v_lshl_add_u64 v[2:3], v[2:3], 3, v[122:123]
	global_load_dwordx2 v[2:3], v[2:3], off
	s_waitcnt vmcnt(0)
	v_cvt_pk_f16_f32 v2, v2, v3
	v_pk_mul_f16 v2, v2, v204
	v_add_u32_e32 v3, v169, v164
	ds_write_b32 v3, v2 offset:2176
.LBB24_217:                             ;   in Loop: Header=BB24_9 Depth=1
	s_or_b64 exec, exec, s[4:5]
	v_add_u32_e32 v127, v223, v234
	v_cmp_gt_i32_e64 s[4:5], s24, v127
	;; [unrolled: 24-line block ×8, first 2 shown]
	s_and_b64 s[4:5], s[4:5], vcc
	s_xor_b64 s[34:35], s[4:5], -1
	s_and_saveexec_b64 s[56:57], s[34:35]
	s_xor_b64 s[34:35], exec, s[56:57]
; %bb.242:                              ;   in Loop: Header=BB24_9 Depth=1
	v_add_u32_e32 v2, v169, v164
	ds_write_b32 v2, v55 offset:9792
                                        ; implicit-def: $vgpr122_vgpr123
; %bb.243:                              ;   in Loop: Header=BB24_9 Depth=1
	s_andn2_saveexec_b64 s[56:57], s[34:35]
	s_cbranch_execz .LBB24_245
; %bb.244:                              ;   in Loop: Header=BB24_9 Depth=1
	v_mad_u64_u32 v[2:3], s[34:35], v83, s33, v[82:83]
	v_ashrrev_i32_e32 v3, 31, v2
	v_lshl_add_u64 v[2:3], v[2:3], 3, v[122:123]
	global_load_dwordx2 v[2:3], v[2:3], off
	s_waitcnt vmcnt(0)
	v_cvt_pk_f16_f32 v2, v2, v3
	v_pk_mul_f16 v2, v2, v204
	v_add_u32_e32 v3, v169, v164
	ds_write_b32 v3, v2 offset:9792
.LBB24_245:                             ;   in Loop: Header=BB24_9 Depth=1
	s_or_b64 exec, exec, s[56:57]
	s_waitcnt lgkmcnt(0)
	s_barrier
	ds_read2_b64 v[14:17], v53 offset1:4
	ds_read2_b64 v[10:13], v53 offset0:8 offset1:12
	ds_read2_b64 v[6:9], v53 offset0:16 offset1:20
	;; [unrolled: 1-line block ×3, first 2 shown]
	s_cmp_gt_i32 s62, 1
	s_mov_b64 s[56:57], -1
	s_waitcnt lgkmcnt(0)
	s_barrier
                                        ; implicit-def: $vgpr18_vgpr19
                                        ; implicit-def: $vgpr20_vgpr21
                                        ; implicit-def: $vgpr237
                                        ; implicit-def: $vgpr238
                                        ; implicit-def: $vgpr239
                                        ; implicit-def: $vgpr240
	s_cbranch_scc1 .LBB24_247
; %bb.246:                              ;   in Loop: Header=BB24_9 Depth=1
	v_add_u32_e32 v18, v234, v57
	v_add_u32_e32 v20, v234, v206
	v_mul_hi_u32 v19, s38, v18
	v_mul_hi_u32 v21, s38, v20
	v_add_u32_e32 v19, v18, v19
	v_add_u32_e32 v21, v20, v21
	v_lshrrev_b32_e32 v19, s39, v19
	v_lshrrev_b32_e32 v21, s39, v21
	v_mul_lo_u32 v19, v19, s24
	v_mul_lo_u32 v21, v21, s24
	v_mbcnt_hi_u32_b32 v237, -1, v230
	v_sub_u32_e32 v18, v18, v19
	v_sub_u32_e32 v20, v20, v21
	v_and_b32_e32 v22, 64, v237
	v_mad_i64_i32 v[18:19], s[34:35], v18, s40, 0
	v_mad_i64_i32 v[20:21], s[34:35], v20, s40, 0
	v_add_u32_e32 v238, 64, v22
	v_xor_b32_e32 v239, 32, v237
	v_xor_b32_e32 v240, 16, v237
	s_mov_b64 s[56:57], 0
.LBB24_247:                             ;   in Loop: Header=BB24_9 Depth=1
	s_andn2_b64 vcc, exec, s[56:57]
	s_cbranch_vccnz .LBB24_251
; %bb.248:                              ;   in Loop: Header=BB24_9 Depth=1
	v_add_u32_e32 v18, v234, v57
	v_mul_hi_u32 v19, s38, v18
	v_add_u32_e32 v19, v18, v19
	v_lshrrev_b32_e32 v19, s39, v19
	v_mul_lo_u32 v19, v19, s24
	v_sub_u32_e32 v30, v18, v19
	v_add_u32_e32 v18, v234, v206
	v_mul_hi_u32 v19, s38, v18
	v_add_u32_e32 v19, v18, v19
	v_lshrrev_b32_e32 v19, s39, v19
	v_mul_lo_u32 v19, v19, s24
	v_mbcnt_hi_u32_b32 v237, -1, v230
	v_sub_u32_e32 v32, v18, v19
	v_and_b32_e32 v18, 64, v237
	v_add_u32_e32 v238, 64, v18
	v_xor_b32_e32 v239, 32, v237
	v_cmp_lt_i32_e32 vcc, v239, v238
	v_xor_b32_e32 v240, 16, v237
	v_readlane_b32 s56, v255, 22
	v_cndmask_b32_e32 v18, v237, v239, vcc
	v_cmp_lt_i32_e32 vcc, v240, v238
	s_add_i32 s34, s62, -1
	v_lshlrev_b32_e32 v54, 2, v18
	v_cndmask_b32_e32 v18, v237, v240, vcc
	v_readlane_b32 s57, v255, 23
	s_mov_b32 s62, s56
	v_lshlrev_b32_e32 v195, 2, v18
	v_mad_i64_i32 v[18:19], s[56:57], s62, v30, v[116:117]
	v_lshl_add_u64 v[34:35], v[84:85], 0, v[18:19]
	v_mad_i64_i32 v[18:19], s[56:57], s62, v32, v[116:117]
	v_lshl_add_u64 v[36:37], v[84:85], 0, v[18:19]
	v_lshl_add_u64 v[18:19], v[118:119], 0, v[120:121]
	;; [unrolled: 1-line block ×11, first 2 shown]
	v_mov_b32_e32 v116, 0
	v_mov_b32_e32 v234, 0xfeffffff
	;; [unrolled: 1-line block ×3, first 2 shown]
	s_mov_b32 s35, s34
	v_mov_b32_e32 v117, 0
	v_mov_b32_e32 v119, 0
	;; [unrolled: 1-line block ×15, first 2 shown]
.LBB24_249:                             ;   Parent Loop BB24_9 Depth=1
                                        ; =>  This Inner Loop Header: Depth=2
	global_load_dword v18, v[34:35], off
	v_add_u32_e32 v19, v207, v205
	v_lshl_add_u64 v[22:23], v[48:49], 0, v[76:77]
	v_lshl_add_u64 v[24:25], v[112:113], 0, v[76:77]
	;; [unrolled: 1-line block ×3, first 2 shown]
	v_add_u32_e32 v182, 0x1000, v199
	v_mov_b32_e32 v192, v234
	v_mov_b32_e32 v190, v197
	s_add_i32 s35, s35, -1
	v_lshl_add_u64 v[34:35], v[34:35], 0, s[68:69]
	v_lshl_add_u64 v[48:49], v[48:49], 0, s[66:67]
	;; [unrolled: 1-line block ×4, first 2 shown]
	s_cmp_lg_u32 s35, 0
	s_waitcnt vmcnt(0)
	ds_write_b32 v19, v18 offset:17408
	global_load_dword v18, v[36:37], off
	v_lshl_add_u64 v[36:37], v[36:37], 0, s[68:69]
	s_waitcnt vmcnt(0)
	ds_write_b32 v19, v18 offset:18560
	v_lshl_add_u64 v[18:19], v[46:47], 0, v[76:77]
	global_load_dwordx4 v[18:21], v[18:19], off
	v_lshl_add_u64 v[46:47], v[46:47], 0, s[66:67]
	s_waitcnt vmcnt(0)
	ds_write_b128 v79, v[18:21]
	global_load_dwordx4 v[18:21], v[22:23], off
	s_waitcnt vmcnt(0)
	ds_write_b128 v208, v[18:21]
	global_load_dwordx4 v[18:21], v[24:25], off
	;; [unrolled: 3-line block ×3, first 2 shown]
	s_waitcnt vmcnt(0)
	ds_write_b128 v210, v[18:21]
	s_waitcnt lgkmcnt(0)
	s_barrier
	ds_read2_b64 v[18:21], v199 offset1:4
	s_waitcnt lgkmcnt(0)
	v_mfma_f32_16x16x16_f16 v[22:25], v[18:19], v[14:15], 0
	v_mfma_f32_16x16x16_f16 v[18:21], v[20:21], v[16:17], v[22:25]
	s_nop 6
	ds_read2_b64 v[22:25], v199 offset0:8 offset1:12
	s_waitcnt lgkmcnt(0)
	v_mfma_f32_16x16x16_f16 v[18:21], v[22:23], v[10:11], v[18:21]
	v_mfma_f32_16x16x16_f16 v[18:21], v[24:25], v[12:13], v[18:21]
	ds_read2_b64 v[22:25], v199 offset0:16 offset1:20
	s_waitcnt lgkmcnt(0)
	v_mfma_f32_16x16x16_f16 v[18:21], v[22:23], v[6:7], v[18:21]
	v_mfma_f32_16x16x16_f16 v[18:21], v[24:25], v[8:9], v[18:21]
	;; [unrolled: 4-line block ×3, first 2 shown]
	s_nop 6
	ds_read2_b64 v[18:21], v182 offset0:32 offset1:36
	s_waitcnt lgkmcnt(0)
	v_mfma_f32_16x16x16_f16 v[22:25], v[18:19], v[14:15], 0
	v_mfma_f32_16x16x16_f16 v[18:21], v[20:21], v[16:17], v[22:25]
	s_nop 6
	ds_read2_b64 v[22:25], v182 offset0:40 offset1:44
	s_waitcnt lgkmcnt(0)
	v_mfma_f32_16x16x16_f16 v[18:21], v[22:23], v[10:11], v[18:21]
	v_mfma_f32_16x16x16_f16 v[18:21], v[24:25], v[12:13], v[18:21]
	ds_read2_b64 v[22:25], v182 offset0:48 offset1:52
	s_waitcnt lgkmcnt(0)
	v_mfma_f32_16x16x16_f16 v[18:21], v[22:23], v[6:7], v[18:21]
	v_mfma_f32_16x16x16_f16 v[18:21], v[24:25], v[8:9], v[18:21]
	ds_read2_b64 v[22:25], v182 offset0:56 offset1:60
	v_add_u32_e32 v182, 0x2000, v199
	s_waitcnt lgkmcnt(0)
	v_mfma_f32_16x16x16_f16 v[18:21], v[22:23], v[2:3], v[18:21]
	v_mfma_f32_16x16x16_f16 v[18:21], v[24:25], v[4:5], v[18:21]
	ds_read2_b64 v[22:25], v182 offset0:64 offset1:68
	s_waitcnt lgkmcnt(0)
	v_mfma_f32_16x16x16_f16 v[248:251], v[22:23], v[14:15], 0
	v_mfma_f32_16x16x16_f16 v[22:25], v[24:25], v[16:17], v[248:251]
	s_nop 6
	ds_read2_b64 v[248:251], v182 offset0:72 offset1:76
	s_waitcnt lgkmcnt(0)
	v_mfma_f32_16x16x16_f16 v[22:25], v[248:249], v[10:11], v[22:25]
	v_mfma_f32_16x16x16_f16 v[22:25], v[250:251], v[12:13], v[22:25]
	ds_read2_b64 v[248:251], v182 offset0:80 offset1:84
	s_waitcnt lgkmcnt(0)
	v_mfma_f32_16x16x16_f16 v[22:25], v[248:249], v[6:7], v[22:25]
	v_mfma_f32_16x16x16_f16 v[22:25], v[250:251], v[8:9], v[22:25]
	ds_read2_b64 v[248:251], v182 offset0:88 offset1:92
	v_add_u32_e32 v182, 0x3000, v199
	s_waitcnt lgkmcnt(0)
	v_mfma_f32_16x16x16_f16 v[22:25], v[248:249], v[2:3], v[22:25]
	v_mfma_f32_16x16x16_f16 v[22:25], v[250:251], v[4:5], v[22:25]
	ds_read2_b64 v[248:251], v182 offset0:96 offset1:100
	s_waitcnt lgkmcnt(0)
	v_mfma_f32_16x16x16_f16 v[186:189], v[248:249], v[14:15], 0
	v_mfma_f32_16x16x16_f16 v[186:189], v[250:251], v[16:17], v[186:189]
	ds_read2_b64 v[248:251], v182 offset0:104 offset1:108
	s_waitcnt lgkmcnt(0)
	v_mfma_f32_16x16x16_f16 v[186:189], v[248:249], v[10:11], v[186:189]
	v_mfma_f32_16x16x16_f16 v[186:189], v[250:251], v[12:13], v[186:189]
	ds_read2_b64 v[248:251], v182 offset0:112 offset1:116
	s_waitcnt lgkmcnt(0)
	v_mfma_f32_16x16x16_f16 v[186:189], v[248:249], v[6:7], v[186:189]
	v_mfma_f32_16x16x16_f16 v[186:189], v[250:251], v[8:9], v[186:189]
	ds_read2_b64 v[248:251], v182 offset0:120 offset1:124
	s_waitcnt lgkmcnt(0)
	s_barrier
	ds_read_b32 v182, v154 offset:17408
	v_mfma_f32_16x16x16_f16 v[186:189], v[248:249], v[2:3], v[186:189]
	s_waitcnt lgkmcnt(0)
	v_cvt_f32_f16_e32 v183, v182
	v_cvt_f32_f16_sdwa v182, v182 dst_sel:DWORD dst_unused:UNUSED_PAD src0_sel:WORD_1
	v_add_f32_e32 v183, v26, v183
	ds_read_b32 v26, v153 offset:17408
	v_add_f32_e32 v182, v27, v182
	v_mfma_f32_16x16x16_f16 v[186:189], v[250:251], v[4:5], v[186:189]
	s_waitcnt lgkmcnt(0)
	v_cvt_f32_f16_e32 v27, v26
	v_cvt_f32_f16_sdwa v26, v26 dst_sel:DWORD dst_unused:UNUSED_PAD src0_sel:WORD_1
	v_add_f32_e32 v28, v28, v27
	v_add_f32_e32 v29, v29, v26
	v_add_u32_e32 v26, 0x4400, v211
	ds_read2_b32 v[26:27], v26 offset1:1
	s_waitcnt lgkmcnt(0)
	v_cvt_f32_f16_e32 v184, v26
	v_cvt_f32_f16_sdwa v26, v26 dst_sel:DWORD dst_unused:UNUSED_PAD src0_sel:WORD_1
	v_add_f32_e32 v184, v18, v184
	v_cvt_f32_f16_e32 v18, v27
	v_add_f32_e32 v26, v19, v26
	v_cvt_f32_f16_sdwa v19, v27 dst_sel:DWORD dst_unused:UNUSED_PAD src0_sel:WORD_1
	v_add_f32_e32 v27, v20, v18
	v_add_u32_e32 v18, 0x4400, v212
	v_add_f32_e32 v185, v21, v19
	ds_read2_b32 v[18:19], v18 offset1:1
	s_waitcnt lgkmcnt(0)
	v_cvt_f32_f16_e32 v20, v18
	v_cvt_f32_f16_sdwa v18, v18 dst_sel:DWORD dst_unused:UNUSED_PAD src0_sel:WORD_1
	v_add_f32_e32 v191, v22, v20
	v_add_f32_e32 v193, v23, v18
	v_cvt_f32_f16_e32 v18, v19
	v_cvt_f32_f16_sdwa v19, v19 dst_sel:DWORD dst_unused:UNUSED_PAD src0_sel:WORD_1
	v_add_f32_e32 v194, v24, v18
	v_add_u32_e32 v18, 0x4400, v213
	v_add_f32_e32 v196, v25, v19
	ds_read2_b32 v[18:19], v18 offset1:1
	s_waitcnt lgkmcnt(0)
	v_cvt_f32_f16_e32 v20, v18
	v_cvt_f32_f16_sdwa v18, v18 dst_sel:DWORD dst_unused:UNUSED_PAD src0_sel:WORD_1
	v_add_f32_e32 v186, v186, v20
	v_add_f32_e32 v187, v187, v18
	v_cvt_f32_f16_e32 v18, v19
	v_cvt_f32_f16_sdwa v19, v19 dst_sel:DWORD dst_unused:UNUSED_PAD src0_sel:WORD_1
	v_add_f32_e32 v20, 0x40051340, v29
	v_add_f32_e32 v188, v188, v18
	;; [unrolled: 1-line block ×5, first 2 shown]
	v_max3_f32 v18, v192, v18, v19
	v_add_f32_e32 v19, 0x40051340, v28
	v_max3_f32 v18, v18, v19, v20
	v_add_f32_e32 v19, 0x40051340, v184
	v_add_f32_e32 v20, 0x40051340, v26
	v_max3_f32 v18, v18, v19, v20
	v_add_f32_e32 v19, 0x40051340, v27
	;; [unrolled: 3-line block ×6, first 2 shown]
	v_add_f32_e32 v20, 0x40051340, v189
	v_max3_f32 v18, v18, v19, v20
	ds_bpermute_b32 v19, v54, v18
	s_waitcnt lgkmcnt(0)
	v_max_f32_e32 v19, v19, v19
	v_max_f32_e32 v18, v18, v19
	ds_bpermute_b32 v19, v195, v18
	s_waitcnt lgkmcnt(0)
	v_max_f32_e32 v19, v19, v19
	v_max_f32_e32 v234, v18, v19
	v_sub_f32_e32 v18, v183, v234
	v_mul_f32_e32 v19, 0x3fb8aa3b, v18
	v_fma_f32 v20, v18, s41, -v19
	v_rndne_f32_e32 v21, v19
	v_fmac_f32_e32 v20, 0x32a5705f, v18
	v_sub_f32_e32 v19, v19, v21
	v_add_f32_e32 v19, v19, v20
	v_exp_f32_e32 v19, v19
	v_cvt_i32_f32_e32 v20, v21
	v_cmp_ngt_f32_e32 vcc, s30, v18
	v_ldexp_f32 v19, v19, v20
	s_nop 0
	v_cndmask_b32_e32 v19, 0, v19, vcc
	v_cmp_nlt_f32_e32 vcc, s47, v18
	s_nop 1
	v_cndmask_b32_e32 v18, v232, v19, vcc
	v_sub_f32_e32 v19, v182, v234
	v_mul_f32_e32 v20, 0x3fb8aa3b, v19
	v_fma_f32 v21, v19, s41, -v20
	v_rndne_f32_e32 v22, v20
	v_fmac_f32_e32 v21, 0x32a5705f, v19
	v_sub_f32_e32 v20, v20, v22
	v_add_f32_e32 v20, v20, v21
	v_exp_f32_e32 v20, v20
	v_cvt_i32_f32_e32 v21, v22
	v_cmp_ngt_f32_e32 vcc, s30, v19
	v_ldexp_f32 v20, v20, v21
	s_nop 0
	v_cndmask_b32_e32 v20, 0, v20, vcc
	v_cmp_nlt_f32_e32 vcc, s47, v19
	s_nop 1
	v_cndmask_b32_e32 v19, v232, v20, vcc
	v_sub_f32_e32 v20, v28, v234
	v_mul_f32_e32 v22, 0x3fb8aa3b, v20
	v_fma_f32 v23, v20, s41, -v22
	v_rndne_f32_e32 v24, v22
	v_fmac_f32_e32 v23, 0x32a5705f, v20
	v_sub_f32_e32 v22, v22, v24
	v_add_f32_e32 v22, v22, v23
	v_exp_f32_e32 v22, v22
	v_cvt_i32_f32_e32 v23, v24
	v_cmp_ngt_f32_e32 vcc, s30, v20
	v_add_f32_e32 v21, v18, v19
	v_ldexp_f32 v22, v22, v23
	v_cndmask_b32_e32 v22, 0, v22, vcc
	v_cmp_nlt_f32_e32 vcc, s47, v20
	s_nop 1
	v_cndmask_b32_e32 v20, v232, v22, vcc
	v_sub_f32_e32 v22, v29, v234
	v_mul_f32_e32 v23, 0x3fb8aa3b, v22
	v_fma_f32 v24, v22, s41, -v23
	v_rndne_f32_e32 v25, v23
	v_fmac_f32_e32 v24, 0x32a5705f, v22
	v_sub_f32_e32 v23, v23, v25
	v_add_f32_e32 v23, v23, v24
	v_exp_f32_e32 v23, v23
	v_cvt_i32_f32_e32 v24, v25
	v_cmp_ngt_f32_e32 vcc, s30, v22
	v_add_f32_e32 v21, v20, v21
	v_ldexp_f32 v23, v23, v24
	v_cndmask_b32_e32 v23, 0, v23, vcc
	v_cmp_nlt_f32_e32 vcc, s47, v22
	s_nop 1
	v_cndmask_b32_e32 v22, v232, v23, vcc
	v_add_f32_e32 v23, v22, v21
	v_sub_f32_e32 v21, v184, v234
	v_mul_f32_e32 v24, 0x3fb8aa3b, v21
	v_fma_f32 v25, v21, s41, -v24
	v_rndne_f32_e32 v28, v24
	v_fmac_f32_e32 v25, 0x32a5705f, v21
	v_sub_f32_e32 v24, v24, v28
	v_add_f32_e32 v24, v24, v25
	v_exp_f32_e32 v24, v24
	v_cvt_i32_f32_e32 v25, v28
	v_cmp_ngt_f32_e32 vcc, s30, v21
	v_ldexp_f32 v24, v24, v25
	s_nop 0
	v_cndmask_b32_e32 v24, 0, v24, vcc
	v_cmp_nlt_f32_e32 vcc, s47, v21
	s_nop 1
	v_cndmask_b32_e32 v21, v232, v24, vcc
	v_add_f32_e32 v24, v21, v23
	v_sub_f32_e32 v23, v26, v234
	v_mul_f32_e32 v25, 0x3fb8aa3b, v23
	v_fma_f32 v26, v23, s41, -v25
	v_rndne_f32_e32 v28, v25
	v_fmac_f32_e32 v26, 0x32a5705f, v23
	v_sub_f32_e32 v25, v25, v28
	v_add_f32_e32 v25, v25, v26
	v_exp_f32_e32 v25, v25
	v_cvt_i32_f32_e32 v26, v28
	v_cmp_ngt_f32_e32 vcc, s30, v23
	v_ldexp_f32 v25, v25, v26
	s_nop 0
	;; [unrolled: 17-line block ×3, first 2 shown]
	v_cndmask_b32_e32 v26, 0, v26, vcc
	v_cmp_nlt_f32_e32 vcc, s47, v24
	s_nop 1
	v_cndmask_b32_e32 v24, v232, v26, vcc
	v_sub_f32_e32 v26, v185, v234
	v_mul_f32_e32 v27, 0x3fb8aa3b, v26
	v_fma_f32 v28, v26, s41, -v27
	v_rndne_f32_e32 v29, v27
	v_fmac_f32_e32 v28, 0x32a5705f, v26
	v_sub_f32_e32 v27, v27, v29
	v_add_f32_e32 v27, v27, v28
	v_exp_f32_e32 v27, v27
	v_cvt_i32_f32_e32 v28, v29
	v_cmp_ngt_f32_e32 vcc, s30, v26
	v_add_f32_e32 v25, v24, v25
	v_ldexp_f32 v27, v27, v28
	v_cndmask_b32_e32 v27, 0, v27, vcc
	v_cmp_nlt_f32_e32 vcc, s47, v26
	s_nop 1
	v_cndmask_b32_e32 v26, v232, v27, vcc
	v_add_f32_e32 v27, v26, v25
	v_sub_f32_e32 v25, v191, v234
	v_mul_f32_e32 v28, 0x3fb8aa3b, v25
	v_fma_f32 v29, v25, s41, -v28
	v_rndne_f32_e32 v182, v28
	v_fmac_f32_e32 v29, 0x32a5705f, v25
	v_sub_f32_e32 v28, v28, v182
	v_add_f32_e32 v28, v28, v29
	v_exp_f32_e32 v28, v28
	v_cvt_i32_f32_e32 v29, v182
	v_cmp_ngt_f32_e32 vcc, s30, v25
	v_ldexp_f32 v28, v28, v29
	s_nop 0
	v_cndmask_b32_e32 v28, 0, v28, vcc
	v_cmp_nlt_f32_e32 vcc, s47, v25
	s_nop 1
	v_cndmask_b32_e32 v25, v232, v28, vcc
	v_add_f32_e32 v28, v25, v27
	v_sub_f32_e32 v27, v193, v234
	v_mul_f32_e32 v29, 0x3fb8aa3b, v27
	v_fma_f32 v182, v27, s41, -v29
	v_rndne_f32_e32 v183, v29
	v_fmac_f32_e32 v182, 0x32a5705f, v27
	v_sub_f32_e32 v29, v29, v183
	v_add_f32_e32 v29, v29, v182
	v_exp_f32_e32 v29, v29
	v_cvt_i32_f32_e32 v182, v183
	v_cmp_ngt_f32_e32 vcc, s30, v27
	v_ldexp_f32 v29, v29, v182
	s_nop 0
	;; [unrolled: 17-line block ×3, first 2 shown]
	v_cndmask_b32_e32 v182, 0, v182, vcc
	v_cmp_nlt_f32_e32 vcc, s47, v28
	s_nop 1
	v_cndmask_b32_e32 v28, v232, v182, vcc
	v_sub_f32_e32 v182, v196, v234
	v_mul_f32_e32 v183, 0x3fb8aa3b, v182
	v_fma_f32 v184, v182, s41, -v183
	v_rndne_f32_e32 v185, v183
	v_fmac_f32_e32 v184, 0x32a5705f, v182
	v_sub_f32_e32 v183, v183, v185
	v_add_f32_e32 v183, v183, v184
	v_exp_f32_e32 v183, v183
	v_cvt_i32_f32_e32 v184, v185
	v_cmp_ngt_f32_e32 vcc, s30, v182
	v_add_f32_e32 v29, v28, v29
	v_ldexp_f32 v183, v183, v184
	v_cndmask_b32_e32 v183, 0, v183, vcc
	v_cmp_nlt_f32_e32 vcc, s47, v182
	s_nop 1
	v_cndmask_b32_e32 v248, v232, v183, vcc
	v_add_f32_e32 v182, v248, v29
	v_sub_f32_e32 v29, v186, v234
	v_mul_f32_e32 v183, 0x3fb8aa3b, v29
	v_fma_f32 v184, v29, s41, -v183
	v_rndne_f32_e32 v185, v183
	v_fmac_f32_e32 v184, 0x32a5705f, v29
	v_sub_f32_e32 v183, v183, v185
	v_add_f32_e32 v183, v183, v184
	v_exp_f32_e32 v183, v183
	v_cvt_i32_f32_e32 v184, v185
	v_cmp_ngt_f32_e32 vcc, s30, v29
	v_ldexp_f32 v183, v183, v184
	s_nop 0
	v_cndmask_b32_e32 v183, 0, v183, vcc
	v_cmp_nlt_f32_e32 vcc, s47, v29
	s_nop 1
	v_cndmask_b32_e32 v29, v232, v183, vcc
	v_sub_f32_e32 v183, v187, v234
	v_mul_f32_e32 v184, 0x3fb8aa3b, v183
	v_fma_f32 v185, v183, s41, -v184
	v_rndne_f32_e32 v186, v184
	v_fmac_f32_e32 v185, 0x32a5705f, v183
	v_sub_f32_e32 v184, v184, v186
	v_add_f32_e32 v184, v184, v185
	v_exp_f32_e32 v184, v184
	v_cvt_i32_f32_e32 v185, v186
	v_cmp_ngt_f32_e32 vcc, s30, v183
	v_add_f32_e32 v182, v29, v182
	v_ldexp_f32 v184, v184, v185
	v_cndmask_b32_e32 v184, 0, v184, vcc
	v_cmp_nlt_f32_e32 vcc, s47, v183
	v_sub_f32_e32 v183, v188, v234
	s_nop 0
	v_cndmask_b32_e32 v251, v232, v184, vcc
	v_mul_f32_e32 v184, 0x3fb8aa3b, v183
	v_fma_f32 v185, v183, s41, -v184
	v_rndne_f32_e32 v186, v184
	v_fmac_f32_e32 v185, 0x32a5705f, v183
	v_sub_f32_e32 v184, v184, v186
	v_add_f32_e32 v184, v184, v185
	v_exp_f32_e32 v184, v184
	v_cvt_i32_f32_e32 v185, v186
	v_cmp_ngt_f32_e32 vcc, s30, v183
	v_add_f32_e32 v182, v251, v182
	v_ldexp_f32 v184, v184, v185
	v_cndmask_b32_e32 v184, 0, v184, vcc
	v_cmp_nlt_f32_e32 vcc, s47, v183
	v_sub_f32_e32 v183, v189, v234
	s_nop 0
	v_cndmask_b32_e32 v252, v232, v184, vcc
	v_mul_f32_e32 v184, 0x3fb8aa3b, v183
	v_fma_f32 v185, v183, s41, -v184
	v_rndne_f32_e32 v186, v184
	v_fmac_f32_e32 v185, 0x32a5705f, v183
	v_sub_f32_e32 v184, v184, v186
	v_add_f32_e32 v184, v184, v185
	v_exp_f32_e32 v184, v184
	v_cvt_i32_f32_e32 v185, v186
	v_cmp_ngt_f32_e32 vcc, s30, v183
	v_add_f32_e32 v182, v252, v182
	v_ldexp_f32 v184, v184, v185
	v_cndmask_b32_e32 v184, 0, v184, vcc
	v_cmp_nlt_f32_e32 vcc, s47, v183
	s_nop 1
	v_cndmask_b32_e32 v253, v232, v184, vcc
	v_add_f32_e32 v197, v253, v182
	v_sub_f32_e32 v182, v192, v234
	v_mul_f32_e32 v183, 0x3fb8aa3b, v182
	v_fma_f32 v184, v182, s41, -v183
	v_rndne_f32_e32 v185, v183
	v_fmac_f32_e32 v184, 0x32a5705f, v182
	v_sub_f32_e32 v183, v183, v185
	v_add_f32_e32 v183, v183, v184
	v_exp_f32_e32 v183, v183
	v_cvt_i32_f32_e32 v184, v185
	v_cmp_ngt_f32_e32 vcc, s30, v182
	v_ldexp_f32 v183, v183, v184
	s_nop 0
	v_cndmask_b32_e32 v183, 0, v183, vcc
	v_cmp_nlt_f32_e32 vcc, s47, v182
	s_nop 1
	v_cndmask_b32_e32 v183, v232, v183, vcc
	v_cmp_le_f32_e32 vcc, s0, v182
	s_nop 1
	v_cndmask_b32_e32 v182, 0, v183, vcc
	v_fmac_f32_e32 v197, v190, v182
	v_cvt_f16_f32_e32 v182, v182
	v_mul_u32_u24_e32 v182, 0x10001, v182
	v_pk_mul_f16 v192, v247, v182
	v_pk_mul_f16 v190, v246, v182
	;; [unrolled: 1-line block ×6, first 2 shown]
	v_lshl_add_u64 v[116:117], v[38:39], 0, v[76:77]
	v_pk_mul_f16 v196, v119, v182
	v_pk_mul_f16 v193, v118, v182
	global_load_dwordx4 v[116:119], v[116:117], off
	v_pk_mul_f16 v250, v243, v182
	v_pk_mul_f16 v249, v242, v182
	v_pk_mul_f16 v243, v121, v182
	v_pk_mul_f16 v242, v120, v182
	v_lshl_add_u64 v[120:121], v[40:41], 0, v[76:77]
	v_pk_mul_f16 v194, v245, v182
	v_pk_mul_f16 v254, v244, v182
	;; [unrolled: 1-line block ×4, first 2 shown]
	v_lshl_add_u64 v[122:123], v[42:43], 0, v[76:77]
	v_lshl_add_u64 v[182:183], v[44:45], 0, v[76:77]
	v_cvt_f32_f16_e32 v186, v247
	v_cvt_f32_f16_sdwa v187, v247 dst_sel:DWORD dst_unused:UNUSED_PAD src0_sel:WORD_1
	v_cvt_f32_f16_e32 v188, v246
	v_cvt_f32_f16_sdwa v189, v246 dst_sel:DWORD dst_unused:UNUSED_PAD src0_sel:WORD_1
	;; [unrolled: 2-line block ×3, first 2 shown]
	v_lshl_add_u64 v[38:39], v[38:39], 0, s[64:65]
	v_lshl_add_u64 v[40:41], v[40:41], 0, s[64:65]
	v_lshl_add_u64 v[42:43], v[42:43], 0, s[64:65]
	v_lshl_add_u64 v[44:45], v[44:45], 0, s[64:65]
	s_waitcnt vmcnt(0)
	ds_write_b128 v79, v[116:119]
	global_load_dwordx4 v[116:119], v[120:121], off
	v_cvt_f32_f16_e32 v120, v190
	v_cvt_f32_f16_sdwa v121, v190 dst_sel:DWORD dst_unused:UNUSED_PAD src0_sel:WORD_1
	s_waitcnt vmcnt(0)
	ds_write_b128 v208, v[116:119]
	global_load_dwordx4 v[116:119], v[122:123], off
	s_waitcnt vmcnt(0)
	ds_write_b128 v209, v[116:119]
	global_load_dwordx4 v[116:119], v[182:183], off
	s_waitcnt vmcnt(0)
	ds_write_b128 v210, v[116:119]
	s_waitcnt lgkmcnt(0)
	s_barrier
	ds_read_u16 v116, v156 offset:272
	ds_read_u16 v117, v156 offset:544
	ds_read_u16 v122, v158
	ds_read_u16 v182, v158 offset:32
	v_cvt_f32_f16_e32 v118, v192
	v_cvt_f32_f16_sdwa v119, v192 dst_sel:DWORD dst_unused:UNUSED_PAD src0_sel:WORD_1
	s_waitcnt lgkmcnt(1)
	v_perm_b32 v123, v122, v117, s1
	ds_read_u16 v117, v156
	ds_read_u16 v183, v156 offset:32
	s_waitcnt lgkmcnt(1)
	v_perm_b32 v122, v116, v117, s1
	v_cvt_pk_f16_f32 v117, v20, v22
	v_cvt_pk_f16_f32 v116, v18, v19
	s_nop 1
	v_mfma_f32_16x16x16_f16 v[118:121], v[122:123], v[116:117], v[118:121]
	s_nop 7
	v_cvt_f16_f32_e32 v18, v118
	v_cvt_f16_f32_e32 v19, v119
	ds_read_u16 v118, v156 offset:4352
	ds_read_u16 v119, v156 offset:4624
	;; [unrolled: 1-line block ×4, first 2 shown]
	v_cvt_f16_f32_e32 v20, v120
	v_cvt_f16_f32_e32 v22, v121
	v_cvt_f32_f16_e32 v120, v18
	v_cvt_f32_f16_e32 v121, v19
	s_waitcnt lgkmcnt(0)
	v_perm_b32 v19, v185, v184, s1
	v_perm_b32 v18, v119, v118, s1
	v_cvt_f32_f16_e32 v122, v20
	v_cvt_f32_f16_e32 v123, v22
	v_cvt_pk_f16_f32 v119, v24, v26
	v_cvt_pk_f16_f32 v118, v21, v23
	ds_read_u16 v22, v156 offset:8704
	ds_read_u16 v24, v156 offset:8976
	;; [unrolled: 1-line block ×4, first 2 shown]
	v_mfma_f32_16x16x16_f16 v[18:21], v[18:19], v[118:119], v[120:123]
	s_waitcnt lgkmcnt(2)
	v_perm_b32 v22, v24, v22, s1
	s_waitcnt lgkmcnt(0)
	v_perm_b32 v23, v26, v23, s1
	v_cvt_pk_f16_f32 v121, v28, v248
	s_nop 2
	v_cvt_f16_f32_e32 v18, v18
	v_cvt_f16_f32_e32 v19, v19
	;; [unrolled: 1-line block ×4, first 2 shown]
	v_cvt_f32_f16_e32 v18, v18
	v_cvt_f32_f16_e32 v19, v19
	;; [unrolled: 1-line block ×4, first 2 shown]
	v_cvt_pk_f16_f32 v120, v25, v27
	v_cvt_pk_f16_f32 v123, v252, v253
	;; [unrolled: 1-line block ×3, first 2 shown]
	v_mfma_f32_16x16x16_f16 v[18:21], v[22:23], v[120:121], v[18:21]
	ds_read_u16 v22, v156 offset:13056
	ds_read_u16 v24, v156 offset:13328
	;; [unrolled: 1-line block ×6, first 2 shown]
	v_cvt_f32_f16_e32 v248, v244
	s_nop 0
	v_cvt_f16_f32_e32 v18, v18
	v_cvt_f16_f32_e32 v19, v19
	;; [unrolled: 1-line block ×4, first 2 shown]
	s_waitcnt lgkmcnt(2)
	v_perm_b32 v23, v25, v23, s1
	v_perm_b32 v22, v24, v22, s1
	v_cvt_f32_f16_e32 v18, v18
	v_cvt_f32_f16_e32 v19, v19
	;; [unrolled: 1-line block ×4, first 2 shown]
	s_waitcnt lgkmcnt(0)
	v_perm_b32 v27, v182, v27, s1
	v_perm_b32 v26, v26, v183, s1
	v_mfma_f32_16x16x16_f16 v[18:21], v[22:23], v[122:123], v[18:21]
	v_cvt_f32_f16_e32 v22, v194
	v_cvt_f32_f16_sdwa v23, v194 dst_sel:DWORD dst_unused:UNUSED_PAD src0_sel:WORD_1
	v_cvt_f32_f16_e32 v24, v254
	v_cvt_f32_f16_sdwa v25, v254 dst_sel:DWORD dst_unused:UNUSED_PAD src0_sel:WORD_1
	v_cvt_f32_f16_sdwa v251, v242 dst_sel:DWORD dst_unused:UNUSED_PAD src0_sel:WORD_1
	s_nop 0
	v_mfma_f32_16x16x16_f16 v[22:25], v[26:27], v[116:117], v[22:25]
	ds_read_u16 v26, v156 offset:4384
	ds_read_u16 v28, v156 offset:4656
	;; [unrolled: 1-line block ×4, first 2 shown]
	s_nop 3
	v_cvt_f16_f32_e32 v22, v22
	v_cvt_f16_f32_e32 v23, v23
	;; [unrolled: 1-line block ×4, first 2 shown]
	s_waitcnt lgkmcnt(0)
	v_perm_b32 v27, v29, v27, s1
	v_perm_b32 v26, v28, v26, s1
	v_cvt_f32_f16_e32 v22, v22
	v_cvt_f32_f16_e32 v23, v23
	;; [unrolled: 1-line block ×4, first 2 shown]
	s_nop 1
	v_mfma_f32_16x16x16_f16 v[22:25], v[26:27], v[118:119], v[22:25]
	ds_read_u16 v26, v156 offset:8736
	ds_read_u16 v28, v156 offset:9008
	;; [unrolled: 1-line block ×4, first 2 shown]
	s_nop 3
	v_cvt_f16_f32_e32 v22, v22
	v_cvt_f16_f32_e32 v23, v23
	;; [unrolled: 1-line block ×4, first 2 shown]
	s_waitcnt lgkmcnt(0)
	v_perm_b32 v27, v29, v27, s1
	v_perm_b32 v26, v28, v26, s1
	v_cvt_f32_f16_e32 v22, v22
	v_cvt_f32_f16_e32 v23, v23
	;; [unrolled: 1-line block ×4, first 2 shown]
	s_nop 1
	v_mfma_f32_16x16x16_f16 v[22:25], v[26:27], v[120:121], v[22:25]
	ds_read_u16 v26, v156 offset:13088
	ds_read_u16 v28, v156 offset:13360
	;; [unrolled: 1-line block ×8, first 2 shown]
	v_cvt_f16_f32_e32 v22, v22
	v_cvt_f16_f32_e32 v23, v23
	;; [unrolled: 1-line block ×4, first 2 shown]
	s_waitcnt lgkmcnt(4)
	v_perm_b32 v27, v29, v27, s1
	v_perm_b32 v26, v28, v26, s1
	v_cvt_f32_f16_e32 v22, v22
	v_cvt_f32_f16_e32 v23, v23
	;; [unrolled: 1-line block ×4, first 2 shown]
	s_waitcnt lgkmcnt(0)
	v_perm_b32 v183, v185, v183, s1
	v_perm_b32 v182, v184, v182, s1
	v_mfma_f32_16x16x16_f16 v[22:25], v[26:27], v[122:123], v[22:25]
	v_cvt_f32_f16_e32 v26, v250
	v_cvt_f32_f16_sdwa v27, v250 dst_sel:DWORD dst_unused:UNUSED_PAD src0_sel:WORD_1
	v_cvt_f32_f16_e32 v28, v249
	v_cvt_f32_f16_sdwa v29, v249 dst_sel:DWORD dst_unused:UNUSED_PAD src0_sel:WORD_1
	v_cvt_f32_f16_sdwa v249, v244 dst_sel:DWORD dst_unused:UNUSED_PAD src0_sel:WORD_1
	v_cvt_f32_f16_e32 v250, v242
	v_mfma_f32_16x16x16_f16 v[26:29], v[182:183], v[116:117], v[26:29]
	ds_read_u16 v182, v156 offset:4416
	ds_read_u16 v184, v156 offset:4688
	ds_read_u16 v183, v156 offset:4960
	ds_read_u16 v185, v158 offset:4416
	s_nop 3
	v_cvt_f16_f32_e32 v26, v26
	v_cvt_f16_f32_e32 v27, v27
	v_cvt_f16_f32_e32 v28, v28
	v_cvt_f16_f32_e32 v29, v29
	s_waitcnt lgkmcnt(0)
	v_perm_b32 v183, v185, v183, s1
	v_perm_b32 v182, v184, v182, s1
	v_cvt_f32_f16_e32 v26, v26
	v_cvt_f32_f16_e32 v27, v27
	v_cvt_f32_f16_e32 v28, v28
	v_cvt_f32_f16_e32 v29, v29
	s_nop 1
	v_mfma_f32_16x16x16_f16 v[26:29], v[182:183], v[118:119], v[26:29]
	ds_read_u16 v182, v156 offset:8768
	ds_read_u16 v184, v156 offset:9040
	ds_read_u16 v183, v156 offset:9312
	ds_read_u16 v185, v158 offset:8768
	s_nop 3
	v_cvt_f16_f32_e32 v26, v26
	v_cvt_f16_f32_e32 v27, v27
	v_cvt_f16_f32_e32 v28, v28
	v_cvt_f16_f32_e32 v29, v29
	s_waitcnt lgkmcnt(0)
	v_perm_b32 v183, v185, v183, s1
	v_perm_b32 v182, v184, v182, s1
	v_cvt_f32_f16_e32 v26, v26
	v_cvt_f32_f16_e32 v27, v27
	v_cvt_f32_f16_e32 v28, v28
	v_cvt_f32_f16_e32 v29, v29
	s_nop 1
	;; [unrolled: 18-line block ×3, first 2 shown]
	v_mfma_f32_16x16x16_f16 v[26:29], v[182:183], v[122:123], v[26:29]
	ds_read_u16 v182, v156 offset:96
	ds_read_u16 v184, v156 offset:368
	;; [unrolled: 1-line block ×8, first 2 shown]
	s_waitcnt lgkmcnt(6)
	v_perm_b32 v182, v184, v182, s1
	s_waitcnt lgkmcnt(4)
	v_perm_b32 v183, v185, v183, s1
	s_nop 1
	v_mfma_f32_16x16x16_f16 v[186:189], v[182:183], v[116:117], v[186:189]
	s_nop 7
	v_cvt_f16_f32_e32 v182, v186
	v_cvt_f16_f32_e32 v183, v187
	;; [unrolled: 1-line block ×4, first 2 shown]
	v_cvt_f32_f16_e32 v186, v182
	v_cvt_f32_f16_e32 v187, v183
	s_waitcnt lgkmcnt(0)
	v_perm_b32 v183, v194, v192, s1
	v_perm_b32 v182, v191, v190, s1
	v_cvt_f32_f16_e32 v188, v184
	v_cvt_f32_f16_e32 v189, v185
	ds_read_u16 v190, v156 offset:8800
	ds_read_u16 v191, v156 offset:9072
	;; [unrolled: 1-line block ×4, first 2 shown]
	v_mfma_f32_16x16x16_f16 v[186:189], v[182:183], v[118:119], v[186:189]
	s_nop 7
	v_cvt_f16_f32_e32 v182, v186
	v_cvt_f16_f32_e32 v183, v187
	;; [unrolled: 1-line block ×4, first 2 shown]
	v_cvt_f32_f16_e32 v186, v182
	v_cvt_f32_f16_e32 v187, v183
	s_waitcnt lgkmcnt(0)
	v_perm_b32 v183, v194, v192, s1
	v_perm_b32 v182, v191, v190, s1
	v_cvt_f32_f16_e32 v188, v184
	v_cvt_f32_f16_e32 v189, v185
	ds_read_u16 v190, v156 offset:13152
	ds_read_u16 v191, v156 offset:13424
	;; [unrolled: 1-line block ×4, first 2 shown]
	v_mfma_f32_16x16x16_f16 v[186:189], v[182:183], v[120:121], v[186:189]
	s_nop 7
	v_cvt_f16_f32_e32 v182, v186
	v_cvt_f16_f32_e32 v183, v187
	;; [unrolled: 1-line block ×4, first 2 shown]
	v_cvt_f32_f16_e32 v186, v182
	v_cvt_f32_f16_e32 v187, v183
	s_waitcnt lgkmcnt(0)
	v_perm_b32 v183, v194, v192, s1
	v_perm_b32 v182, v191, v190, s1
	v_cvt_f32_f16_e32 v188, v184
	v_cvt_f32_f16_e32 v189, v185
	s_nop 1
	v_mfma_f32_16x16x16_f16 v[186:189], v[182:183], v[122:123], v[186:189]
	ds_read_u16 v182, v156 offset:128
	ds_read_u16 v184, v156 offset:400
	;; [unrolled: 1-line block ×8, first 2 shown]
	s_waitcnt lgkmcnt(6)
	v_perm_b32 v182, v184, v182, s1
	s_waitcnt lgkmcnt(4)
	v_perm_b32 v183, v185, v183, s1
	s_nop 1
	v_mfma_f32_16x16x16_f16 v[244:247], v[182:183], v[116:117], v[246:249]
	s_nop 2
	v_cvt_f32_f16_e32 v248, v243
	v_cvt_f32_f16_sdwa v249, v243 dst_sel:DWORD dst_unused:UNUSED_PAD src0_sel:WORD_1
	s_nop 2
	v_cvt_f16_f32_e32 v182, v244
	v_cvt_f16_f32_e32 v183, v245
	;; [unrolled: 1-line block ×4, first 2 shown]
	v_cvt_f32_f16_e32 v244, v182
	v_cvt_f32_f16_e32 v245, v183
	s_waitcnt lgkmcnt(0)
	v_perm_b32 v183, v194, v192, s1
	v_perm_b32 v182, v191, v190, s1
	v_cvt_f32_f16_e32 v246, v184
	v_cvt_f32_f16_e32 v247, v185
	ds_read_u16 v190, v156 offset:8832
	ds_read_u16 v191, v156 offset:9104
	ds_read_u16 v192, v156 offset:9376
	ds_read_u16 v194, v158 offset:8832
	v_mfma_f32_16x16x16_f16 v[244:247], v[182:183], v[118:119], v[244:247]
	s_nop 7
	v_cvt_f16_f32_e32 v182, v244
	v_cvt_f16_f32_e32 v183, v245
	;; [unrolled: 1-line block ×4, first 2 shown]
	v_cvt_f32_f16_e32 v244, v182
	v_cvt_f32_f16_e32 v245, v183
	s_waitcnt lgkmcnt(0)
	v_perm_b32 v183, v194, v192, s1
	v_perm_b32 v182, v191, v190, s1
	v_cvt_f32_f16_e32 v246, v184
	v_cvt_f32_f16_e32 v247, v185
	ds_read_u16 v190, v156 offset:13184
	ds_read_u16 v191, v156 offset:13456
	;; [unrolled: 1-line block ×4, first 2 shown]
	v_mfma_f32_16x16x16_f16 v[244:247], v[182:183], v[120:121], v[244:247]
	s_nop 7
	v_cvt_f16_f32_e32 v182, v244
	v_cvt_f16_f32_e32 v183, v245
	;; [unrolled: 1-line block ×4, first 2 shown]
	v_cvt_f32_f16_e32 v244, v182
	v_cvt_f32_f16_e32 v245, v183
	s_waitcnt lgkmcnt(0)
	v_perm_b32 v183, v194, v192, s1
	v_perm_b32 v182, v191, v190, s1
	v_cvt_f32_f16_e32 v246, v184
	v_cvt_f32_f16_e32 v247, v185
	s_nop 1
	v_mfma_f32_16x16x16_f16 v[244:247], v[182:183], v[122:123], v[244:247]
	ds_read_u16 v182, v156 offset:160
	ds_read_u16 v184, v156 offset:432
	;; [unrolled: 1-line block ×8, first 2 shown]
	s_waitcnt lgkmcnt(6)
	v_perm_b32 v182, v184, v182, s1
	s_waitcnt lgkmcnt(4)
	v_perm_b32 v183, v185, v183, s1
	s_nop 1
	v_mfma_f32_16x16x16_f16 v[248:251], v[182:183], v[116:117], v[248:251]
	s_nop 7
	v_cvt_f16_f32_e32 v182, v248
	v_cvt_f16_f32_e32 v183, v249
	;; [unrolled: 1-line block ×4, first 2 shown]
	v_cvt_f32_f16_e32 v248, v182
	v_cvt_f32_f16_e32 v249, v183
	s_waitcnt lgkmcnt(0)
	v_perm_b32 v183, v194, v192, s1
	v_perm_b32 v182, v191, v190, s1
	v_cvt_f32_f16_e32 v250, v184
	v_cvt_f32_f16_e32 v251, v185
	ds_read_u16 v190, v156 offset:8864
	ds_read_u16 v191, v156 offset:9136
	;; [unrolled: 1-line block ×4, first 2 shown]
	v_mfma_f32_16x16x16_f16 v[248:251], v[182:183], v[118:119], v[248:251]
	s_nop 7
	v_cvt_f16_f32_e32 v182, v248
	v_cvt_f16_f32_e32 v183, v249
	;; [unrolled: 1-line block ×4, first 2 shown]
	v_cvt_f32_f16_e32 v248, v182
	v_cvt_f32_f16_e32 v249, v183
	s_waitcnt lgkmcnt(0)
	v_perm_b32 v183, v194, v192, s1
	v_perm_b32 v182, v191, v190, s1
	v_cvt_f32_f16_e32 v250, v184
	v_cvt_f32_f16_e32 v251, v185
	ds_read_u16 v190, v156 offset:13216
	ds_read_u16 v191, v156 offset:13488
	;; [unrolled: 1-line block ×4, first 2 shown]
	v_mfma_f32_16x16x16_f16 v[248:251], v[182:183], v[120:121], v[248:251]
	s_nop 7
	v_cvt_f16_f32_e32 v182, v248
	v_cvt_f16_f32_e32 v183, v249
	;; [unrolled: 1-line block ×4, first 2 shown]
	v_cvt_f32_f16_e32 v248, v182
	v_cvt_f32_f16_e32 v249, v183
	s_waitcnt lgkmcnt(0)
	v_perm_b32 v183, v194, v192, s1
	v_perm_b32 v182, v191, v190, s1
	ds_read_u16 v190, v156 offset:192
	ds_read_u16 v192, v156 offset:464
	;; [unrolled: 1-line block ×4, first 2 shown]
	v_cvt_f32_f16_e32 v250, v184
	v_cvt_f32_f16_e32 v251, v185
	s_waitcnt lgkmcnt(2)
	v_perm_b32 v190, v192, v190, s1
	v_cvt_f32_f16_e32 v184, v193
	s_waitcnt lgkmcnt(0)
	v_perm_b32 v191, v194, v191, s1
	v_mfma_f32_16x16x16_f16 v[248:251], v[182:183], v[122:123], v[248:251]
	v_cvt_f32_f16_e32 v182, v196
	v_cvt_f32_f16_sdwa v183, v196 dst_sel:DWORD dst_unused:UNUSED_PAD src0_sel:WORD_1
	v_cvt_f32_f16_sdwa v185, v193 dst_sel:DWORD dst_unused:UNUSED_PAD src0_sel:WORD_1
	s_nop 1
	v_mfma_f32_16x16x16_f16 v[182:185], v[190:191], v[116:117], v[182:185]
	ds_read_u16 v190, v156 offset:4544
	ds_read_u16 v192, v156 offset:4816
	;; [unrolled: 1-line block ×4, first 2 shown]
	s_nop 3
	v_cvt_f16_f32_e32 v182, v182
	v_cvt_f16_f32_e32 v183, v183
	;; [unrolled: 1-line block ×4, first 2 shown]
	s_waitcnt lgkmcnt(0)
	v_perm_b32 v191, v193, v191, s1
	v_perm_b32 v190, v192, v190, s1
	v_cvt_f32_f16_e32 v182, v182
	v_cvt_f32_f16_e32 v183, v183
	;; [unrolled: 1-line block ×4, first 2 shown]
	s_nop 1
	v_mfma_f32_16x16x16_f16 v[182:185], v[190:191], v[118:119], v[182:185]
	ds_read_u16 v190, v156 offset:8896
	ds_read_u16 v192, v156 offset:9168
	;; [unrolled: 1-line block ×4, first 2 shown]
	s_nop 3
	v_cvt_f16_f32_e32 v182, v182
	v_cvt_f16_f32_e32 v183, v183
	;; [unrolled: 1-line block ×4, first 2 shown]
	s_waitcnt lgkmcnt(0)
	v_perm_b32 v191, v193, v191, s1
	v_perm_b32 v190, v192, v190, s1
	v_cvt_f32_f16_e32 v182, v182
	v_cvt_f32_f16_e32 v183, v183
	;; [unrolled: 1-line block ×4, first 2 shown]
	s_nop 1
	v_mfma_f32_16x16x16_f16 v[182:185], v[190:191], v[120:121], v[182:185]
	ds_read_u16 v190, v156 offset:13248
	ds_read_u16 v192, v156 offset:13520
	;; [unrolled: 1-line block ×8, first 2 shown]
	v_cvt_f16_f32_e32 v182, v182
	v_cvt_f16_f32_e32 v183, v183
	;; [unrolled: 1-line block ×4, first 2 shown]
	s_waitcnt lgkmcnt(4)
	v_perm_b32 v191, v193, v191, s1
	v_perm_b32 v190, v192, v190, s1
	v_cvt_f32_f16_e32 v182, v182
	v_cvt_f32_f16_e32 v183, v183
	;; [unrolled: 1-line block ×4, first 2 shown]
	s_waitcnt lgkmcnt(0)
	v_perm_b32 v243, v243, v242, s1
	v_perm_b32 v242, v196, v194, s1
	v_mfma_f32_16x16x16_f16 v[182:185], v[190:191], v[122:123], v[182:185]
	v_cvt_f32_f16_e32 v190, v241
	v_cvt_f32_f16_sdwa v191, v241 dst_sel:DWORD dst_unused:UNUSED_PAD src0_sel:WORD_1
	v_cvt_f32_f16_e32 v192, v198
	v_cvt_f32_f16_sdwa v193, v198 dst_sel:DWORD dst_unused:UNUSED_PAD src0_sel:WORD_1
	ds_read_u16 v194, v156 offset:4576
	ds_read_u16 v196, v156 offset:4848
	;; [unrolled: 1-line block ×4, first 2 shown]
	v_mfma_f32_16x16x16_f16 v[190:193], v[242:243], v[116:117], v[190:193]
	v_cvt_pk_f16_f32 v243, v26, v27
	v_cvt_pk_f16_f32 v242, v28, v29
	s_nop 5
	v_cvt_f16_f32_e32 v116, v190
	v_cvt_f16_f32_e32 v117, v191
	;; [unrolled: 1-line block ×4, first 2 shown]
	v_cvt_f32_f16_e32 v190, v116
	v_cvt_f32_f16_e32 v191, v117
	s_waitcnt lgkmcnt(0)
	v_perm_b32 v117, v241, v198, s1
	v_perm_b32 v116, v196, v194, s1
	v_cvt_f32_f16_e32 v192, v192
	v_cvt_f32_f16_e32 v193, v193
	v_cvt_pk_f16_f32 v241, v186, v187
	v_cvt_pk_f16_f32 v198, v188, v189
	v_mfma_f32_16x16x16_f16 v[116:119], v[116:117], v[118:119], v[190:193]
	s_nop 2
	ds_read_u16 v190, v156 offset:8928
	ds_read_u16 v192, v156 offset:9200
	;; [unrolled: 1-line block ×4, first 2 shown]
	s_nop 0
	v_cvt_f16_f32_e32 v116, v116
	v_cvt_f16_f32_e32 v117, v117
	;; [unrolled: 1-line block ×4, first 2 shown]
	s_waitcnt lgkmcnt(0)
	v_perm_b32 v191, v193, v191, s1
	v_perm_b32 v190, v192, v190, s1
	v_cvt_f32_f16_e32 v116, v116
	v_cvt_f32_f16_e32 v117, v117
	;; [unrolled: 1-line block ×4, first 2 shown]
	s_nop 1
	v_mfma_f32_16x16x16_f16 v[116:119], v[190:191], v[120:121], v[116:119]
	ds_read_u16 v120, v156 offset:13280
	ds_read_u16 v190, v156 offset:13552
	ds_read_u16 v121, v156 offset:13824
	ds_read_u16 v191, v158 offset:13280
	s_waitcnt lgkmcnt(0)
	s_barrier
	s_nop 1
	v_cvt_f16_f32_e32 v116, v116
	v_cvt_f16_f32_e32 v117, v117
	;; [unrolled: 1-line block ×4, first 2 shown]
	v_perm_b32 v121, v191, v121, s1
	v_perm_b32 v120, v190, v120, s1
	v_cvt_f32_f16_e32 v116, v116
	v_cvt_f32_f16_e32 v117, v117
	;; [unrolled: 1-line block ×4, first 2 shown]
	s_nop 1
	v_mfma_f32_16x16x16_f16 v[116:119], v[120:121], v[122:123], v[116:119]
	v_cvt_pk_f16_f32 v121, v248, v249
	v_cvt_pk_f16_f32 v120, v250, v251
	;; [unrolled: 1-line block ×4, first 2 shown]
	s_nop 3
	v_cvt_pk_f16_f32 v116, v116, v117
	v_cvt_pk_f16_f32 v117, v118, v119
	;; [unrolled: 1-line block ×8, first 2 shown]
	s_cbranch_scc1 .LBB24_249
; %bb.250:                              ;   in Loop: Header=BB24_9 Depth=1
	v_mad_i64_i32 v[18:19], s[56:57], v30, s40, 0
	v_mad_i64_i32 v[20:21], s[56:57], v32, s40, 0
	v_readlane_b32 s56, v255, 14
	v_readlane_b32 s57, v255, 15
	s_mov_b32 s35, s57
	s_lshl_b32 s56, s34, 6
	v_writelane_b32 v255, s34, 14
	s_nop 1
	v_writelane_b32 v255, s35, 15
	s_branch .LBB24_252
.LBB24_251:                             ;   in Loop: Header=BB24_9 Depth=1
	v_mov_b32_e32 v234, 0xfeffffff
	v_mov_b32_e32 v197, 0
	s_mov_b64 s[56:57], 0
	v_mov_b32_e32 v246, 0
	v_mov_b32_e32 v247, 0
	v_mov_b32_e32 v244, 0
	v_mov_b32_e32 v245, 0
	v_mov_b32_e32 v242, 0
	v_mov_b32_e32 v243, 0
	v_mov_b32_e32 v198, 0
	v_mov_b32_e32 v241, 0
	v_mov_b32_e32 v122, 0
	v_mov_b32_e32 v123, 0
	v_mov_b32_e32 v120, 0
	v_mov_b32_e32 v121, 0
	v_mov_b32_e32 v118, 0
	v_mov_b32_e32 v119, 0
	v_mov_b32_e32 v117, 0
	v_mov_b32_e32 v116, 0
.LBB24_252:                             ;   in Loop: Header=BB24_9 Depth=1
	s_lshl_b64 s[34:35], s[56:57], 1
	v_lshl_add_u64 v[22:23], v[110:111], 0, s[34:35]
	v_lshlrev_b32_e32 v54, 1, v78
	v_lshl_add_u64 v[22:23], v[22:23], 0, v[54:55]
	v_lshl_add_u64 v[18:19], v[18:19], 1, v[22:23]
	global_load_dword v18, v[18:19], off
	v_add_u32_e32 v24, v207, v205
	s_mul_i32 s34, s56, s27
	s_mul_hi_u32 s35, s56, s26
	s_add_i32 s35, s35, s34
	s_mul_i32 s34, s56, s26
	s_lshl_b64 s[34:35], s[34:35], 2
	v_lshlrev_b32_e32 v54, 2, v56
	v_add_u32_e32 v30, 0x1000, v199
	v_cmp_lt_i32_e32 vcc, v239, v238
	s_waitcnt vmcnt(0)
	ds_write_b32 v24, v18 offset:17408
	v_lshl_add_u64 v[18:19], v[20:21], 1, v[22:23]
	global_load_dword v18, v[18:19], off
	s_waitcnt vmcnt(0)
	ds_write_b32 v24, v18 offset:18560
	v_lshl_add_u64 v[18:19], v[108:109], 0, s[34:35]
	v_lshl_add_u64 v[20:21], v[58:59], 2, v[18:19]
	;; [unrolled: 1-line block ×7, first 2 shown]
	global_load_dwordx4 v[18:21], v[20:21], off
	v_lshl_add_u64 v[22:23], v[22:23], 0, v[54:55]
	v_lshl_add_u64 v[24:25], v[24:25], 0, v[54:55]
	s_mul_i32 s34, s56, s37
	s_mul_hi_u32 s35, s56, s36
	s_add_i32 s35, s35, s34
	s_mul_i32 s34, s56, s36
	s_lshl_b64 s[34:35], s[34:35], 2
	s_waitcnt vmcnt(0)
	ds_write_b128 v79, v[18:21]
	global_load_dwordx4 v[18:21], v[22:23], off
	s_waitcnt vmcnt(0)
	ds_write_b128 v208, v[18:21]
	global_load_dwordx4 v[18:21], v[24:25], off
	;; [unrolled: 3-line block ×3, first 2 shown]
	s_waitcnt vmcnt(0)
	ds_write_b128 v210, v[18:21]
	s_waitcnt lgkmcnt(0)
	s_barrier
	ds_read2_b64 v[18:21], v199 offset1:4
	s_waitcnt lgkmcnt(0)
	v_mfma_f32_16x16x16_f16 v[22:25], v[18:19], v[14:15], 0
	v_mfma_f32_16x16x16_f16 v[18:21], v[20:21], v[16:17], v[22:25]
	s_nop 6
	ds_read2_b64 v[22:25], v199 offset0:8 offset1:12
	s_waitcnt lgkmcnt(0)
	v_mfma_f32_16x16x16_f16 v[18:21], v[22:23], v[10:11], v[18:21]
	v_mfma_f32_16x16x16_f16 v[18:21], v[24:25], v[12:13], v[18:21]
	ds_read2_b64 v[22:25], v199 offset0:16 offset1:20
	s_waitcnt lgkmcnt(0)
	v_mfma_f32_16x16x16_f16 v[18:21], v[22:23], v[6:7], v[18:21]
	v_mfma_f32_16x16x16_f16 v[18:21], v[24:25], v[8:9], v[18:21]
	;; [unrolled: 4-line block ×3, first 2 shown]
	s_nop 6
	ds_read2_b64 v[18:21], v30 offset0:32 offset1:36
	s_waitcnt lgkmcnt(0)
	v_mfma_f32_16x16x16_f16 v[22:25], v[18:19], v[14:15], 0
	v_mfma_f32_16x16x16_f16 v[18:21], v[20:21], v[16:17], v[22:25]
	s_nop 6
	ds_read2_b64 v[22:25], v30 offset0:40 offset1:44
	s_waitcnt lgkmcnt(0)
	v_mfma_f32_16x16x16_f16 v[18:21], v[22:23], v[10:11], v[18:21]
	v_mfma_f32_16x16x16_f16 v[18:21], v[24:25], v[12:13], v[18:21]
	ds_read2_b64 v[22:25], v30 offset0:48 offset1:52
	s_waitcnt lgkmcnt(0)
	v_mfma_f32_16x16x16_f16 v[18:21], v[22:23], v[6:7], v[18:21]
	v_mfma_f32_16x16x16_f16 v[18:21], v[24:25], v[8:9], v[18:21]
	ds_read2_b64 v[22:25], v30 offset0:56 offset1:60
	v_add_u32_e32 v30, 0x2000, v199
	s_waitcnt lgkmcnt(0)
	v_mfma_f32_16x16x16_f16 v[18:21], v[22:23], v[2:3], v[18:21]
	v_mfma_f32_16x16x16_f16 v[18:21], v[24:25], v[4:5], v[18:21]
	ds_read2_b64 v[22:25], v30 offset0:64 offset1:68
	s_waitcnt lgkmcnt(0)
	v_mfma_f32_16x16x16_f16 v[34:37], v[22:23], v[14:15], 0
	v_mfma_f32_16x16x16_f16 v[22:25], v[24:25], v[16:17], v[34:37]
	s_nop 6
	ds_read2_b64 v[34:37], v30 offset0:72 offset1:76
	s_waitcnt lgkmcnt(0)
	v_mfma_f32_16x16x16_f16 v[22:25], v[34:35], v[10:11], v[22:25]
	v_mfma_f32_16x16x16_f16 v[22:25], v[36:37], v[12:13], v[22:25]
	ds_read2_b64 v[34:37], v30 offset0:80 offset1:84
	s_waitcnt lgkmcnt(0)
	v_mfma_f32_16x16x16_f16 v[22:25], v[34:35], v[6:7], v[22:25]
	v_mfma_f32_16x16x16_f16 v[22:25], v[36:37], v[8:9], v[22:25]
	ds_read2_b64 v[34:37], v30 offset0:88 offset1:92
	v_add_u32_e32 v30, 0x3000, v199
	s_waitcnt lgkmcnt(0)
	v_mfma_f32_16x16x16_f16 v[22:25], v[34:35], v[2:3], v[22:25]
	v_mfma_f32_16x16x16_f16 v[22:25], v[36:37], v[4:5], v[22:25]
	ds_read2_b64 v[34:37], v30 offset0:96 offset1:100
	s_waitcnt lgkmcnt(0)
	v_mfma_f32_16x16x16_f16 v[38:41], v[34:35], v[14:15], 0
	v_mfma_f32_16x16x16_f16 v[14:17], v[36:37], v[16:17], v[38:41]
	ds_read2_b64 v[34:37], v30 offset0:104 offset1:108
	s_waitcnt lgkmcnt(0)
	v_mfma_f32_16x16x16_f16 v[14:17], v[34:35], v[10:11], v[14:17]
	s_nop 3
	v_add_u32_e32 v39, v155, v157
	v_mfma_f32_16x16x16_f16 v[10:13], v[36:37], v[12:13], v[14:17]
	s_nop 2
	ds_read2_b64 v[14:17], v30 offset0:112 offset1:116
	s_waitcnt lgkmcnt(0)
	v_mfma_f32_16x16x16_f16 v[10:13], v[14:15], v[6:7], v[10:13]
	v_mfma_f32_16x16x16_f16 v[6:9], v[16:17], v[8:9], v[10:13]
	s_nop 6
	ds_read2_b64 v[10:13], v30 offset0:120 offset1:124
	s_waitcnt lgkmcnt(0)
	v_mfma_f32_16x16x16_f16 v[6:9], v[10:11], v[2:3], v[6:9]
	s_barrier
	v_mfma_f32_16x16x16_f16 v[2:5], v[12:13], v[4:5], v[6:9]
	s_nop 5
	ds_read_b32 v6, v154 offset:17408
	s_waitcnt lgkmcnt(0)
	v_cvt_f32_f16_e32 v7, v6
	v_cvt_f32_f16_sdwa v6, v6 dst_sel:DWORD dst_unused:UNUSED_PAD src0_sel:WORD_1
	v_add_f32_e32 v17, v26, v7
	v_add_f32_e32 v26, v27, v6
	ds_read_b32 v6, v153 offset:17408
	s_waitcnt lgkmcnt(0)
	v_cvt_f32_f16_e32 v7, v6
	v_cvt_f32_f16_sdwa v6, v6 dst_sel:DWORD dst_unused:UNUSED_PAD src0_sel:WORD_1
	v_add_f32_e32 v27, v28, v7
	v_add_f32_e32 v16, v29, v6
	v_add_u32_e32 v6, 0x4400, v211
	ds_read2_b32 v[6:7], v6 offset1:1
	s_waitcnt lgkmcnt(0)
	v_cvt_f32_f16_e32 v8, v6
	v_cvt_f32_f16_sdwa v6, v6 dst_sel:DWORD dst_unused:UNUSED_PAD src0_sel:WORD_1
	v_add_f32_e32 v29, v18, v8
	v_add_f32_e32 v15, v19, v6
	v_cvt_f32_f16_e32 v6, v7
	v_cvt_f32_f16_sdwa v7, v7 dst_sel:DWORD dst_unused:UNUSED_PAD src0_sel:WORD_1
	v_add_f32_e32 v14, v20, v6
	v_add_u32_e32 v6, 0x4400, v212
	v_add_f32_e32 v13, v21, v7
	ds_read2_b32 v[6:7], v6 offset1:1
	s_waitcnt lgkmcnt(0)
	v_cvt_f32_f16_e32 v8, v6
	v_cvt_f32_f16_sdwa v6, v6 dst_sel:DWORD dst_unused:UNUSED_PAD src0_sel:WORD_1
	v_add_f32_e32 v12, v22, v8
	v_add_f32_e32 v10, v23, v6
	v_cvt_f32_f16_e32 v6, v7
	v_cvt_f32_f16_sdwa v7, v7 dst_sel:DWORD dst_unused:UNUSED_PAD src0_sel:WORD_1
	v_add_f32_e32 v9, v24, v6
	v_add_u32_e32 v6, 0x4400, v213
	v_add_f32_e32 v8, v25, v7
	ds_read2_b32 v[6:7], v6 offset1:1
	s_waitcnt lgkmcnt(0)
	v_cvt_f32_f16_e32 v11, v6
	v_cvt_f32_f16_sdwa v6, v6 dst_sel:DWORD dst_unused:UNUSED_PAD src0_sel:WORD_1
	v_add_f32_e32 v11, v2, v11
	v_add_f32_e32 v2, v3, v6
	v_cvt_f32_f16_e32 v3, v7
	v_cvt_f32_f16_sdwa v6, v7 dst_sel:DWORD dst_unused:UNUSED_PAD src0_sel:WORD_1
	v_add_f32_e32 v7, 0x40051340, v16
	v_add_f32_e32 v4, v4, v3
	;; [unrolled: 1-line block ×5, first 2 shown]
	v_max3_f32 v5, v234, v5, v6
	v_add_f32_e32 v6, 0x40051340, v27
	v_max3_f32 v5, v5, v6, v7
	v_add_f32_e32 v6, 0x40051340, v29
	v_add_f32_e32 v7, 0x40051340, v15
	v_max3_f32 v5, v5, v6, v7
	v_add_f32_e32 v6, 0x40051340, v14
	;; [unrolled: 3-line block ×6, first 2 shown]
	v_add_f32_e32 v7, 0x40051340, v3
	v_max3_f32 v5, v5, v6, v7
	v_cndmask_b32_e32 v6, v237, v239, vcc
	v_lshlrev_b32_e32 v28, 2, v6
	ds_bpermute_b32 v6, v28, v5
	v_cmp_lt_i32_e32 vcc, v240, v238
	s_waitcnt lgkmcnt(0)
	v_max_f32_e32 v6, v6, v6
	v_max_f32_e32 v5, v5, v6
	v_cndmask_b32_e32 v6, v237, v240, vcc
	v_lshlrev_b32_e32 v21, 2, v6
	ds_bpermute_b32 v6, v21, v5
	s_waitcnt lgkmcnt(0)
	v_max_f32_e32 v6, v6, v6
	v_max_f32_e32 v20, v5, v6
	v_sub_f32_e32 v5, v17, v20
	v_mul_f32_e32 v6, 0x3fb8aa3b, v5
	v_fma_f32 v7, v5, s41, -v6
	v_rndne_f32_e32 v17, v6
	v_fmac_f32_e32 v7, 0x32a5705f, v5
	v_sub_f32_e32 v6, v6, v17
	v_add_f32_e32 v6, v6, v7
	v_exp_f32_e32 v6, v6
	v_cvt_i32_f32_e32 v7, v17
	v_cmp_ngt_f32_e32 vcc, s30, v5
	v_sub_f32_e32 v16, v16, v20
	v_sub_f32_e32 v15, v15, v20
	v_ldexp_f32 v6, v6, v7
	v_cndmask_b32_e32 v6, 0, v6, vcc
	v_cmp_nlt_f32_e32 vcc, s47, v5
	v_sub_f32_e32 v5, v26, v20
	v_mul_f32_e32 v7, 0x3fb8aa3b, v5
	v_fma_f32 v17, v5, s41, -v7
	v_rndne_f32_e32 v18, v7
	v_fmac_f32_e32 v17, 0x32a5705f, v5
	v_sub_f32_e32 v7, v7, v18
	v_add_f32_e32 v7, v7, v17
	v_exp_f32_e32 v7, v7
	v_cvt_i32_f32_e32 v17, v18
	v_cndmask_b32_e32 v6, v232, v6, vcc
	v_cmp_ngt_f32_e32 vcc, s30, v5
	v_sub_f32_e32 v14, v14, v20
	v_ldexp_f32 v7, v7, v17
	v_sub_f32_e32 v17, v27, v20
	v_mul_f32_e32 v18, 0x3fb8aa3b, v17
	v_fma_f32 v19, v17, s41, -v18
	v_rndne_f32_e32 v22, v18
	v_fmac_f32_e32 v19, 0x32a5705f, v17
	v_sub_f32_e32 v18, v18, v22
	v_add_f32_e32 v18, v18, v19
	v_exp_f32_e32 v18, v18
	v_cvt_i32_f32_e32 v19, v22
	v_cndmask_b32_e32 v7, 0, v7, vcc
	v_cmp_nlt_f32_e32 vcc, s47, v5
	v_sub_f32_e32 v13, v13, v20
	v_ldexp_f32 v18, v18, v19
	v_cndmask_b32_e32 v7, v232, v7, vcc
	v_cmp_ngt_f32_e32 vcc, s30, v17
	v_sub_f32_e32 v12, v12, v20
	v_sub_f32_e32 v10, v10, v20
	v_cndmask_b32_e32 v18, 0, v18, vcc
	v_cmp_nlt_f32_e32 vcc, s47, v17
	v_mul_f32_e32 v17, 0x3fb8aa3b, v16
	v_fma_f32 v19, v16, s41, -v17
	v_rndne_f32_e32 v22, v17
	v_fmac_f32_e32 v19, 0x32a5705f, v16
	v_sub_f32_e32 v17, v17, v22
	v_add_f32_e32 v17, v17, v19
	v_exp_f32_e32 v17, v17
	v_cvt_i32_f32_e32 v19, v22
	v_cndmask_b32_e32 v18, v232, v18, vcc
	v_cmp_ngt_f32_e32 vcc, s30, v16
	v_sub_f32_e32 v9, v9, v20
	v_ldexp_f32 v17, v17, v19
	v_cndmask_b32_e32 v17, 0, v17, vcc
	v_cmp_nlt_f32_e32 vcc, s47, v16
	v_sub_f32_e32 v16, v29, v20
	v_sub_f32_e32 v8, v8, v20
	v_cndmask_b32_e32 v19, v232, v17, vcc
	v_mul_f32_e32 v17, 0x3fb8aa3b, v16
	v_fma_f32 v22, v16, s41, -v17
	v_rndne_f32_e32 v23, v17
	v_fmac_f32_e32 v22, 0x32a5705f, v16
	v_sub_f32_e32 v17, v17, v23
	v_add_f32_e32 v17, v17, v22
	v_exp_f32_e32 v17, v17
	v_cvt_i32_f32_e32 v22, v23
	v_cmp_ngt_f32_e32 vcc, s30, v16
	v_add_f32_e32 v5, v6, v7
	v_sub_f32_e32 v2, v2, v20
	v_ldexp_f32 v17, v17, v22
	v_cndmask_b32_e32 v17, 0, v17, vcc
	v_cmp_nlt_f32_e32 vcc, s47, v16
	v_mul_f32_e32 v16, 0x3fb8aa3b, v15
	v_rndne_f32_e32 v23, v16
	v_cndmask_b32_e32 v22, v232, v17, vcc
	v_fma_f32 v17, v15, s41, -v16
	v_fmac_f32_e32 v17, 0x32a5705f, v15
	v_sub_f32_e32 v16, v16, v23
	v_add_f32_e32 v16, v16, v17
	v_exp_f32_e32 v16, v16
	v_cvt_i32_f32_e32 v17, v23
	v_cmp_ngt_f32_e32 vcc, s30, v15
	v_add_f32_e32 v5, v18, v5
	v_add_f32_e32 v5, v19, v5
	v_ldexp_f32 v16, v16, v17
	v_cndmask_b32_e32 v16, 0, v16, vcc
	v_cmp_nlt_f32_e32 vcc, s47, v15
	v_mul_f32_e32 v15, 0x3fb8aa3b, v14
	v_rndne_f32_e32 v17, v15
	v_cndmask_b32_e32 v23, v232, v16, vcc
	v_fma_f32 v16, v14, s41, -v15
	v_fmac_f32_e32 v16, 0x32a5705f, v14
	v_sub_f32_e32 v15, v15, v17
	v_add_f32_e32 v15, v15, v16
	v_exp_f32_e32 v15, v15
	v_cvt_i32_f32_e32 v16, v17
	v_cmp_ngt_f32_e32 vcc, s30, v14
	v_add_f32_e32 v5, v22, v5
	v_add_f32_e32 v5, v23, v5
	v_ldexp_f32 v15, v15, v16
	v_cndmask_b32_e32 v15, 0, v15, vcc
	v_cmp_nlt_f32_e32 vcc, s47, v14
	v_mul_f32_e32 v14, 0x3fb8aa3b, v13
	v_rndne_f32_e32 v16, v14
	v_cndmask_b32_e32 v24, v232, v15, vcc
	v_fma_f32 v15, v13, s41, -v14
	v_fmac_f32_e32 v15, 0x32a5705f, v13
	v_sub_f32_e32 v14, v14, v16
	v_add_f32_e32 v14, v14, v15
	v_exp_f32_e32 v14, v14
	v_cvt_i32_f32_e32 v15, v16
	v_cmp_ngt_f32_e32 vcc, s30, v13
	v_add_f32_e32 v5, v24, v5
	v_sub_f32_e32 v4, v4, v20
	v_ldexp_f32 v14, v14, v15
	v_cndmask_b32_e32 v14, 0, v14, vcc
	v_cmp_nlt_f32_e32 vcc, s47, v13
	v_mul_f32_e32 v13, 0x3fb8aa3b, v12
	v_rndne_f32_e32 v15, v13
	v_cndmask_b32_e32 v25, v232, v14, vcc
	v_fma_f32 v14, v12, s41, -v13
	v_fmac_f32_e32 v14, 0x32a5705f, v12
	v_sub_f32_e32 v13, v13, v15
	v_add_f32_e32 v13, v13, v14
	v_exp_f32_e32 v13, v13
	v_cvt_i32_f32_e32 v14, v15
	v_cmp_ngt_f32_e32 vcc, s30, v12
	v_add_f32_e32 v5, v25, v5
	v_sub_f32_e32 v3, v3, v20
	v_ldexp_f32 v13, v13, v14
	v_cndmask_b32_e32 v13, 0, v13, vcc
	v_cmp_nlt_f32_e32 vcc, s47, v12
	v_mul_f32_e32 v12, 0x3fb8aa3b, v10
	v_rndne_f32_e32 v14, v12
	v_cndmask_b32_e32 v30, v232, v13, vcc
	v_fma_f32 v13, v10, s41, -v12
	v_fmac_f32_e32 v13, 0x32a5705f, v10
	v_sub_f32_e32 v12, v12, v14
	v_add_f32_e32 v12, v12, v13
	v_exp_f32_e32 v12, v12
	v_cvt_i32_f32_e32 v13, v14
	v_cmp_ngt_f32_e32 vcc, s30, v10
	v_add_f32_e32 v5, v30, v5
	v_cvt_pk_f16_f32 v25, v24, v25
	v_ldexp_f32 v12, v12, v13
	v_cndmask_b32_e32 v12, 0, v12, vcc
	v_cmp_nlt_f32_e32 vcc, s47, v10
	v_mul_f32_e32 v10, 0x3fb8aa3b, v9
	v_rndne_f32_e32 v13, v10
	v_cndmask_b32_e32 v32, v232, v12, vcc
	v_fma_f32 v12, v9, s41, -v10
	v_fmac_f32_e32 v12, 0x32a5705f, v9
	v_sub_f32_e32 v10, v10, v13
	v_add_f32_e32 v10, v10, v12
	v_exp_f32_e32 v10, v10
	v_cvt_i32_f32_e32 v12, v13
	v_cmp_ngt_f32_e32 vcc, s30, v9
	v_add_f32_e32 v5, v32, v5
	v_cvt_pk_f16_f32 v24, v22, v23
	v_ldexp_f32 v10, v10, v12
	v_cndmask_b32_e32 v10, 0, v10, vcc
	v_cmp_nlt_f32_e32 vcc, s47, v9
	v_mul_f32_e32 v9, 0x3fb8aa3b, v8
	v_rndne_f32_e32 v12, v9
	v_cndmask_b32_e32 v34, v232, v10, vcc
	v_fma_f32 v10, v8, s41, -v9
	v_fmac_f32_e32 v10, 0x32a5705f, v8
	v_sub_f32_e32 v9, v9, v12
	v_add_f32_e32 v9, v9, v10
	v_exp_f32_e32 v9, v9
	v_cvt_i32_f32_e32 v10, v12
	v_cmp_ngt_f32_e32 vcc, s30, v8
	v_add_f32_e32 v5, v34, v5
	v_cvt_pk_f16_f32 v22, v30, v32
	v_ldexp_f32 v9, v9, v10
	v_cndmask_b32_e32 v9, 0, v9, vcc
	v_cmp_nlt_f32_e32 vcc, s47, v8
	v_sub_f32_e32 v8, v11, v20
	s_nop 0
	v_cndmask_b32_e32 v38, v232, v9, vcc
	v_mul_f32_e32 v9, 0x3fb8aa3b, v8
	v_fma_f32 v10, v8, s41, -v9
	v_rndne_f32_e32 v11, v9
	v_fmac_f32_e32 v10, 0x32a5705f, v8
	v_sub_f32_e32 v9, v9, v11
	v_add_f32_e32 v9, v9, v10
	v_exp_f32_e32 v9, v9
	v_cvt_i32_f32_e32 v10, v11
	v_cmp_ngt_f32_e32 vcc, s30, v8
	v_add_f32_e32 v5, v38, v5
	v_cvt_pk_f16_f32 v23, v34, v38
	v_ldexp_f32 v9, v9, v10
	v_cndmask_b32_e32 v9, 0, v9, vcc
	v_cmp_nlt_f32_e32 vcc, s47, v8
	v_mul_f32_e32 v8, 0x3fb8aa3b, v2
	v_rndne_f32_e32 v10, v8
	v_cndmask_b32_e32 v35, v232, v9, vcc
	v_fma_f32 v9, v2, s41, -v8
	v_fmac_f32_e32 v9, 0x32a5705f, v2
	v_sub_f32_e32 v8, v8, v10
	v_add_f32_e32 v8, v8, v9
	v_exp_f32_e32 v8, v8
	v_cvt_i32_f32_e32 v9, v10
	v_cmp_ngt_f32_e32 vcc, s30, v2
	v_add_f32_e32 v5, v35, v5
	v_ldexp_f32 v8, v8, v9
	v_cndmask_b32_e32 v8, 0, v8, vcc
	v_cmp_nlt_f32_e32 vcc, s47, v2
	s_nop 1
	v_cndmask_b32_e32 v40, v232, v8, vcc
	v_add_f32_e32 v2, v40, v5
	v_mul_f32_e32 v5, 0x3fb8aa3b, v4
	v_fma_f32 v8, v4, s41, -v5
	v_rndne_f32_e32 v9, v5
	v_fmac_f32_e32 v8, 0x32a5705f, v4
	v_sub_f32_e32 v5, v5, v9
	v_add_f32_e32 v5, v5, v8
	v_exp_f32_e32 v5, v5
	v_cvt_i32_f32_e32 v8, v9
	v_cmp_ngt_f32_e32 vcc, s30, v4
	v_ldexp_f32 v5, v5, v8
	s_nop 0
	v_cndmask_b32_e32 v5, 0, v5, vcc
	v_cmp_nlt_f32_e32 vcc, s47, v4
	v_mul_f32_e32 v4, 0x3fb8aa3b, v3
	v_rndne_f32_e32 v8, v4
	v_cndmask_b32_e32 v41, v232, v5, vcc
	v_fma_f32 v5, v3, s41, -v4
	v_fmac_f32_e32 v5, 0x32a5705f, v3
	v_sub_f32_e32 v4, v4, v8
	v_add_f32_e32 v4, v4, v5
	v_exp_f32_e32 v4, v4
	v_cvt_i32_f32_e32 v5, v8
	v_cmp_ngt_f32_e32 vcc, s30, v3
	v_add_f32_e32 v2, v41, v2
	v_ldexp_f32 v4, v4, v5
	v_cndmask_b32_e32 v4, 0, v4, vcc
	v_cmp_nlt_f32_e32 vcc, s47, v3
	s_nop 1
	v_cndmask_b32_e32 v42, v232, v4, vcc
	v_add_f32_e32 v29, v42, v2
	v_sub_f32_e32 v2, v234, v20
	v_mul_f32_e32 v3, 0x3fb8aa3b, v2
	v_fma_f32 v4, v2, s41, -v3
	v_rndne_f32_e32 v5, v3
	v_fmac_f32_e32 v4, 0x32a5705f, v2
	v_sub_f32_e32 v3, v3, v5
	v_add_f32_e32 v3, v3, v4
	v_exp_f32_e32 v3, v3
	v_cvt_i32_f32_e32 v4, v5
	v_cmp_ngt_f32_e32 vcc, s30, v2
	v_ldexp_f32 v3, v3, v4
	s_nop 0
	v_cndmask_b32_e32 v3, 0, v3, vcc
	v_cmp_nlt_f32_e32 vcc, s47, v2
	s_nop 1
	v_cndmask_b32_e32 v3, v232, v3, vcc
	v_cmp_le_f32_e32 vcc, s0, v2
	s_nop 1
	v_cndmask_b32_e32 v2, 0, v3, vcc
	v_fmac_f32_e32 v29, v197, v2
	v_cvt_f16_f32_e32 v2, v2
	v_cmp_eq_u64_e32 vcc, 0, v[104:105]
	s_and_b64 vcc, exec, vcc
	v_mul_u32_u24_e32 v2, 0x10001, v2
	v_pk_mul_f16 v27, v247, v2
	v_pk_mul_f16 v26, v246, v2
	;; [unrolled: 1-line block ×16, first 2 shown]
	v_lshl_add_u64 v[2:3], v[106:107], 0, s[34:35]
	v_lshl_add_u64 v[4:5], v[66:67], 2, v[2:3]
	;; [unrolled: 1-line block ×7, first 2 shown]
	global_load_dwordx4 v[2:5], v[4:5], off
	v_lshl_add_u64 v[46:47], v[46:47], 0, v[54:55]
	v_lshl_add_u64 v[48:49], v[48:49], 0, v[54:55]
	s_waitcnt vmcnt(0)
	ds_write_b128 v79, v[2:5]
	global_load_dwordx4 v[2:5], v[46:47], off
	s_waitcnt vmcnt(0)
	ds_write_b128 v208, v[2:5]
	global_load_dwordx4 v[2:5], v[48:49], off
	;; [unrolled: 3-line block ×3, first 2 shown]
	s_waitcnt vmcnt(0)
	ds_write_b128 v210, v[2:5]
	s_waitcnt lgkmcnt(0)
	s_barrier
	ds_read_u16 v45, v156 offset:272
	ds_read_u16 v47, v156 offset:544
	v_cvt_f32_f16_e32 v4, v26
	v_cvt_f32_f16_sdwa v5, v26 dst_sel:DWORD dst_unused:UNUSED_PAD src0_sel:WORD_1
	ds_read_u16 v26, v156
	ds_read_u16 v48, v156 offset:32
	v_cvt_f32_f16_e32 v2, v27
	v_cvt_f32_f16_sdwa v3, v27 dst_sel:DWORD dst_unused:UNUSED_PAD src0_sel:WORD_1
	v_cvt_pk_f16_f32 v27, v18, v19
	s_waitcnt lgkmcnt(1)
	v_perm_b32 v46, v45, v26, s1
	ds_read_u16 v26, v39
	ds_read_u16 v45, v39 offset:32
	s_waitcnt lgkmcnt(1)
	v_perm_b32 v47, v26, v47, s1
	v_cvt_pk_f16_f32 v26, v6, v7
	ds_read_u16 v6, v156 offset:4352
	ds_read_u16 v7, v156 offset:4624
	;; [unrolled: 1-line block ×4, first 2 shown]
	v_mfma_f32_16x16x16_f16 v[2:5], v[46:47], v[26:27], v[2:5]
	s_waitcnt lgkmcnt(2)
	v_perm_b32 v6, v7, v6, s1
	s_waitcnt lgkmcnt(0)
	v_perm_b32 v7, v19, v18, s1
	s_nop 3
	v_cvt_f16_f32_e32 v2, v2
	v_cvt_f16_f32_e32 v3, v3
	;; [unrolled: 1-line block ×4, first 2 shown]
	v_cvt_f32_f16_e32 v2, v2
	v_cvt_f32_f16_e32 v3, v3
	;; [unrolled: 1-line block ×4, first 2 shown]
	s_nop 1
	v_mfma_f32_16x16x16_f16 v[2:5], v[6:7], v[24:25], v[2:5]
	ds_read_u16 v6, v156 offset:8704
	ds_read_u16 v7, v156 offset:8976
	;; [unrolled: 1-line block ×4, first 2 shown]
	s_nop 3
	v_cvt_f16_f32_e32 v2, v2
	v_cvt_f16_f32_e32 v3, v3
	;; [unrolled: 1-line block ×4, first 2 shown]
	s_waitcnt lgkmcnt(2)
	v_perm_b32 v6, v7, v6, s1
	s_waitcnt lgkmcnt(0)
	v_perm_b32 v7, v19, v18, s1
	v_cvt_f32_f16_e32 v2, v2
	v_cvt_f32_f16_e32 v3, v3
	;; [unrolled: 1-line block ×4, first 2 shown]
	s_nop 1
	v_mfma_f32_16x16x16_f16 v[2:5], v[6:7], v[22:23], v[2:5]
	ds_read_u16 v6, v156 offset:13056
	ds_read_u16 v7, v156 offset:13328
	ds_read_u16 v18, v156 offset:13600
	ds_read_u16 v19, v39 offset:13056
	s_nop 3
	v_cvt_f16_f32_e32 v2, v2
	v_cvt_f16_f32_e32 v3, v3
	;; [unrolled: 1-line block ×4, first 2 shown]
	s_waitcnt lgkmcnt(2)
	v_perm_b32 v6, v7, v6, s1
	s_waitcnt lgkmcnt(0)
	v_perm_b32 v7, v19, v18, s1
	v_cvt_f32_f16_e32 v2, v2
	v_cvt_f32_f16_e32 v3, v3
	;; [unrolled: 1-line block ×4, first 2 shown]
	v_cvt_pk_f16_f32 v19, v41, v42
	v_cvt_pk_f16_f32 v18, v35, v40
	ds_read_u16 v32, v156 offset:304
	ds_read_u16 v35, v156 offset:576
	v_mfma_f32_16x16x16_f16 v[2:5], v[6:7], v[18:19], v[2:5]
	v_cvt_f32_f16_e32 v6, v43
	v_cvt_f32_f16_sdwa v7, v43 dst_sel:DWORD dst_unused:UNUSED_PAD src0_sel:WORD_1
	s_waitcnt lgkmcnt(1)
	v_perm_b32 v34, v32, v48, s1
	s_waitcnt lgkmcnt(0)
	v_perm_b32 v35, v45, v35, s1
	v_cvt_f32_f16_e32 v40, v9
	s_nop 0
	v_cvt_f16_f32_e32 v4, v4
	v_cvt_f16_f32_e32 v5, v5
	v_cvt_f32_f16_sdwa v41, v9 dst_sel:DWORD dst_unused:UNUSED_PAD src0_sel:WORD_1
	v_cvt_f32_f16_e32 v42, v8
	v_cvt_f32_f16_sdwa v43, v8 dst_sel:DWORD dst_unused:UNUSED_PAD src0_sel:WORD_1
	v_perm_b32 v30, v5, v4, s1
	v_cvt_f32_f16_e32 v4, v44
	v_cvt_f32_f16_sdwa v5, v44 dst_sel:DWORD dst_unused:UNUSED_PAD src0_sel:WORD_1
	s_nop 1
	v_mfma_f32_16x16x16_f16 v[4:7], v[34:35], v[26:27], v[4:7]
	ds_read_u16 v32, v156 offset:4384
	ds_read_u16 v34, v156 offset:4656
	ds_read_u16 v35, v156 offset:4928
	ds_read_u16 v38, v39 offset:4384
	s_nop 3
	v_cvt_f16_f32_e32 v4, v4
	v_cvt_f16_f32_e32 v5, v5
	v_cvt_f16_f32_e32 v6, v6
	v_cvt_f16_f32_e32 v7, v7
	s_waitcnt lgkmcnt(2)
	v_perm_b32 v34, v34, v32, s1
	s_waitcnt lgkmcnt(0)
	v_perm_b32 v35, v38, v35, s1
	v_cvt_f32_f16_e32 v4, v4
	v_cvt_f32_f16_e32 v5, v5
	v_cvt_f32_f16_e32 v6, v6
	v_cvt_f32_f16_e32 v7, v7
	s_nop 1
	v_mfma_f32_16x16x16_f16 v[4:7], v[34:35], v[24:25], v[4:7]
	ds_read_u16 v32, v156 offset:8736
	ds_read_u16 v34, v156 offset:9008
	ds_read_u16 v35, v156 offset:9280
	ds_read_u16 v38, v39 offset:8736
	s_nop 3
	v_cvt_f16_f32_e32 v4, v4
	v_cvt_f16_f32_e32 v5, v5
	v_cvt_f16_f32_e32 v6, v6
	v_cvt_f16_f32_e32 v7, v7
	s_waitcnt lgkmcnt(2)
	v_perm_b32 v34, v34, v32, s1
	s_waitcnt lgkmcnt(0)
	v_perm_b32 v35, v38, v35, s1
	v_cvt_f32_f16_e32 v4, v4
	v_cvt_f32_f16_e32 v5, v5
	v_cvt_f32_f16_e32 v6, v6
	v_cvt_f32_f16_e32 v7, v7
	;; [unrolled: 19-line block ×3, first 2 shown]
	s_nop 1
	v_mfma_f32_16x16x16_f16 v[4:7], v[34:35], v[18:19], v[4:7]
	s_nop 7
	v_cvt_f16_f32_e32 v6, v6
	v_cvt_f16_f32_e32 v7, v7
	v_perm_b32 v32, v7, v6, s1
	ds_read_u16 v6, v156 offset:64
	ds_read_u16 v7, v156 offset:336
	;; [unrolled: 1-line block ×4, first 2 shown]
	s_waitcnt lgkmcnt(2)
	v_perm_b32 v6, v7, v6, s1
	s_waitcnt lgkmcnt(0)
	v_perm_b32 v7, v35, v34, s1
	s_nop 1
	v_mfma_f32_16x16x16_f16 v[6:9], v[6:7], v[26:27], v[40:43]
	ds_read_u16 v34, v156 offset:4416
	ds_read_u16 v35, v156 offset:4688
	;; [unrolled: 1-line block ×4, first 2 shown]
	v_cvt_f32_f16_sdwa v41, v11 dst_sel:DWORD dst_unused:UNUSED_PAD src0_sel:WORD_1
	v_cvt_f32_f16_e32 v42, v10
	s_nop 1
	v_cvt_f16_f32_e32 v6, v6
	v_cvt_f16_f32_e32 v7, v7
	;; [unrolled: 1-line block ×4, first 2 shown]
	s_waitcnt lgkmcnt(2)
	v_perm_b32 v34, v35, v34, s1
	s_waitcnt lgkmcnt(0)
	v_perm_b32 v35, v40, v38, s1
	v_cvt_f32_f16_e32 v6, v6
	v_cvt_f32_f16_e32 v7, v7
	;; [unrolled: 1-line block ×4, first 2 shown]
	v_cvt_f32_f16_sdwa v43, v10 dst_sel:DWORD dst_unused:UNUSED_PAD src0_sel:WORD_1
	s_nop 0
	v_mfma_f32_16x16x16_f16 v[6:9], v[34:35], v[24:25], v[6:9]
	ds_read_u16 v34, v156 offset:8768
	ds_read_u16 v35, v156 offset:9040
	;; [unrolled: 1-line block ×4, first 2 shown]
	s_nop 3
	v_cvt_f16_f32_e32 v6, v6
	v_cvt_f16_f32_e32 v7, v7
	;; [unrolled: 1-line block ×4, first 2 shown]
	s_waitcnt lgkmcnt(2)
	v_perm_b32 v34, v35, v34, s1
	s_waitcnt lgkmcnt(0)
	v_perm_b32 v35, v40, v38, s1
	v_cvt_f32_f16_e32 v6, v6
	v_cvt_f32_f16_e32 v7, v7
	;; [unrolled: 1-line block ×4, first 2 shown]
	s_nop 1
	v_mfma_f32_16x16x16_f16 v[6:9], v[34:35], v[22:23], v[6:9]
	ds_read_u16 v34, v156 offset:13120
	ds_read_u16 v35, v156 offset:13392
	;; [unrolled: 1-line block ×4, first 2 shown]
	s_nop 3
	v_cvt_f16_f32_e32 v6, v6
	v_cvt_f16_f32_e32 v7, v7
	;; [unrolled: 1-line block ×4, first 2 shown]
	s_waitcnt lgkmcnt(2)
	v_perm_b32 v34, v35, v34, s1
	s_waitcnt lgkmcnt(0)
	v_perm_b32 v35, v40, v38, s1
	v_cvt_f32_f16_e32 v6, v6
	v_cvt_f32_f16_e32 v7, v7
	;; [unrolled: 1-line block ×5, first 2 shown]
	s_nop 0
	v_mfma_f32_16x16x16_f16 v[6:9], v[34:35], v[18:19], v[6:9]
	s_nop 7
	v_cvt_f16_f32_e32 v8, v8
	v_cvt_f16_f32_e32 v9, v9
	v_perm_b32 v34, v9, v8, s1
	ds_read_u16 v8, v156 offset:96
	ds_read_u16 v9, v156 offset:368
	;; [unrolled: 1-line block ×4, first 2 shown]
	s_waitcnt lgkmcnt(2)
	v_perm_b32 v8, v9, v8, s1
	s_waitcnt lgkmcnt(0)
	v_perm_b32 v9, v38, v35, s1
	s_nop 1
	v_mfma_f32_16x16x16_f16 v[8:11], v[8:9], v[26:27], v[40:43]
	ds_read_u16 v35, v156 offset:4448
	ds_read_u16 v38, v156 offset:4720
	s_nop 0
	ds_read_u16 v41, v156 offset:4992
	ds_read_u16 v42, v39 offset:4448
	v_cvt_f32_f16_sdwa v43, v12 dst_sel:DWORD dst_unused:UNUSED_PAD src0_sel:WORD_1
	s_nop 1
	v_cvt_f16_f32_e32 v8, v8
	v_cvt_f16_f32_e32 v9, v9
	v_cvt_f16_f32_e32 v10, v10
	v_cvt_f16_f32_e32 v11, v11
	s_waitcnt lgkmcnt(2)
	v_perm_b32 v40, v38, v35, s1
	s_waitcnt lgkmcnt(0)
	v_perm_b32 v41, v42, v41, s1
	v_cvt_f32_f16_e32 v8, v8
	v_cvt_f32_f16_e32 v9, v9
	;; [unrolled: 1-line block ×4, first 2 shown]
	s_nop 1
	v_mfma_f32_16x16x16_f16 v[8:11], v[40:41], v[24:25], v[8:11]
	ds_read_u16 v35, v156 offset:8800
	ds_read_u16 v38, v156 offset:9072
	;; [unrolled: 1-line block ×4, first 2 shown]
	s_nop 3
	v_cvt_f16_f32_e32 v8, v8
	v_cvt_f16_f32_e32 v9, v9
	;; [unrolled: 1-line block ×4, first 2 shown]
	s_waitcnt lgkmcnt(2)
	v_perm_b32 v40, v38, v35, s1
	s_waitcnt lgkmcnt(0)
	v_perm_b32 v41, v42, v41, s1
	v_cvt_f32_f16_e32 v8, v8
	v_cvt_f32_f16_e32 v9, v9
	v_cvt_f32_f16_e32 v10, v10
	v_cvt_f32_f16_e32 v11, v11
	s_nop 1
	v_mfma_f32_16x16x16_f16 v[8:11], v[40:41], v[22:23], v[8:11]
	ds_read_u16 v35, v156 offset:13152
	ds_read_u16 v38, v156 offset:13424
	;; [unrolled: 1-line block ×4, first 2 shown]
	s_nop 3
	v_cvt_f16_f32_e32 v8, v8
	v_cvt_f16_f32_e32 v9, v9
	;; [unrolled: 1-line block ×4, first 2 shown]
	s_waitcnt lgkmcnt(2)
	v_perm_b32 v40, v38, v35, s1
	s_waitcnt lgkmcnt(0)
	v_perm_b32 v41, v42, v41, s1
	v_cvt_f32_f16_e32 v8, v8
	v_cvt_f32_f16_e32 v9, v9
	;; [unrolled: 1-line block ×5, first 2 shown]
	s_nop 0
	v_mfma_f32_16x16x16_f16 v[8:11], v[40:41], v[18:19], v[8:11]
	v_cvt_f32_f16_e32 v40, v13
	v_cvt_f32_f16_sdwa v41, v13 dst_sel:DWORD dst_unused:UNUSED_PAD src0_sel:WORD_1
	s_nop 5
	v_cvt_f16_f32_e32 v10, v10
	v_cvt_f16_f32_e32 v11, v11
	v_perm_b32 v35, v11, v10, s1
	ds_read_u16 v10, v156 offset:128
	ds_read_u16 v11, v156 offset:400
	ds_read_u16 v38, v156 offset:672
	ds_read_u16 v44, v39 offset:128
	s_waitcnt lgkmcnt(2)
	v_perm_b32 v10, v11, v10, s1
	s_waitcnt lgkmcnt(0)
	v_perm_b32 v11, v44, v38, s1
	s_nop 1
	v_mfma_f32_16x16x16_f16 v[10:13], v[10:11], v[26:27], v[40:43]
	ds_read_u16 v38, v156 offset:4480
	s_nop 1
	ds_read_u16 v40, v156 offset:4752
	ds_read_u16 v41, v156 offset:5024
	;; [unrolled: 1-line block ×3, first 2 shown]
	v_cvt_f32_f16_sdwa v43, v14 dst_sel:DWORD dst_unused:UNUSED_PAD src0_sel:WORD_1
	s_nop 0
	v_cvt_f16_f32_e32 v10, v10
	v_cvt_f16_f32_e32 v11, v11
	;; [unrolled: 1-line block ×4, first 2 shown]
	s_waitcnt lgkmcnt(2)
	v_perm_b32 v40, v40, v38, s1
	s_waitcnt lgkmcnt(0)
	v_perm_b32 v41, v42, v41, s1
	v_cvt_f32_f16_e32 v10, v10
	v_cvt_f32_f16_e32 v11, v11
	;; [unrolled: 1-line block ×4, first 2 shown]
	s_nop 1
	v_mfma_f32_16x16x16_f16 v[10:13], v[40:41], v[24:25], v[10:13]
	ds_read_u16 v38, v156 offset:8832
	ds_read_u16 v40, v156 offset:9104
	;; [unrolled: 1-line block ×4, first 2 shown]
	s_nop 3
	v_cvt_f16_f32_e32 v10, v10
	v_cvt_f16_f32_e32 v11, v11
	;; [unrolled: 1-line block ×4, first 2 shown]
	s_waitcnt lgkmcnt(2)
	v_perm_b32 v40, v40, v38, s1
	s_waitcnt lgkmcnt(0)
	v_perm_b32 v41, v42, v41, s1
	v_cvt_f32_f16_e32 v10, v10
	v_cvt_f32_f16_e32 v11, v11
	;; [unrolled: 1-line block ×4, first 2 shown]
	s_nop 1
	v_mfma_f32_16x16x16_f16 v[10:13], v[40:41], v[22:23], v[10:13]
	ds_read_u16 v38, v156 offset:13184
	ds_read_u16 v40, v156 offset:13456
	;; [unrolled: 1-line block ×4, first 2 shown]
	s_nop 3
	v_cvt_f16_f32_e32 v10, v10
	v_cvt_f16_f32_e32 v11, v11
	v_cvt_f16_f32_e32 v12, v12
	v_cvt_f16_f32_e32 v13, v13
	s_waitcnt lgkmcnt(2)
	v_perm_b32 v40, v40, v38, s1
	s_waitcnt lgkmcnt(0)
	v_perm_b32 v41, v42, v41, s1
	v_cvt_f32_f16_e32 v10, v10
	v_cvt_f32_f16_e32 v11, v11
	;; [unrolled: 1-line block ×5, first 2 shown]
	s_nop 0
	v_mfma_f32_16x16x16_f16 v[10:13], v[40:41], v[18:19], v[10:13]
	v_cvt_f32_f16_e32 v40, v15
	v_cvt_f32_f16_sdwa v41, v15 dst_sel:DWORD dst_unused:UNUSED_PAD src0_sel:WORD_1
	s_nop 5
	v_cvt_f16_f32_e32 v12, v12
	v_cvt_f16_f32_e32 v13, v13
	v_perm_b32 v38, v13, v12, s1
	ds_read_u16 v12, v156 offset:160
	ds_read_u16 v13, v156 offset:432
	;; [unrolled: 1-line block ×4, first 2 shown]
	s_waitcnt lgkmcnt(2)
	v_perm_b32 v12, v13, v12, s1
	s_waitcnt lgkmcnt(0)
	v_perm_b32 v13, v45, v44, s1
	v_cvt_f32_f16_e32 v44, v16
	s_nop 0
	v_mfma_f32_16x16x16_f16 v[12:15], v[12:13], v[26:27], v[40:43]
	s_nop 2
	ds_read_u16 v40, v156 offset:4512
	ds_read_u16 v41, v156 offset:4784
	;; [unrolled: 1-line block ×4, first 2 shown]
	v_cvt_f32_f16_sdwa v45, v16 dst_sel:DWORD dst_unused:UNUSED_PAD src0_sel:WORD_1
	v_cvt_f16_f32_e32 v12, v12
	v_cvt_f16_f32_e32 v13, v13
	;; [unrolled: 1-line block ×4, first 2 shown]
	s_waitcnt lgkmcnt(2)
	v_perm_b32 v40, v41, v40, s1
	s_waitcnt lgkmcnt(0)
	v_perm_b32 v41, v43, v42, s1
	v_cvt_f32_f16_e32 v12, v12
	v_cvt_f32_f16_e32 v13, v13
	;; [unrolled: 1-line block ×4, first 2 shown]
	s_nop 1
	v_mfma_f32_16x16x16_f16 v[12:15], v[40:41], v[24:25], v[12:15]
	ds_read_u16 v40, v156 offset:8864
	ds_read_u16 v41, v156 offset:9136
	;; [unrolled: 1-line block ×4, first 2 shown]
	s_nop 3
	v_cvt_f16_f32_e32 v12, v12
	v_cvt_f16_f32_e32 v13, v13
	;; [unrolled: 1-line block ×4, first 2 shown]
	s_waitcnt lgkmcnt(2)
	v_perm_b32 v40, v41, v40, s1
	s_waitcnt lgkmcnt(0)
	v_perm_b32 v41, v43, v42, s1
	v_cvt_f32_f16_e32 v12, v12
	v_cvt_f32_f16_e32 v13, v13
	;; [unrolled: 1-line block ×4, first 2 shown]
	s_nop 1
	v_mfma_f32_16x16x16_f16 v[12:15], v[40:41], v[22:23], v[12:15]
	ds_read_u16 v40, v156 offset:13216
	ds_read_u16 v41, v156 offset:13488
	;; [unrolled: 1-line block ×4, first 2 shown]
	s_nop 3
	v_cvt_f16_f32_e32 v12, v12
	v_cvt_f16_f32_e32 v13, v13
	;; [unrolled: 1-line block ×4, first 2 shown]
	s_waitcnt lgkmcnt(2)
	v_perm_b32 v40, v41, v40, s1
	s_waitcnt lgkmcnt(0)
	v_perm_b32 v41, v43, v42, s1
	v_cvt_f32_f16_e32 v12, v12
	v_cvt_f32_f16_e32 v13, v13
	;; [unrolled: 1-line block ×5, first 2 shown]
	v_cvt_f32_f16_sdwa v43, v17 dst_sel:DWORD dst_unused:UNUSED_PAD src0_sel:WORD_1
	v_mfma_f32_16x16x16_f16 v[12:15], v[40:41], v[18:19], v[12:15]
	s_nop 7
	v_cvt_f16_f32_e32 v14, v14
	v_cvt_f16_f32_e32 v15, v15
	v_perm_b32 v40, v15, v14, s1
	ds_read_u16 v14, v156 offset:192
	ds_read_u16 v15, v156 offset:464
	;; [unrolled: 1-line block ×4, first 2 shown]
	s_waitcnt lgkmcnt(2)
	v_perm_b32 v14, v15, v14, s1
	s_waitcnt lgkmcnt(0)
	v_perm_b32 v15, v46, v41, s1
	s_nop 1
	v_mfma_f32_16x16x16_f16 v[14:17], v[14:15], v[26:27], v[42:45]
	ds_read_u16 v41, v156 offset:4544
	s_nop 1
	ds_read_u16 v42, v156 offset:4816
	ds_read_u16 v43, v156 offset:5088
	;; [unrolled: 1-line block ×3, first 2 shown]
	v_cvt_f32_f16_sdwa v45, v36 dst_sel:DWORD dst_unused:UNUSED_PAD src0_sel:WORD_1
	s_nop 0
	v_cvt_f16_f32_e32 v14, v14
	v_cvt_f16_f32_e32 v15, v15
	;; [unrolled: 1-line block ×4, first 2 shown]
	s_waitcnt lgkmcnt(2)
	v_perm_b32 v42, v42, v41, s1
	s_waitcnt lgkmcnt(0)
	v_perm_b32 v43, v44, v43, s1
	v_cvt_f32_f16_e32 v14, v14
	v_cvt_f32_f16_e32 v15, v15
	v_cvt_f32_f16_e32 v16, v16
	v_cvt_f32_f16_e32 v17, v17
	s_nop 1
	v_mfma_f32_16x16x16_f16 v[14:17], v[42:43], v[24:25], v[14:17]
	ds_read_u16 v41, v156 offset:8896
	ds_read_u16 v42, v156 offset:9168
	;; [unrolled: 1-line block ×4, first 2 shown]
	s_nop 3
	v_cvt_f16_f32_e32 v14, v14
	v_cvt_f16_f32_e32 v15, v15
	;; [unrolled: 1-line block ×4, first 2 shown]
	s_waitcnt lgkmcnt(2)
	v_perm_b32 v42, v42, v41, s1
	s_waitcnt lgkmcnt(0)
	v_perm_b32 v43, v44, v43, s1
	v_cvt_f32_f16_e32 v14, v14
	v_cvt_f32_f16_e32 v15, v15
	;; [unrolled: 1-line block ×4, first 2 shown]
	s_nop 1
	v_mfma_f32_16x16x16_f16 v[14:17], v[42:43], v[22:23], v[14:17]
	ds_read_u16 v41, v156 offset:13248
	ds_read_u16 v42, v156 offset:13520
	;; [unrolled: 1-line block ×4, first 2 shown]
	s_nop 3
	v_cvt_f16_f32_e32 v14, v14
	v_cvt_f16_f32_e32 v15, v15
	;; [unrolled: 1-line block ×4, first 2 shown]
	s_waitcnt lgkmcnt(2)
	v_perm_b32 v42, v42, v41, s1
	s_waitcnt lgkmcnt(0)
	v_perm_b32 v43, v44, v43, s1
	v_cvt_f32_f16_e32 v14, v14
	v_cvt_f32_f16_e32 v15, v15
	;; [unrolled: 1-line block ×5, first 2 shown]
	s_nop 0
	v_mfma_f32_16x16x16_f16 v[14:17], v[42:43], v[18:19], v[14:17]
	v_cvt_f32_f16_e32 v42, v37
	v_cvt_f32_f16_sdwa v43, v37 dst_sel:DWORD dst_unused:UNUSED_PAD src0_sel:WORD_1
	s_nop 5
	v_cvt_f16_f32_e32 v16, v16
	v_cvt_f16_f32_e32 v17, v17
	v_perm_b32 v41, v17, v16, s1
	ds_read_u16 v16, v156 offset:224
	ds_read_u16 v17, v156 offset:496
	;; [unrolled: 1-line block ×4, first 2 shown]
	s_waitcnt lgkmcnt(2)
	v_perm_b32 v16, v17, v16, s1
	s_waitcnt lgkmcnt(0)
	v_perm_b32 v17, v47, v46, s1
	ds_read_u16 v36, v156 offset:4576
	ds_read_u16 v37, v156 offset:4848
	;; [unrolled: 1-line block ×4, first 2 shown]
	v_mfma_f32_16x16x16_f16 v[42:45], v[16:17], v[26:27], v[42:45]
	s_nop 7
	v_cvt_f16_f32_e32 v16, v42
	v_cvt_f16_f32_e32 v17, v43
	;; [unrolled: 1-line block ×4, first 2 shown]
	v_cvt_f32_f16_e32 v42, v16
	v_cvt_f32_f16_e32 v43, v17
	s_waitcnt lgkmcnt(2)
	v_perm_b32 v16, v37, v36, s1
	s_waitcnt lgkmcnt(0)
	v_perm_b32 v17, v47, v46, s1
	v_cvt_f32_f16_e32 v44, v26
	v_cvt_f32_f16_e32 v45, v27
	s_nop 1
	v_mfma_f32_16x16x16_f16 v[24:27], v[16:17], v[24:25], v[42:45]
	ds_read_u16 v36, v156 offset:8928
	ds_read_u16 v37, v156 offset:9200
	s_nop 0
	ds_read_u16 v42, v156 offset:9472
	ds_read_u16 v43, v39 offset:8928
	s_nop 2
	v_cvt_f16_f32_e32 v16, v24
	v_cvt_f16_f32_e32 v17, v25
	;; [unrolled: 1-line block ×4, first 2 shown]
	v_cvt_f32_f16_e32 v24, v16
	v_cvt_f32_f16_e32 v25, v17
	s_waitcnt lgkmcnt(2)
	v_perm_b32 v16, v37, v36, s1
	s_waitcnt lgkmcnt(0)
	v_perm_b32 v17, v43, v42, s1
	v_cvt_f32_f16_e32 v26, v26
	v_cvt_f32_f16_e32 v27, v27
	s_nop 1
	v_mfma_f32_16x16x16_f16 v[22:25], v[16:17], v[22:23], v[24:27]
	s_nop 7
	v_cvt_f16_f32_e32 v16, v22
	v_cvt_f16_f32_e32 v17, v23
	;; [unrolled: 1-line block ×4, first 2 shown]
	ds_read_u16 v24, v156 offset:13280
	ds_read_u16 v25, v156 offset:13552
	;; [unrolled: 1-line block ×4, first 2 shown]
	v_cvt_f32_f16_e32 v42, v16
	v_cvt_f32_f16_e32 v43, v17
	s_waitcnt lgkmcnt(2)
	v_perm_b32 v16, v25, v24, s1
	v_cvt_f32_f16_e32 v44, v22
	s_waitcnt lgkmcnt(0)
	v_perm_b32 v17, v27, v26, s1
	v_cvt_f32_f16_e32 v45, v23
	s_barrier
	s_nop 0
	v_mfma_f32_16x16x16_f16 v[16:19], v[16:17], v[18:19], v[42:45]
	s_nop 7
	v_cvt_f16_f32_e32 v18, v18
	v_cvt_f16_f32_e32 v19, v19
	v_perm_b32 v18, v19, v18, s1
	ds_bpermute_b32 v19, v28, v29
	s_waitcnt lgkmcnt(0)
	v_add_f32_e32 v19, v29, v19
	ds_bpermute_b32 v21, v21, v19
	s_waitcnt lgkmcnt(0)
	v_add_f32_e32 v21, v19, v21
	s_cbranch_vccnz .LBB24_254
; %bb.253:                              ;   in Loop: Header=BB24_9 Depth=1
	v_lshlrev_b32_e32 v19, 2, v80
	v_readfirstlane_b32 s34, v104
	v_readfirstlane_b32 s35, v105
	v_cvt_pk_f16_f32 v2, v2, v3
	v_cvt_pk_f16_f32 v3, v4, v5
	;; [unrolled: 1-line block ×3, first 2 shown]
	v_max_f32_e32 v6, v20, v20
	v_cvt_pk_f16_f32 v22, v10, v11
	global_load_dword v19, v19, s[34:35]
	v_cvt_pk_f16_f32 v5, v8, v9
	v_cvt_pk_f16_f32 v12, v12, v13
	;; [unrolled: 1-line block ×4, first 2 shown]
	s_waitcnt vmcnt(0)
	v_max_f32_e32 v7, v19, v19
	v_max_f32_e32 v10, v6, v7
	v_sub_f32_e32 v6, v20, v10
	v_sub_f32_e32 v7, v19, v10
	v_mul_f32_e32 v8, 0x3fb8aa3b, v6
	v_mul_f32_e32 v9, 0x3fb8aa3b, v7
	v_fma_f32 v11, v6, s41, -v8
	v_rndne_f32_e32 v13, v8
	v_fma_f32 v19, v7, s41, -v9
	v_rndne_f32_e32 v20, v9
	v_fmac_f32_e32 v11, 0x32a5705f, v6
	v_sub_f32_e32 v8, v8, v13
	v_fmac_f32_e32 v19, 0x32a5705f, v7
	v_sub_f32_e32 v9, v9, v20
	v_add_f32_e32 v8, v8, v11
	v_cvt_i32_f32_e32 v13, v13
	v_add_f32_e32 v9, v9, v19
	v_exp_f32_e32 v8, v8
	v_cvt_i32_f32_e32 v20, v20
	v_exp_f32_e32 v9, v9
	v_cmp_ngt_f32_e32 vcc, s30, v6
	v_ldexp_f32 v8, v8, v13
	v_ldexp_f32 v9, v9, v20
	v_cndmask_b32_e32 v8, 0, v8, vcc
	v_cmp_ngt_f32_e32 vcc, s30, v7
	s_nop 1
	v_cndmask_b32_e32 v9, 0, v9, vcc
	v_cmp_nlt_f32_e32 vcc, s47, v6
	s_nop 1
	v_cndmask_b32_e32 v8, v232, v8, vcc
	v_cmp_le_f32_e32 vcc, s0, v6
	s_nop 1
	v_cndmask_b32_e32 v6, 0, v8, vcc
	v_cvt_f16_f32_e32 v8, v6
	v_cmp_nlt_f32_e32 vcc, s47, v7
	v_mul_u32_u24_e32 v13, 0x10001, v8
	s_nop 0
	v_cndmask_b32_e32 v11, v232, v9, vcc
	v_fmac_f32_e32 v11, v21, v6
	v_pk_mul_f16 v9, v2, v13
	v_pk_mul_f16 v30, v30, v13
	;; [unrolled: 1-line block ×16, first 2 shown]
	v_mov_b64_e32 v[20:21], v[10:11]
	s_branch .LBB24_255
.LBB24_254:                             ;   in Loop: Header=BB24_9 Depth=1
	v_cvt_f16_f32_e32 v19, v2
	v_cvt_f16_f32_e32 v22, v3
	;; [unrolled: 1-line block ×16, first 2 shown]
	v_perm_b32 v2, v9, v2, s1
	v_perm_b32 v3, v10, v3, s1
	v_perm_b32 v4, v12, v4, s1
	v_perm_b32 v5, v11, v5, s1
	v_perm_b32 v6, v8, v6, s1
	v_perm_b32 v7, v7, v25, s1
	v_perm_b32 v8, v24, v23, s1
	v_perm_b32 v9, v22, v19, s1
.LBB24_255:                             ;   in Loop: Header=BB24_9 Depth=1
	s_mov_b64 s[34:35], exec
	v_readlane_b32 s56, v255, 16
	v_readlane_b32 s57, v255, 17
	s_and_b64 s[56:57], s[34:35], s[56:57]
	s_mov_b64 exec, s[56:57]
; %bb.256:                              ;   in Loop: Header=BB24_9 Depth=1
	ds_write2_b32 v203, v20, v21 offset0:64 offset1:65
; %bb.257:                              ;   in Loop: Header=BB24_9 Depth=1
	s_or_b64 exec, exec, s[34:35]
	v_add_u32_e32 v10, v152, v165
	s_waitcnt lgkmcnt(0)
	s_barrier
	ds_write2_b32 v10, v9, v30 offset1:1
	ds_write2_b32 v10, v8, v32 offset0:8 offset1:9
	ds_write2_b32 v10, v7, v34 offset0:16 offset1:17
	;; [unrolled: 1-line block ×7, first 2 shown]
	v_mov_b32_e32 v2, 50
	s_waitcnt lgkmcnt(0)
	s_barrier
	s_and_saveexec_b64 s[56:57], s[98:99]
	s_cbranch_execz .LBB24_259
; %bb.258:                              ;   in Loop: Header=BB24_9 Depth=1
	ds_read_b32 v6, v170 offset:260
	ds_read_b32 v4, v171
	v_mad_u64_u32 v[2:3], s[34:35], v233, s25, v[50:51]
	v_lshl_add_u32 v2, v2, 6, v52
	v_ashrrev_i32_e32 v3, 31, v2
	s_waitcnt lgkmcnt(0)
	v_cvt_f32_f16_sdwa v5, v4 dst_sel:DWORD dst_unused:UNUSED_PAD src0_sel:WORD_1
	v_cvt_f32_f16_e32 v4, v4
	v_lshl_add_u64 v[2:3], v[2:3], 3, v[102:103]
	v_pk_add_f32 v[4:5], v[4:5], 0 op_sel_hi:[1,0]
	s_nop 0
	v_div_scale_f32 v7, s[34:35], v6, v6, v5
	v_rcp_f32_e32 v8, v7
	s_nop 0
	v_fma_f32 v9, -v7, v8, 1.0
	v_fmac_f32_e32 v8, v9, v8
	v_div_scale_f32 v9, vcc, v5, v6, v5
	v_mul_f32_e32 v10, v9, v8
	v_fma_f32 v11, -v7, v10, v9
	v_fmac_f32_e32 v10, v11, v8
	v_fma_f32 v7, -v7, v10, v9
	v_div_fmas_f32 v7, v7, v8, v10
	v_div_fixup_f32 v5, v7, v6, v5
	v_div_scale_f32 v7, s[34:35], v6, v6, v4
	v_rcp_f32_e32 v8, v7
	s_nop 0
	v_fma_f32 v9, -v7, v8, 1.0
	v_fmac_f32_e32 v8, v9, v8
	v_div_scale_f32 v9, vcc, v4, v6, v4
	v_mul_f32_e32 v10, v9, v8
	v_fma_f32 v11, -v7, v10, v9
	v_fmac_f32_e32 v10, v11, v8
	v_fma_f32 v7, -v7, v10, v9
	v_div_fmas_f32 v7, v7, v8, v10
	v_div_fixup_f32 v4, v7, v6, v4
	global_store_dwordx2 v[2:3], v[4:5], off
	v_mov_b32_e32 v2, 0
.LBB24_259:                             ;   in Loop: Header=BB24_9 Depth=1
	s_or_b64 exec, exec, s[56:57]
	v_cmp_gt_i32_e32 vcc, 50, v2
	s_mov_b64 s[56:57], -1
	s_and_saveexec_b64 s[34:35], vcc
; %bb.260:                              ;   in Loop: Header=BB24_9 Depth=1
	v_cmp_eq_u32_e32 vcc, 0, v2
	s_orn2_b64 s[56:57], vcc, exec
; %bb.261:                              ;   in Loop: Header=BB24_9 Depth=1
	s_or_b64 exec, exec, s[34:35]
                                        ; implicit-def: $vgpr2_vgpr3
	s_and_saveexec_b64 s[98:99], s[56:57]
	s_cbranch_execz .LBB24_349
; %bb.262:                              ;   in Loop: Header=BB24_9 Depth=1
	v_mov_b32_e32 v2, 50
	s_and_saveexec_b64 s[56:57], s[96:97]
	s_cbranch_execz .LBB24_264
; %bb.263:                              ;   in Loop: Header=BB24_9 Depth=1
	ds_read_b32 v6, v172 offset:260
	ds_read_b32 v4, v173
	v_mad_u64_u32 v[2:3], s[34:35], v236, s25, v[50:51]
	v_lshl_add_u32 v2, v2, 6, v52
	v_ashrrev_i32_e32 v3, 31, v2
	s_waitcnt lgkmcnt(0)
	v_cvt_f32_f16_sdwa v5, v4 dst_sel:DWORD dst_unused:UNUSED_PAD src0_sel:WORD_1
	v_cvt_f32_f16_e32 v4, v4
	v_lshl_add_u64 v[2:3], v[2:3], 3, v[102:103]
	v_pk_add_f32 v[4:5], v[4:5], 0 op_sel_hi:[1,0]
	s_nop 0
	v_div_scale_f32 v7, s[34:35], v6, v6, v5
	v_rcp_f32_e32 v8, v7
	s_nop 0
	v_fma_f32 v9, -v7, v8, 1.0
	v_fmac_f32_e32 v8, v9, v8
	v_div_scale_f32 v9, vcc, v5, v6, v5
	v_mul_f32_e32 v10, v9, v8
	v_fma_f32 v11, -v7, v10, v9
	v_fmac_f32_e32 v10, v11, v8
	v_fma_f32 v7, -v7, v10, v9
	v_div_fmas_f32 v7, v7, v8, v10
	v_div_fixup_f32 v5, v7, v6, v5
	v_div_scale_f32 v7, s[34:35], v6, v6, v4
	v_rcp_f32_e32 v8, v7
	s_nop 0
	v_fma_f32 v9, -v7, v8, 1.0
	v_fmac_f32_e32 v8, v9, v8
	v_div_scale_f32 v9, vcc, v4, v6, v4
	v_mul_f32_e32 v10, v9, v8
	v_fma_f32 v11, -v7, v10, v9
	v_fmac_f32_e32 v10, v11, v8
	v_fma_f32 v7, -v7, v10, v9
	v_div_fmas_f32 v7, v7, v8, v10
	v_div_fixup_f32 v4, v7, v6, v4
	global_store_dwordx2 v[2:3], v[4:5], off
	v_mov_b32_e32 v2, 0
.LBB24_264:                             ;   in Loop: Header=BB24_9 Depth=1
	s_or_b64 exec, exec, s[56:57]
	v_cmp_gt_i32_e32 vcc, 50, v2
	s_mov_b64 s[34:35], -1
	s_and_saveexec_b64 s[56:57], vcc
; %bb.265:                              ;   in Loop: Header=BB24_9 Depth=1
	v_cmp_eq_u32_e32 vcc, 0, v2
	s_orn2_b64 s[34:35], vcc, exec
; %bb.266:                              ;   in Loop: Header=BB24_9 Depth=1
	s_or_b64 exec, exec, s[56:57]
	s_mov_b64 s[56:57], s[6:7]
                                        ; implicit-def: $vgpr2_vgpr3
	s_and_saveexec_b64 s[96:97], s[34:35]
	s_cbranch_execz .LBB24_348
; %bb.267:                              ;   in Loop: Header=BB24_9 Depth=1
	v_mov_b32_e32 v2, 50
	s_and_saveexec_b64 s[56:57], s[94:95]
	s_cbranch_execz .LBB24_269
; %bb.268:                              ;   in Loop: Header=BB24_9 Depth=1
	ds_read_b32 v6, v174 offset:260
	ds_read_b32 v4, v175
	v_mad_u64_u32 v[2:3], s[34:35], v235, s25, v[50:51]
	v_lshl_add_u32 v2, v2, 6, v52
	v_ashrrev_i32_e32 v3, 31, v2
	s_waitcnt lgkmcnt(0)
	v_cvt_f32_f16_sdwa v5, v4 dst_sel:DWORD dst_unused:UNUSED_PAD src0_sel:WORD_1
	v_cvt_f32_f16_e32 v4, v4
	v_lshl_add_u64 v[2:3], v[2:3], 3, v[102:103]
	v_pk_add_f32 v[4:5], v[4:5], 0 op_sel_hi:[1,0]
	s_nop 0
	v_div_scale_f32 v7, s[34:35], v6, v6, v5
	v_rcp_f32_e32 v8, v7
	s_nop 0
	v_fma_f32 v9, -v7, v8, 1.0
	v_fmac_f32_e32 v8, v9, v8
	v_div_scale_f32 v9, vcc, v5, v6, v5
	v_mul_f32_e32 v10, v9, v8
	v_fma_f32 v11, -v7, v10, v9
	v_fmac_f32_e32 v10, v11, v8
	v_fma_f32 v7, -v7, v10, v9
	v_div_fmas_f32 v7, v7, v8, v10
	v_div_fixup_f32 v5, v7, v6, v5
	v_div_scale_f32 v7, s[34:35], v6, v6, v4
	v_rcp_f32_e32 v8, v7
	s_nop 0
	v_fma_f32 v9, -v7, v8, 1.0
	v_fmac_f32_e32 v8, v9, v8
	v_div_scale_f32 v9, vcc, v4, v6, v4
	v_mul_f32_e32 v10, v9, v8
	v_fma_f32 v11, -v7, v10, v9
	v_fmac_f32_e32 v10, v11, v8
	v_fma_f32 v7, -v7, v10, v9
	v_div_fmas_f32 v7, v7, v8, v10
	v_div_fixup_f32 v4, v7, v6, v4
	global_store_dwordx2 v[2:3], v[4:5], off
	v_mov_b32_e32 v2, 0
.LBB24_269:                             ;   in Loop: Header=BB24_9 Depth=1
	s_or_b64 exec, exec, s[56:57]
	v_cmp_gt_i32_e32 vcc, 50, v2
	s_mov_b64 s[34:35], -1
	s_and_saveexec_b64 s[56:57], vcc
; %bb.270:                              ;   in Loop: Header=BB24_9 Depth=1
	v_cmp_eq_u32_e32 vcc, 0, v2
	s_orn2_b64 s[34:35], vcc, exec
; %bb.271:                              ;   in Loop: Header=BB24_9 Depth=1
	s_or_b64 exec, exec, s[56:57]
	s_mov_b64 s[56:57], s[6:7]
                                        ; implicit-def: $vgpr2_vgpr3
	s_and_saveexec_b64 s[94:95], s[34:35]
	s_cbranch_execz .LBB24_347
; %bb.272:                              ;   in Loop: Header=BB24_9 Depth=1
	v_mov_b32_e32 v2, 50
	s_and_saveexec_b64 s[56:57], s[92:93]
	s_cbranch_execz .LBB24_274
; %bb.273:                              ;   in Loop: Header=BB24_9 Depth=1
	ds_read_b32 v6, v176 offset:260
	ds_read_b32 v4, v177
	v_mad_u64_u32 v[2:3], s[34:35], v133, s25, v[50:51]
	v_lshl_add_u32 v2, v2, 6, v52
	v_ashrrev_i32_e32 v3, 31, v2
	s_waitcnt lgkmcnt(0)
	v_cvt_f32_f16_sdwa v5, v4 dst_sel:DWORD dst_unused:UNUSED_PAD src0_sel:WORD_1
	v_cvt_f32_f16_e32 v4, v4
	v_lshl_add_u64 v[2:3], v[2:3], 3, v[102:103]
	v_pk_add_f32 v[4:5], v[4:5], 0 op_sel_hi:[1,0]
	s_nop 0
	v_div_scale_f32 v7, s[34:35], v6, v6, v5
	v_rcp_f32_e32 v8, v7
	s_nop 0
	v_fma_f32 v9, -v7, v8, 1.0
	v_fmac_f32_e32 v8, v9, v8
	v_div_scale_f32 v9, vcc, v5, v6, v5
	v_mul_f32_e32 v10, v9, v8
	v_fma_f32 v11, -v7, v10, v9
	v_fmac_f32_e32 v10, v11, v8
	v_fma_f32 v7, -v7, v10, v9
	v_div_fmas_f32 v7, v7, v8, v10
	v_div_fixup_f32 v5, v7, v6, v5
	v_div_scale_f32 v7, s[34:35], v6, v6, v4
	v_rcp_f32_e32 v8, v7
	s_nop 0
	v_fma_f32 v9, -v7, v8, 1.0
	v_fmac_f32_e32 v8, v9, v8
	v_div_scale_f32 v9, vcc, v4, v6, v4
	v_mul_f32_e32 v10, v9, v8
	v_fma_f32 v11, -v7, v10, v9
	v_fmac_f32_e32 v10, v11, v8
	v_fma_f32 v7, -v7, v10, v9
	v_div_fmas_f32 v7, v7, v8, v10
	v_div_fixup_f32 v4, v7, v6, v4
	global_store_dwordx2 v[2:3], v[4:5], off
	v_mov_b32_e32 v2, 0
.LBB24_274:                             ;   in Loop: Header=BB24_9 Depth=1
	s_or_b64 exec, exec, s[56:57]
	v_cmp_gt_i32_e32 vcc, 50, v2
	s_mov_b64 s[34:35], -1
	s_and_saveexec_b64 s[56:57], vcc
; %bb.275:                              ;   in Loop: Header=BB24_9 Depth=1
	v_cmp_eq_u32_e32 vcc, 0, v2
	s_orn2_b64 s[34:35], vcc, exec
; %bb.276:                              ;   in Loop: Header=BB24_9 Depth=1
	s_or_b64 exec, exec, s[56:57]
	s_mov_b64 s[56:57], s[6:7]
                                        ; implicit-def: $vgpr2_vgpr3
	s_and_saveexec_b64 s[92:93], s[34:35]
	s_cbranch_execz .LBB24_346
; %bb.277:                              ;   in Loop: Header=BB24_9 Depth=1
	v_mov_b32_e32 v2, 50
	s_and_saveexec_b64 s[56:57], s[90:91]
	s_cbranch_execz .LBB24_279
; %bb.278:                              ;   in Loop: Header=BB24_9 Depth=1
	ds_read_b32 v6, v166 offset:260
	ds_read_b32 v4, v178
	v_mad_u64_u32 v[2:3], s[34:35], v132, s25, v[50:51]
	v_lshl_add_u32 v2, v2, 6, v52
	v_ashrrev_i32_e32 v3, 31, v2
	s_waitcnt lgkmcnt(0)
	v_cvt_f32_f16_sdwa v5, v4 dst_sel:DWORD dst_unused:UNUSED_PAD src0_sel:WORD_1
	v_cvt_f32_f16_e32 v4, v4
	v_lshl_add_u64 v[2:3], v[2:3], 3, v[102:103]
	v_pk_add_f32 v[4:5], v[4:5], 0 op_sel_hi:[1,0]
	s_nop 0
	v_div_scale_f32 v7, s[34:35], v6, v6, v5
	v_rcp_f32_e32 v8, v7
	s_nop 0
	v_fma_f32 v9, -v7, v8, 1.0
	v_fmac_f32_e32 v8, v9, v8
	v_div_scale_f32 v9, vcc, v5, v6, v5
	v_mul_f32_e32 v10, v9, v8
	v_fma_f32 v11, -v7, v10, v9
	v_fmac_f32_e32 v10, v11, v8
	v_fma_f32 v7, -v7, v10, v9
	v_div_fmas_f32 v7, v7, v8, v10
	v_div_fixup_f32 v5, v7, v6, v5
	v_div_scale_f32 v7, s[34:35], v6, v6, v4
	v_rcp_f32_e32 v8, v7
	s_nop 0
	v_fma_f32 v9, -v7, v8, 1.0
	v_fmac_f32_e32 v8, v9, v8
	v_div_scale_f32 v9, vcc, v4, v6, v4
	v_mul_f32_e32 v10, v9, v8
	v_fma_f32 v11, -v7, v10, v9
	v_fmac_f32_e32 v10, v11, v8
	v_fma_f32 v7, -v7, v10, v9
	v_div_fmas_f32 v7, v7, v8, v10
	v_div_fixup_f32 v4, v7, v6, v4
	global_store_dwordx2 v[2:3], v[4:5], off
	v_mov_b32_e32 v2, 0
.LBB24_279:                             ;   in Loop: Header=BB24_9 Depth=1
	s_or_b64 exec, exec, s[56:57]
	v_cmp_gt_i32_e32 vcc, 50, v2
	s_mov_b64 s[34:35], -1
	s_and_saveexec_b64 s[56:57], vcc
; %bb.280:                              ;   in Loop: Header=BB24_9 Depth=1
	v_cmp_eq_u32_e32 vcc, 0, v2
	s_orn2_b64 s[34:35], vcc, exec
; %bb.281:                              ;   in Loop: Header=BB24_9 Depth=1
	s_or_b64 exec, exec, s[56:57]
	s_mov_b64 s[90:91], s[6:7]
                                        ; implicit-def: $vgpr2_vgpr3
	s_and_saveexec_b64 s[56:57], s[34:35]
	s_cbranch_execz .LBB24_345
; %bb.282:                              ;   in Loop: Header=BB24_9 Depth=1
	v_mov_b32_e32 v2, 50
	s_and_saveexec_b64 s[90:91], s[88:89]
	s_cbranch_execz .LBB24_284
; %bb.283:                              ;   in Loop: Header=BB24_9 Depth=1
	ds_read_b32 v6, v179 offset:260
	ds_read_b32 v4, v180
	v_mad_u64_u32 v[2:3], s[34:35], v131, s25, v[50:51]
	v_lshl_add_u32 v2, v2, 6, v52
	v_ashrrev_i32_e32 v3, 31, v2
	s_waitcnt lgkmcnt(0)
	v_cvt_f32_f16_sdwa v5, v4 dst_sel:DWORD dst_unused:UNUSED_PAD src0_sel:WORD_1
	v_cvt_f32_f16_e32 v4, v4
	v_lshl_add_u64 v[2:3], v[2:3], 3, v[102:103]
	v_pk_add_f32 v[4:5], v[4:5], 0 op_sel_hi:[1,0]
	s_nop 0
	v_div_scale_f32 v7, s[34:35], v6, v6, v5
	v_rcp_f32_e32 v8, v7
	s_nop 0
	v_fma_f32 v9, -v7, v8, 1.0
	v_fmac_f32_e32 v8, v9, v8
	v_div_scale_f32 v9, vcc, v5, v6, v5
	v_mul_f32_e32 v10, v9, v8
	v_fma_f32 v11, -v7, v10, v9
	v_fmac_f32_e32 v10, v11, v8
	v_fma_f32 v7, -v7, v10, v9
	v_div_fmas_f32 v7, v7, v8, v10
	v_div_fixup_f32 v5, v7, v6, v5
	v_div_scale_f32 v7, s[34:35], v6, v6, v4
	v_rcp_f32_e32 v8, v7
	s_nop 0
	v_fma_f32 v9, -v7, v8, 1.0
	v_fmac_f32_e32 v8, v9, v8
	v_div_scale_f32 v9, vcc, v4, v6, v4
	v_mul_f32_e32 v10, v9, v8
	v_fma_f32 v11, -v7, v10, v9
	v_fmac_f32_e32 v10, v11, v8
	v_fma_f32 v7, -v7, v10, v9
	v_div_fmas_f32 v7, v7, v8, v10
	v_div_fixup_f32 v4, v7, v6, v4
	global_store_dwordx2 v[2:3], v[4:5], off
	v_mov_b32_e32 v2, 0
.LBB24_284:                             ;   in Loop: Header=BB24_9 Depth=1
	s_or_b64 exec, exec, s[90:91]
	v_cmp_gt_i32_e32 vcc, 50, v2
	s_mov_b64 s[34:35], -1
	s_and_saveexec_b64 s[88:89], vcc
; %bb.285:                              ;   in Loop: Header=BB24_9 Depth=1
	v_cmp_eq_u32_e32 vcc, 0, v2
	s_orn2_b64 s[34:35], vcc, exec
; %bb.286:                              ;   in Loop: Header=BB24_9 Depth=1
	s_or_b64 exec, exec, s[88:89]
	s_mov_b64 s[90:91], s[6:7]
                                        ; implicit-def: $vgpr2_vgpr3
	s_and_saveexec_b64 s[88:89], s[34:35]
	s_cbranch_execz .LBB24_344
; %bb.287:                              ;   in Loop: Header=BB24_9 Depth=1
	v_mov_b32_e32 v2, 50
	s_and_saveexec_b64 s[90:91], s[86:87]
	s_cbranch_execz .LBB24_289
; %bb.288:                              ;   in Loop: Header=BB24_9 Depth=1
	ds_read_b32 v6, v181 offset:260
	ds_read_b32 v4, v202
	v_mad_u64_u32 v[2:3], s[34:35], v130, s25, v[50:51]
	v_lshl_add_u32 v2, v2, 6, v52
	v_ashrrev_i32_e32 v3, 31, v2
	s_waitcnt lgkmcnt(0)
	v_cvt_f32_f16_sdwa v5, v4 dst_sel:DWORD dst_unused:UNUSED_PAD src0_sel:WORD_1
	v_cvt_f32_f16_e32 v4, v4
	v_lshl_add_u64 v[2:3], v[2:3], 3, v[102:103]
	v_pk_add_f32 v[4:5], v[4:5], 0 op_sel_hi:[1,0]
	s_nop 0
	v_div_scale_f32 v7, s[34:35], v6, v6, v5
	v_rcp_f32_e32 v8, v7
	s_nop 0
	v_fma_f32 v9, -v7, v8, 1.0
	v_fmac_f32_e32 v8, v9, v8
	v_div_scale_f32 v9, vcc, v5, v6, v5
	v_mul_f32_e32 v10, v9, v8
	v_fma_f32 v11, -v7, v10, v9
	v_fmac_f32_e32 v10, v11, v8
	v_fma_f32 v7, -v7, v10, v9
	v_div_fmas_f32 v7, v7, v8, v10
	v_div_fixup_f32 v5, v7, v6, v5
	v_div_scale_f32 v7, s[34:35], v6, v6, v4
	v_rcp_f32_e32 v8, v7
	s_nop 0
	v_fma_f32 v9, -v7, v8, 1.0
	v_fmac_f32_e32 v8, v9, v8
	v_div_scale_f32 v9, vcc, v4, v6, v4
	v_mul_f32_e32 v10, v9, v8
	v_fma_f32 v11, -v7, v10, v9
	v_fmac_f32_e32 v10, v11, v8
	v_fma_f32 v7, -v7, v10, v9
	v_div_fmas_f32 v7, v7, v8, v10
	v_div_fixup_f32 v4, v7, v6, v4
	global_store_dwordx2 v[2:3], v[4:5], off
	v_mov_b32_e32 v2, 0
.LBB24_289:                             ;   in Loop: Header=BB24_9 Depth=1
	s_or_b64 exec, exec, s[90:91]
	v_cmp_gt_i32_e32 vcc, 50, v2
	s_mov_b64 s[34:35], -1
	s_and_saveexec_b64 s[86:87], vcc
; %bb.290:                              ;   in Loop: Header=BB24_9 Depth=1
	v_cmp_eq_u32_e32 vcc, 0, v2
	s_orn2_b64 s[34:35], vcc, exec
; %bb.291:                              ;   in Loop: Header=BB24_9 Depth=1
	s_or_b64 exec, exec, s[86:87]
	s_mov_b64 s[90:91], s[6:7]
                                        ; implicit-def: $vgpr2_vgpr3
	s_and_saveexec_b64 s[86:87], s[34:35]
	s_cbranch_execz .LBB24_343
; %bb.292:                              ;   in Loop: Header=BB24_9 Depth=1
	v_mov_b32_e32 v2, 50
	s_and_saveexec_b64 s[90:91], s[84:85]
	s_cbranch_execz .LBB24_294
; %bb.293:                              ;   in Loop: Header=BB24_9 Depth=1
	v_add_u32_e32 v2, 0x1dc0, v170
	ds_read_b32 v6, v2 offset:260
	ds_read_b32 v4, v201
	v_mad_u64_u32 v[2:3], s[34:35], v129, s25, v[50:51]
	v_lshl_add_u32 v2, v2, 6, v52
	v_ashrrev_i32_e32 v3, 31, v2
	s_waitcnt lgkmcnt(0)
	v_cvt_f32_f16_sdwa v5, v4 dst_sel:DWORD dst_unused:UNUSED_PAD src0_sel:WORD_1
	v_cvt_f32_f16_e32 v4, v4
	v_lshl_add_u64 v[2:3], v[2:3], 3, v[102:103]
	v_pk_add_f32 v[4:5], v[4:5], 0 op_sel_hi:[1,0]
	s_nop 0
	v_div_scale_f32 v7, s[34:35], v6, v6, v5
	v_rcp_f32_e32 v8, v7
	s_nop 0
	v_fma_f32 v9, -v7, v8, 1.0
	v_fmac_f32_e32 v8, v9, v8
	v_div_scale_f32 v9, vcc, v5, v6, v5
	v_mul_f32_e32 v10, v9, v8
	v_fma_f32 v11, -v7, v10, v9
	v_fmac_f32_e32 v10, v11, v8
	v_fma_f32 v7, -v7, v10, v9
	v_div_fmas_f32 v7, v7, v8, v10
	v_div_fixup_f32 v5, v7, v6, v5
	v_div_scale_f32 v7, s[34:35], v6, v6, v4
	v_rcp_f32_e32 v8, v7
	s_nop 0
	v_fma_f32 v9, -v7, v8, 1.0
	v_fmac_f32_e32 v8, v9, v8
	v_div_scale_f32 v9, vcc, v4, v6, v4
	v_mul_f32_e32 v10, v9, v8
	v_fma_f32 v11, -v7, v10, v9
	v_fmac_f32_e32 v10, v11, v8
	v_fma_f32 v7, -v7, v10, v9
	v_div_fmas_f32 v7, v7, v8, v10
	v_div_fixup_f32 v4, v7, v6, v4
	global_store_dwordx2 v[2:3], v[4:5], off
	v_mov_b32_e32 v2, 0
.LBB24_294:                             ;   in Loop: Header=BB24_9 Depth=1
	s_or_b64 exec, exec, s[90:91]
	v_cmp_gt_i32_e32 vcc, 50, v2
	s_mov_b64 s[34:35], -1
	s_and_saveexec_b64 s[84:85], vcc
; %bb.295:                              ;   in Loop: Header=BB24_9 Depth=1
	v_cmp_eq_u32_e32 vcc, 0, v2
	s_orn2_b64 s[34:35], vcc, exec
; %bb.296:                              ;   in Loop: Header=BB24_9 Depth=1
	s_or_b64 exec, exec, s[84:85]
	s_mov_b64 s[90:91], s[6:7]
                                        ; implicit-def: $vgpr2_vgpr3
	s_and_saveexec_b64 s[84:85], s[34:35]
	s_cbranch_execz .LBB24_342
; %bb.297:                              ;   in Loop: Header=BB24_9 Depth=1
	v_mov_b32_e32 v2, 50
	s_and_saveexec_b64 s[90:91], s[82:83]
	s_cbranch_execz .LBB24_299
; %bb.298:                              ;   in Loop: Header=BB24_9 Depth=1
	v_mad_u64_u32 v[2:3], s[34:35], v128, s25, v[50:51]
	scratch_load_dword v3, off, off offset:4 ; 4-byte Folded Reload
	ds_read_b32 v6, v167 offset:260
	v_lshl_add_u32 v2, v2, 6, v52
	s_waitcnt vmcnt(0)
	ds_read_b32 v4, v3
	v_ashrrev_i32_e32 v3, 31, v2
	v_lshl_add_u64 v[2:3], v[2:3], 3, v[102:103]
	s_waitcnt lgkmcnt(0)
	v_cvt_f32_f16_sdwa v5, v4 dst_sel:DWORD dst_unused:UNUSED_PAD src0_sel:WORD_1
	v_cvt_f32_f16_e32 v4, v4
	v_pk_add_f32 v[4:5], v[4:5], 0 op_sel_hi:[1,0]
	s_nop 0
	v_div_scale_f32 v7, s[34:35], v6, v6, v5
	v_rcp_f32_e32 v8, v7
	s_nop 0
	v_fma_f32 v9, -v7, v8, 1.0
	v_fmac_f32_e32 v8, v9, v8
	v_div_scale_f32 v9, vcc, v5, v6, v5
	v_mul_f32_e32 v10, v9, v8
	v_fma_f32 v11, -v7, v10, v9
	v_fmac_f32_e32 v10, v11, v8
	v_fma_f32 v7, -v7, v10, v9
	v_div_fmas_f32 v7, v7, v8, v10
	v_div_fixup_f32 v5, v7, v6, v5
	v_div_scale_f32 v7, s[34:35], v6, v6, v4
	v_rcp_f32_e32 v8, v7
	s_nop 0
	v_fma_f32 v9, -v7, v8, 1.0
	v_fmac_f32_e32 v8, v9, v8
	v_div_scale_f32 v9, vcc, v4, v6, v4
	v_mul_f32_e32 v10, v9, v8
	v_fma_f32 v11, -v7, v10, v9
	v_fmac_f32_e32 v10, v11, v8
	v_fma_f32 v7, -v7, v10, v9
	v_div_fmas_f32 v7, v7, v8, v10
	v_div_fixup_f32 v4, v7, v6, v4
	global_store_dwordx2 v[2:3], v[4:5], off
	v_mov_b32_e32 v2, 0
.LBB24_299:                             ;   in Loop: Header=BB24_9 Depth=1
	s_or_b64 exec, exec, s[90:91]
	v_cmp_gt_i32_e32 vcc, 50, v2
	s_mov_b64 s[34:35], -1
	s_and_saveexec_b64 s[82:83], vcc
; %bb.300:                              ;   in Loop: Header=BB24_9 Depth=1
	v_cmp_eq_u32_e32 vcc, 0, v2
	s_orn2_b64 s[34:35], vcc, exec
; %bb.301:                              ;   in Loop: Header=BB24_9 Depth=1
	s_or_b64 exec, exec, s[82:83]
	s_mov_b64 s[90:91], s[6:7]
                                        ; implicit-def: $vgpr2_vgpr3
	s_and_saveexec_b64 s[82:83], s[34:35]
	s_cbranch_execz .LBB24_341
; %bb.302:                              ;   in Loop: Header=BB24_9 Depth=1
	v_mov_b32_e32 v2, 50
	s_and_saveexec_b64 s[90:91], s[80:81]
	s_cbranch_execz .LBB24_304
; %bb.303:                              ;   in Loop: Header=BB24_9 Depth=1
	v_add_u32_e32 v2, 0x2640, v170
	ds_read_b32 v6, v2 offset:260
	v_mad_u64_u32 v[2:3], s[34:35], v127, s25, v[50:51]
	scratch_load_dword v3, off, off offset:8 ; 4-byte Folded Reload
	v_lshl_add_u32 v2, v2, 6, v52
	s_waitcnt vmcnt(0)
	ds_read_b32 v4, v3
	v_ashrrev_i32_e32 v3, 31, v2
	v_lshl_add_u64 v[2:3], v[2:3], 3, v[102:103]
	s_waitcnt lgkmcnt(0)
	v_cvt_f32_f16_sdwa v5, v4 dst_sel:DWORD dst_unused:UNUSED_PAD src0_sel:WORD_1
	v_cvt_f32_f16_e32 v4, v4
	v_pk_add_f32 v[4:5], v[4:5], 0 op_sel_hi:[1,0]
	s_nop 0
	v_div_scale_f32 v7, s[34:35], v6, v6, v5
	v_rcp_f32_e32 v8, v7
	s_nop 0
	v_fma_f32 v9, -v7, v8, 1.0
	v_fmac_f32_e32 v8, v9, v8
	v_div_scale_f32 v9, vcc, v5, v6, v5
	v_mul_f32_e32 v10, v9, v8
	v_fma_f32 v11, -v7, v10, v9
	v_fmac_f32_e32 v10, v11, v8
	v_fma_f32 v7, -v7, v10, v9
	v_div_fmas_f32 v7, v7, v8, v10
	v_div_fixup_f32 v5, v7, v6, v5
	v_div_scale_f32 v7, s[34:35], v6, v6, v4
	v_rcp_f32_e32 v8, v7
	s_nop 0
	v_fma_f32 v9, -v7, v8, 1.0
	v_fmac_f32_e32 v8, v9, v8
	v_div_scale_f32 v9, vcc, v4, v6, v4
	v_mul_f32_e32 v10, v9, v8
	v_fma_f32 v11, -v7, v10, v9
	v_fmac_f32_e32 v10, v11, v8
	v_fma_f32 v7, -v7, v10, v9
	v_div_fmas_f32 v7, v7, v8, v10
	v_div_fixup_f32 v4, v7, v6, v4
	global_store_dwordx2 v[2:3], v[4:5], off
	v_mov_b32_e32 v2, 0
.LBB24_304:                             ;   in Loop: Header=BB24_9 Depth=1
	s_or_b64 exec, exec, s[90:91]
	v_cmp_gt_i32_e32 vcc, 50, v2
	s_mov_b64 s[34:35], -1
	s_and_saveexec_b64 s[80:81], vcc
; %bb.305:                              ;   in Loop: Header=BB24_9 Depth=1
	v_cmp_eq_u32_e32 vcc, 0, v2
	s_orn2_b64 s[34:35], vcc, exec
; %bb.306:                              ;   in Loop: Header=BB24_9 Depth=1
	s_or_b64 exec, exec, s[80:81]
	s_mov_b64 s[90:91], s[6:7]
                                        ; implicit-def: $vgpr2_vgpr3
	s_and_saveexec_b64 s[80:81], s[34:35]
	s_cbranch_execz .LBB24_340
; %bb.307:                              ;   in Loop: Header=BB24_9 Depth=1
	v_mov_b32_e32 v2, 50
	s_and_saveexec_b64 s[90:91], s[78:79]
	s_cbranch_execz .LBB24_309
; %bb.308:                              ;   in Loop: Header=BB24_9 Depth=1
	v_add_u32_e32 v2, 0x2a80, v170
	ds_read_b32 v6, v2 offset:260
	v_mad_u64_u32 v[2:3], s[34:35], v126, s25, v[50:51]
	scratch_load_dword v3, off, off offset:12 ; 4-byte Folded Reload
	v_lshl_add_u32 v2, v2, 6, v52
	s_waitcnt vmcnt(0)
	ds_read_b32 v4, v3
	v_ashrrev_i32_e32 v3, 31, v2
	v_lshl_add_u64 v[2:3], v[2:3], 3, v[102:103]
	s_waitcnt lgkmcnt(0)
	v_cvt_f32_f16_sdwa v5, v4 dst_sel:DWORD dst_unused:UNUSED_PAD src0_sel:WORD_1
	v_cvt_f32_f16_e32 v4, v4
	v_pk_add_f32 v[4:5], v[4:5], 0 op_sel_hi:[1,0]
	s_nop 0
	v_div_scale_f32 v7, s[34:35], v6, v6, v5
	v_rcp_f32_e32 v8, v7
	s_nop 0
	v_fma_f32 v9, -v7, v8, 1.0
	v_fmac_f32_e32 v8, v9, v8
	v_div_scale_f32 v9, vcc, v5, v6, v5
	v_mul_f32_e32 v10, v9, v8
	v_fma_f32 v11, -v7, v10, v9
	v_fmac_f32_e32 v10, v11, v8
	v_fma_f32 v7, -v7, v10, v9
	v_div_fmas_f32 v7, v7, v8, v10
	v_div_fixup_f32 v5, v7, v6, v5
	v_div_scale_f32 v7, s[34:35], v6, v6, v4
	v_rcp_f32_e32 v8, v7
	s_nop 0
	v_fma_f32 v9, -v7, v8, 1.0
	v_fmac_f32_e32 v8, v9, v8
	v_div_scale_f32 v9, vcc, v4, v6, v4
	v_mul_f32_e32 v10, v9, v8
	v_fma_f32 v11, -v7, v10, v9
	v_fmac_f32_e32 v10, v11, v8
	v_fma_f32 v7, -v7, v10, v9
	v_div_fmas_f32 v7, v7, v8, v10
	v_div_fixup_f32 v4, v7, v6, v4
	global_store_dwordx2 v[2:3], v[4:5], off
	v_mov_b32_e32 v2, 0
.LBB24_309:                             ;   in Loop: Header=BB24_9 Depth=1
	;; [unrolled: 59-line block ×3, first 2 shown]
	s_or_b64 exec, exec, s[90:91]
	v_cmp_gt_i32_e32 vcc, 50, v2
	s_mov_b64 s[34:35], -1
	s_and_saveexec_b64 s[76:77], vcc
; %bb.315:                              ;   in Loop: Header=BB24_9 Depth=1
	v_cmp_eq_u32_e32 vcc, 0, v2
	s_orn2_b64 s[34:35], vcc, exec
; %bb.316:                              ;   in Loop: Header=BB24_9 Depth=1
	s_or_b64 exec, exec, s[76:77]
	s_mov_b64 s[90:91], s[6:7]
                                        ; implicit-def: $vgpr2_vgpr3
	s_and_saveexec_b64 s[76:77], s[34:35]
	s_cbranch_execz .LBB24_338
; %bb.317:                              ;   in Loop: Header=BB24_9 Depth=1
	v_mov_b32_e32 v2, 50
	s_and_saveexec_b64 s[90:91], s[74:75]
	s_cbranch_execz .LBB24_319
; %bb.318:                              ;   in Loop: Header=BB24_9 Depth=1
	v_mad_u64_u32 v[2:3], s[34:35], v124, s25, v[50:51]
	scratch_load_dword v3, off, off offset:24 ; 4-byte Folded Reload
	ds_read_b32 v6, v168 offset:260
	v_lshl_add_u32 v2, v2, 6, v52
	s_waitcnt vmcnt(0)
	ds_read_b32 v4, v3
	v_ashrrev_i32_e32 v3, 31, v2
	v_lshl_add_u64 v[2:3], v[2:3], 3, v[102:103]
	s_waitcnt lgkmcnt(0)
	v_cvt_f32_f16_sdwa v5, v4 dst_sel:DWORD dst_unused:UNUSED_PAD src0_sel:WORD_1
	v_cvt_f32_f16_e32 v4, v4
	v_pk_add_f32 v[4:5], v[4:5], 0 op_sel_hi:[1,0]
	s_nop 0
	v_div_scale_f32 v7, s[34:35], v6, v6, v5
	v_rcp_f32_e32 v8, v7
	s_nop 0
	v_fma_f32 v9, -v7, v8, 1.0
	v_fmac_f32_e32 v8, v9, v8
	v_div_scale_f32 v9, vcc, v5, v6, v5
	v_mul_f32_e32 v10, v9, v8
	v_fma_f32 v11, -v7, v10, v9
	v_fmac_f32_e32 v10, v11, v8
	v_fma_f32 v7, -v7, v10, v9
	v_div_fmas_f32 v7, v7, v8, v10
	v_div_fixup_f32 v5, v7, v6, v5
	v_div_scale_f32 v7, s[34:35], v6, v6, v4
	v_rcp_f32_e32 v8, v7
	s_nop 0
	v_fma_f32 v9, -v7, v8, 1.0
	v_fmac_f32_e32 v8, v9, v8
	v_div_scale_f32 v9, vcc, v4, v6, v4
	v_mul_f32_e32 v10, v9, v8
	v_fma_f32 v11, -v7, v10, v9
	v_fmac_f32_e32 v10, v11, v8
	v_fma_f32 v7, -v7, v10, v9
	v_div_fmas_f32 v7, v7, v8, v10
	v_div_fixup_f32 v4, v7, v6, v4
	global_store_dwordx2 v[2:3], v[4:5], off
	v_mov_b32_e32 v2, 0
.LBB24_319:                             ;   in Loop: Header=BB24_9 Depth=1
	s_or_b64 exec, exec, s[90:91]
	v_cmp_gt_i32_e32 vcc, 50, v2
	s_mov_b64 s[34:35], -1
	s_and_saveexec_b64 s[74:75], vcc
; %bb.320:                              ;   in Loop: Header=BB24_9 Depth=1
	v_cmp_eq_u32_e32 vcc, 0, v2
	s_orn2_b64 s[34:35], vcc, exec
; %bb.321:                              ;   in Loop: Header=BB24_9 Depth=1
	s_or_b64 exec, exec, s[74:75]
	s_mov_b64 s[90:91], s[6:7]
                                        ; implicit-def: $vgpr2_vgpr3
	s_and_saveexec_b64 s[74:75], s[34:35]
	s_cbranch_execz .LBB24_337
; %bb.322:                              ;   in Loop: Header=BB24_9 Depth=1
	v_mov_b32_e32 v2, 50
	s_and_saveexec_b64 s[90:91], s[72:73]
	s_cbranch_execz .LBB24_324
; %bb.323:                              ;   in Loop: Header=BB24_9 Depth=1
	v_add_u32_e32 v2, 0x3740, v170
	ds_read_b32 v6, v2 offset:260
	v_mad_u64_u32 v[2:3], s[34:35], v33, s25, v[50:51]
	scratch_load_dword v3, off, off offset:28 ; 4-byte Folded Reload
	v_lshl_add_u32 v2, v2, 6, v52
	s_waitcnt vmcnt(0)
	ds_read_b32 v4, v3
	v_ashrrev_i32_e32 v3, 31, v2
	v_lshl_add_u64 v[2:3], v[2:3], 3, v[102:103]
	s_waitcnt lgkmcnt(0)
	v_cvt_f32_f16_sdwa v5, v4 dst_sel:DWORD dst_unused:UNUSED_PAD src0_sel:WORD_1
	v_cvt_f32_f16_e32 v4, v4
	v_pk_add_f32 v[4:5], v[4:5], 0 op_sel_hi:[1,0]
	s_nop 0
	v_div_scale_f32 v7, s[34:35], v6, v6, v5
	v_rcp_f32_e32 v8, v7
	s_nop 0
	v_fma_f32 v9, -v7, v8, 1.0
	v_fmac_f32_e32 v8, v9, v8
	v_div_scale_f32 v9, vcc, v5, v6, v5
	v_mul_f32_e32 v10, v9, v8
	v_fma_f32 v11, -v7, v10, v9
	v_fmac_f32_e32 v10, v11, v8
	v_fma_f32 v7, -v7, v10, v9
	v_div_fmas_f32 v7, v7, v8, v10
	v_div_fixup_f32 v5, v7, v6, v5
	v_div_scale_f32 v7, s[34:35], v6, v6, v4
	v_rcp_f32_e32 v8, v7
	s_nop 0
	v_fma_f32 v9, -v7, v8, 1.0
	v_fmac_f32_e32 v8, v9, v8
	v_div_scale_f32 v9, vcc, v4, v6, v4
	v_mul_f32_e32 v10, v9, v8
	v_fma_f32 v11, -v7, v10, v9
	v_fmac_f32_e32 v10, v11, v8
	v_fma_f32 v7, -v7, v10, v9
	v_div_fmas_f32 v7, v7, v8, v10
	v_div_fixup_f32 v4, v7, v6, v4
	global_store_dwordx2 v[2:3], v[4:5], off
	v_mov_b32_e32 v2, 0
.LBB24_324:                             ;   in Loop: Header=BB24_9 Depth=1
	s_or_b64 exec, exec, s[90:91]
	v_cmp_gt_i32_e32 vcc, 50, v2
	s_mov_b64 s[34:35], -1
	s_and_saveexec_b64 s[72:73], vcc
; %bb.325:                              ;   in Loop: Header=BB24_9 Depth=1
	v_cmp_eq_u32_e32 vcc, 0, v2
	s_orn2_b64 s[34:35], vcc, exec
; %bb.326:                              ;   in Loop: Header=BB24_9 Depth=1
	s_or_b64 exec, exec, s[72:73]
	s_mov_b64 s[90:91], s[6:7]
                                        ; implicit-def: $vgpr2_vgpr3
	s_and_saveexec_b64 s[72:73], s[34:35]
	s_cbranch_execz .LBB24_336
; %bb.327:                              ;   in Loop: Header=BB24_9 Depth=1
	v_mov_b32_e32 v2, 50
	s_and_saveexec_b64 s[90:91], s[70:71]
	s_cbranch_execz .LBB24_329
; %bb.328:                              ;   in Loop: Header=BB24_9 Depth=1
	v_add_u32_e32 v2, 0x3b80, v170
	ds_read_b32 v6, v2 offset:260
	v_mad_u64_u32 v[2:3], s[34:35], v31, s25, v[50:51]
	scratch_load_dword v3, off, off offset:32 ; 4-byte Folded Reload
	v_lshl_add_u32 v2, v2, 6, v52
	s_waitcnt vmcnt(0)
	ds_read_b32 v4, v3
	v_ashrrev_i32_e32 v3, 31, v2
	v_lshl_add_u64 v[2:3], v[2:3], 3, v[102:103]
	s_waitcnt lgkmcnt(0)
	v_cvt_f32_f16_sdwa v5, v4 dst_sel:DWORD dst_unused:UNUSED_PAD src0_sel:WORD_1
	v_cvt_f32_f16_e32 v4, v4
	v_pk_add_f32 v[4:5], v[4:5], 0 op_sel_hi:[1,0]
	s_nop 0
	v_div_scale_f32 v7, s[34:35], v6, v6, v5
	v_rcp_f32_e32 v8, v7
	s_nop 0
	v_fma_f32 v9, -v7, v8, 1.0
	v_fmac_f32_e32 v8, v9, v8
	v_div_scale_f32 v9, vcc, v5, v6, v5
	v_mul_f32_e32 v10, v9, v8
	v_fma_f32 v11, -v7, v10, v9
	v_fmac_f32_e32 v10, v11, v8
	v_fma_f32 v7, -v7, v10, v9
	v_div_fmas_f32 v7, v7, v8, v10
	v_div_fixup_f32 v5, v7, v6, v5
	v_div_scale_f32 v7, s[34:35], v6, v6, v4
	v_rcp_f32_e32 v8, v7
	s_nop 0
	v_fma_f32 v9, -v7, v8, 1.0
	v_fmac_f32_e32 v8, v9, v8
	v_div_scale_f32 v9, vcc, v4, v6, v4
	v_mul_f32_e32 v10, v9, v8
	v_fma_f32 v11, -v7, v10, v9
	v_fmac_f32_e32 v10, v11, v8
	v_fma_f32 v7, -v7, v10, v9
	v_div_fmas_f32 v7, v7, v8, v10
	v_div_fixup_f32 v4, v7, v6, v4
	global_store_dwordx2 v[2:3], v[4:5], off
	v_mov_b32_e32 v2, 0
.LBB24_329:                             ;   in Loop: Header=BB24_9 Depth=1
	s_or_b64 exec, exec, s[90:91]
	v_cmp_gt_i32_e32 vcc, 50, v2
	s_mov_b64 s[34:35], -1
	s_and_saveexec_b64 s[70:71], vcc
; %bb.330:                              ;   in Loop: Header=BB24_9 Depth=1
	v_cmp_eq_u32_e32 vcc, 0, v2
	s_orn2_b64 s[34:35], vcc, exec
; %bb.331:                              ;   in Loop: Header=BB24_9 Depth=1
	s_or_b64 exec, exec, s[70:71]
	s_mov_b64 s[90:91], s[6:7]
                                        ; implicit-def: $vgpr2_vgpr3
	s_and_saveexec_b64 s[70:71], s[34:35]
	s_cbranch_execz .LBB24_335
; %bb.332:                              ;   in Loop: Header=BB24_9 Depth=1
	s_mov_b64 vcc, s[6:7]
                                        ; implicit-def: $vgpr2_vgpr3
	s_and_saveexec_b64 s[90:91], s[4:5]
	s_cbranch_execz .LBB24_334
; %bb.333:                              ;   in Loop: Header=BB24_9 Depth=1
	v_add_u32_e32 v2, 0x3fc0, v170
	ds_read_b32 v4, v2 offset:260
	scratch_load_dword v2, off, off offset:36 ; 4-byte Folded Reload
	s_waitcnt vmcnt(0)
	ds_read_b32 v2, v2
	s_waitcnt lgkmcnt(0)
	v_cvt_f32_f16_sdwa v3, v2 dst_sel:DWORD dst_unused:UNUSED_PAD src0_sel:WORD_1
	v_cvt_f32_f16_e32 v2, v2
	v_pk_add_f32 v[2:3], v[2:3], 0 op_sel_hi:[1,0]
	s_nop 0
	v_div_scale_f32 v5, s[4:5], v4, v4, v3
	v_rcp_f32_e32 v6, v5
	s_nop 0
	v_fma_f32 v7, -v5, v6, 1.0
	v_fmac_f32_e32 v6, v7, v6
	v_div_scale_f32 v7, vcc, v3, v4, v3
	v_mul_f32_e32 v8, v7, v6
	v_fma_f32 v9, -v5, v8, v7
	v_fmac_f32_e32 v8, v9, v6
	v_fma_f32 v5, -v5, v8, v7
	v_div_fmas_f32 v5, v5, v6, v8
	v_div_fixup_f32 v3, v5, v4, v3
	v_div_scale_f32 v5, s[4:5], v4, v4, v2
	v_rcp_f32_e32 v6, v5
	s_nop 0
	v_fma_f32 v7, -v5, v6, 1.0
	v_fmac_f32_e32 v6, v7, v6
	v_div_scale_f32 v7, vcc, v2, v4, v2
	v_mul_f32_e32 v8, v7, v6
	v_fma_f32 v9, -v5, v8, v7
	v_fmac_f32_e32 v8, v9, v6
	v_fma_f32 v5, -v5, v8, v7
	v_div_fmas_f32 v5, v5, v6, v8
	v_div_fixup_f32 v2, v5, v4, v2
	s_or_b64 vcc, s[6:7], exec
.LBB24_334:                             ;   in Loop: Header=BB24_9 Depth=1
	s_or_b64 exec, exec, s[90:91]
	s_andn2_b64 s[4:5], s[6:7], exec
	s_and_b64 s[34:35], vcc, exec
	s_or_b64 s[90:91], s[4:5], s[34:35]
.LBB24_335:                             ;   in Loop: Header=BB24_9 Depth=1
	s_or_b64 exec, exec, s[70:71]
	s_andn2_b64 s[4:5], s[6:7], exec
	s_and_b64 s[34:35], s[90:91], exec
	s_or_b64 s[90:91], s[4:5], s[34:35]
.LBB24_336:                             ;   in Loop: Header=BB24_9 Depth=1
	s_or_b64 exec, exec, s[72:73]
	s_andn2_b64 s[4:5], s[6:7], exec
	s_and_b64 s[34:35], s[90:91], exec
	s_or_b64 s[90:91], s[4:5], s[34:35]
.LBB24_337:                             ;   in Loop: Header=BB24_9 Depth=1
	s_or_b64 exec, exec, s[74:75]
	s_andn2_b64 s[4:5], s[6:7], exec
	s_and_b64 s[34:35], s[90:91], exec
	s_or_b64 s[90:91], s[4:5], s[34:35]
.LBB24_338:                             ;   in Loop: Header=BB24_9 Depth=1
	s_or_b64 exec, exec, s[76:77]
	s_andn2_b64 s[4:5], s[6:7], exec
	s_and_b64 s[34:35], s[90:91], exec
	s_or_b64 s[90:91], s[4:5], s[34:35]
.LBB24_339:                             ;   in Loop: Header=BB24_9 Depth=1
	s_or_b64 exec, exec, s[78:79]
	s_andn2_b64 s[4:5], s[6:7], exec
	s_and_b64 s[34:35], s[90:91], exec
	s_or_b64 s[90:91], s[4:5], s[34:35]
.LBB24_340:                             ;   in Loop: Header=BB24_9 Depth=1
	s_or_b64 exec, exec, s[80:81]
	s_andn2_b64 s[4:5], s[6:7], exec
	s_and_b64 s[34:35], s[90:91], exec
	s_or_b64 s[90:91], s[4:5], s[34:35]
.LBB24_341:                             ;   in Loop: Header=BB24_9 Depth=1
	s_or_b64 exec, exec, s[82:83]
	s_andn2_b64 s[4:5], s[6:7], exec
	s_and_b64 s[34:35], s[90:91], exec
	s_or_b64 s[90:91], s[4:5], s[34:35]
.LBB24_342:                             ;   in Loop: Header=BB24_9 Depth=1
	s_or_b64 exec, exec, s[84:85]
	s_andn2_b64 s[4:5], s[6:7], exec
	s_and_b64 s[34:35], s[90:91], exec
	s_or_b64 s[90:91], s[4:5], s[34:35]
.LBB24_343:                             ;   in Loop: Header=BB24_9 Depth=1
	s_or_b64 exec, exec, s[86:87]
	s_andn2_b64 s[4:5], s[6:7], exec
	s_and_b64 s[34:35], s[90:91], exec
	s_or_b64 s[90:91], s[4:5], s[34:35]
.LBB24_344:                             ;   in Loop: Header=BB24_9 Depth=1
	s_or_b64 exec, exec, s[88:89]
	s_andn2_b64 s[4:5], s[6:7], exec
	s_and_b64 s[34:35], s[90:91], exec
	s_or_b64 s[90:91], s[4:5], s[34:35]
.LBB24_345:                             ;   in Loop: Header=BB24_9 Depth=1
	s_or_b64 exec, exec, s[56:57]
	s_andn2_b64 s[4:5], s[6:7], exec
	s_and_b64 s[34:35], s[90:91], exec
	s_or_b64 s[56:57], s[4:5], s[34:35]
.LBB24_346:                             ;   in Loop: Header=BB24_9 Depth=1
	s_or_b64 exec, exec, s[92:93]
	s_andn2_b64 s[4:5], s[6:7], exec
	s_and_b64 s[34:35], s[56:57], exec
	s_or_b64 s[56:57], s[4:5], s[34:35]
.LBB24_347:                             ;   in Loop: Header=BB24_9 Depth=1
	s_or_b64 exec, exec, s[94:95]
	s_andn2_b64 s[4:5], s[6:7], exec
	s_and_b64 s[34:35], s[56:57], exec
	s_or_b64 s[56:57], s[4:5], s[34:35]
.LBB24_348:                             ;   in Loop: Header=BB24_9 Depth=1
	s_or_b64 exec, exec, s[96:97]
	s_andn2_b64 s[4:5], s[6:7], exec
	s_and_b64 s[6:7], s[56:57], exec
	s_or_b64 s[6:7], s[4:5], s[6:7]
.LBB24_349:                             ;   in Loop: Header=BB24_9 Depth=1
	s_or_b64 exec, exec, s[98:99]
.LBB24_350:                             ;   in Loop: Header=BB24_9 Depth=1
	s_and_saveexec_b64 s[4:5], s[6:7]
	s_cbranch_execz .LBB24_8
; %bb.351:                              ;   in Loop: Header=BB24_9 Depth=1
	v_mad_u64_u32 v[4:5], s[6:7], v83, s25, v[50:51]
	v_lshl_add_u32 v4, v4, 6, v52
	v_ashrrev_i32_e32 v5, 31, v4
	v_lshl_add_u64 v[4:5], v[4:5], 3, v[102:103]
	global_store_dwordx2 v[4:5], v[2:3], off
	s_branch .LBB24_8
.LBB24_352:
	s_andn2_b64 vcc, exec, s[4:5]
	s_cbranch_vccnz .LBB24_431
; %bb.353:
	s_abs_i32 s0, s2
	v_cvt_f32_u32_e32 v2, s0
	s_sub_i32 s5, 0, s0
	s_abs_i32 s4, s50
	s_xor_b32 s1, s50, s2
	v_rcp_iflag_f32_e32 v2, v2
	s_ashr_i32 s1, s1, 31
	v_readlane_b32 s20, v255, 1
	v_mov_b32_e32 v16, s62
	v_mul_f32_e32 v2, 0x4f7ffffe, v2
	v_cvt_u32_f32_e32 v2, v2
	s_nop 0
	v_readfirstlane_b32 s6, v2
	s_mul_i32 s5, s5, s6
	s_mul_hi_u32 s5, s6, s5
	s_add_i32 s6, s6, s5
	s_mul_hi_u32 s5, s4, s6
	s_mul_i32 s6, s5, s0
	s_sub_i32 s4, s4, s6
	s_add_i32 s7, s5, 1
	s_sub_i32 s6, s4, s0
	s_cmp_ge_u32 s4, s0
	s_cselect_b32 s5, s7, s5
	s_cselect_b32 s4, s6, s4
	s_add_i32 s6, s5, 1
	s_cmp_ge_u32 s4, s0
	s_cselect_b32 s0, s6, s5
	s_abs_i32 s4, s63
	v_cvt_f32_u32_e32 v2, s4
	s_xor_b32 s0, s0, s1
	s_sub_i32 s5, 0, s4
	s_sub_i32 s16, s0, s1
	v_rcp_iflag_f32_e32 v2, v2
	s_mul_i32 s0, s16, s2
	s_sub_i32 s0, s50, s0
	s_abs_i32 s2, s0
	v_mul_f32_e32 v2, 0x4f7ffffe, v2
	v_cvt_u32_f32_e32 v2, v2
	s_xor_b32 s1, s0, s63
	s_ashr_i32 s1, s1, 31
	v_readfirstlane_b32 s6, v2
	s_mul_i32 s5, s5, s6
	s_mul_hi_u32 s5, s6, s5
	s_add_i32 s6, s6, s5
	s_mul_hi_u32 s5, s2, s6
	s_mul_i32 s6, s5, s4
	s_sub_i32 s2, s2, s6
	s_add_i32 s7, s5, 1
	s_sub_i32 s6, s2, s4
	s_cmp_ge_u32 s2, s4
	s_cselect_b32 s5, s7, s5
	s_cselect_b32 s2, s6, s2
	s_add_i32 s6, s5, 1
	s_cmp_ge_u32 s2, s4
	s_cselect_b32 s2, s6, s5
	s_abs_i32 s4, s20
	v_cvt_f32_u32_e32 v2, s4
	s_xor_b32 s2, s2, s1
	s_sub_i32 s5, 0, s4
	s_sub_i32 s17, s2, s1
	v_rcp_iflag_f32_e32 v2, v2
	s_mul_i32 s1, s17, s63
	s_sub_i32 s1, s0, s1
	s_abs_i32 s2, s1
	v_mul_f32_e32 v2, 0x4f7ffffe, v2
	v_cvt_u32_f32_e32 v2, v2
	s_xor_b32 s0, s1, s20
	s_ashr_i32 s0, s0, 31
	v_readfirstlane_b32 s6, v2
	s_mul_i32 s5, s5, s6
	s_mul_hi_u32 s5, s6, s5
	s_add_i32 s6, s6, s5
	s_mul_hi_u32 s5, s2, s6
	s_mul_i32 s6, s5, s4
	s_sub_i32 s2, s2, s6
	s_add_i32 s7, s5, 1
	s_sub_i32 s6, s2, s4
	s_cmp_ge_u32 s2, s4
	s_cselect_b32 s5, s7, s5
	s_cselect_b32 s2, s6, s2
	s_add_i32 s6, s5, 1
	s_cmp_ge_u32 s2, s4
	s_cselect_b32 s2, s6, s5
	s_xor_b32 s2, s2, s0
	s_sub_i32 s0, s2, s0
	s_mul_i32 s2, s0, s20
	s_sub_i32 s1, s1, s2
	s_ashr_i32 s2, s1, 31
	v_readlane_b32 s4, v255, 8
	s_abs_i32 s1, s1
	s_xor_b32 s2, s2, s4
	s_mul_hi_u32 s4, s1, s46
	s_mul_i32 s5, s4, s53
	s_sub_i32 s1, s1, s5
	s_add_i32 s5, s4, 1
	s_sub_i32 s6, s1, s53
	s_cmp_ge_u32 s1, s53
	s_cselect_b32 s4, s5, s4
	s_cselect_b32 s1, s6, s1
	s_add_i32 s5, s4, 1
	s_cmp_ge_u32 s1, s53
	s_cselect_b32 s1, s5, s4
	v_readlane_b32 s4, v255, 10
	s_abs_i32 s20, s4
	v_cvt_f32_u32_e32 v2, s20
	s_xor_b32 s1, s1, s2
	s_sub_i32 s1, s1, s2
	s_cmp_eq_u64 s[18:19], 0
	v_rcp_iflag_f32_e32 v2, v2
	v_readlane_b32 s5, v255, 11
	v_mul_f32_e32 v2, 0x4f7ffffe, v2
	v_cvt_u32_f32_e32 v2, v2
	s_nop 0
	v_readfirstlane_b32 s21, v2
	s_cbranch_scc1 .LBB24_355
; %bb.354:
	v_readlane_b32 s2, v255, 0
	s_mul_i32 s2, s16, s2
	s_add_i32 s4, s1, s2
	s_ashr_i32 s5, s4, 31
	s_lshl_b64 s[4:5], s[4:5], 2
	s_add_u32 s4, s18, s4
	s_addc_u32 s5, s19, s5
	v_mov_b32_e32 v2, 0
	global_load_dword v2, v2, s[4:5]
	s_waitcnt vmcnt(0)
	v_ashrrev_i32_e32 v3, 31, v2
	v_lshrrev_b32_e32 v3, 26, v3
	v_add_u32_e32 v2, v2, v3
	v_ashrrev_i32_e32 v2, 6, v2
	v_min_i32_e32 v16, s62, v2
.LBB24_355:
	s_mul_i32 s2, s17, s3
	s_lshl_b32 s4, s0, 2
	s_add_i32 s0, s4, s2
	s_mul_i32 s2, s16, s49
	s_ashr_i32 s5, s2, 31
	s_add_u32 s2, s8, s2
	s_mul_i32 s0, s0, s48
	s_addc_u32 s5, s9, s5
	s_ashr_i32 s7, s0, 31
	s_add_u32 s6, s2, s0
	s_addc_u32 s7, s5, s7
	v_and_b32_e32 v80, 0x3ff, v0
	s_lshl_b32 s2, s1, 4
	v_bfe_u32 v0, v51, 2, 8
	v_add_u32_e32 v2, s2, v0
	v_or_b32_e32 v0, s4, v50
	v_cmp_le_i32_e64 s[0:1], s24, v2
	v_cmp_le_i32_e64 s[4:5], s3, v0
	s_mov_b32 s8, 0x10001
	v_lshl_add_u32 v82, v80, 2, 0
	v_cmp_gt_i32_e32 vcc, s3, v0
	s_or_b64 s[0:1], s[0:1], s[4:5]
	s_and_saveexec_b64 s[4:5], s[0:1]
	s_xor_b64 s[0:1], exec, s[4:5]
; %bb.356:
	s_movk_i32 s3, 0x110
	v_mad_u32_u24 v0, v145, s3, v82
	v_mov_b32_e32 v2, 0
	ds_write_b32 v0, v2
                                        ; implicit-def: $vgpr2
; %bb.357:
	s_or_saveexec_b64 s[0:1], s[0:1]
	v_mul_lo_u32 v0, v1, s8
	v_readlane_b32 s25, v255, 9
	s_xor_b64 exec, exec, s[0:1]
	s_cbranch_execz .LBB24_359
; %bb.358:
	v_mul_lo_u32 v1, v2, s33
	v_mul_lo_u32 v2, v50, s25
	v_add3_u32 v2, v2, v80, v1
	v_ashrrev_i32_e32 v3, 31, v2
	v_lshl_add_u64 v[2:3], v[2:3], 3, s[6:7]
	global_load_dwordx2 v[2:3], v[2:3], off
	s_movk_i32 s3, 0x110
	s_waitcnt vmcnt(0)
	v_cvt_pk_f16_f32 v1, v2, v3
	v_pk_mul_f16 v1, v1, v0
	v_mad_u32_u24 v2, v145, s3, v82
	ds_write_b32 v2, v1
.LBB24_359:
	s_or_b64 exec, exec, s[0:1]
	v_lshrrev_b32_e32 v1, 2, v148
	v_add_u32_e32 v1, s2, v1
	v_cmp_le_i32_e64 s[0:1], s24, v1
	s_xor_b64 s[4:5], vcc, -1
	s_or_b64 s[0:1], s[0:1], s[4:5]
	s_and_saveexec_b64 s[8:9], s[0:1]
	s_xor_b64 s[0:1], exec, s[8:9]
; %bb.360:
	s_movk_i32 s3, 0x110
	v_mad_u32_u24 v1, v148, s3, v82
	v_mov_b32_e32 v2, 0
	ds_write_b32 v1, v2
                                        ; implicit-def: $vgpr1
; %bb.361:
	s_andn2_saveexec_b64 s[0:1], s[0:1]
	s_cbranch_execz .LBB24_363
; %bb.362:
	v_mul_lo_u32 v1, v1, s33
	v_mul_lo_u32 v2, v50, s25
	v_add3_u32 v2, v2, v80, v1
	v_ashrrev_i32_e32 v3, 31, v2
	v_lshl_add_u64 v[2:3], v[2:3], 3, s[6:7]
	global_load_dwordx2 v[2:3], v[2:3], off
	s_movk_i32 s3, 0x110
	s_waitcnt vmcnt(0)
	v_cvt_pk_f16_f32 v1, v2, v3
	v_pk_mul_f16 v1, v1, v0
	v_mad_u32_u24 v2, v148, s3, v82
	ds_write_b32 v2, v1
.LBB24_363:
	s_or_b64 exec, exec, s[0:1]
	v_lshrrev_b32_e32 v1, 2, v147
	v_add_u32_e32 v1, s2, v1
	v_cmp_le_i32_e32 vcc, s24, v1
	s_or_b64 s[0:1], vcc, s[4:5]
	s_and_saveexec_b64 s[8:9], s[0:1]
	s_xor_b64 s[0:1], exec, s[8:9]
; %bb.364:
	s_movk_i32 s3, 0x110
	v_mad_u32_u24 v1, v147, s3, v82
	v_mov_b32_e32 v2, 0
	ds_write_b32 v1, v2
                                        ; implicit-def: $vgpr1
; %bb.365:
	s_andn2_saveexec_b64 s[0:1], s[0:1]
	s_cbranch_execz .LBB24_367
; %bb.366:
	v_mul_lo_u32 v1, v1, s33
	v_mul_lo_u32 v2, v50, s25
	v_add3_u32 v2, v2, v80, v1
	v_ashrrev_i32_e32 v3, 31, v2
	v_lshl_add_u64 v[2:3], v[2:3], 3, s[6:7]
	global_load_dwordx2 v[2:3], v[2:3], off
	s_movk_i32 s3, 0x110
	s_waitcnt vmcnt(0)
	v_cvt_pk_f16_f32 v1, v2, v3
	v_pk_mul_f16 v1, v1, v0
	v_mad_u32_u24 v2, v147, s3, v82
	ds_write_b32 v2, v1
.LBB24_367:
	s_or_b64 exec, exec, s[0:1]
	v_lshrrev_b32_e32 v1, 2, v146
	v_add_u32_e32 v1, s2, v1
	v_cmp_le_i32_e32 vcc, s24, v1
	s_or_b64 s[0:1], vcc, s[4:5]
	;; [unrolled: 30-line block ×11, first 2 shown]
	s_and_saveexec_b64 s[8:9], s[0:1]
	s_xor_b64 s[0:1], exec, s[8:9]
; %bb.404:
	s_movk_i32 s3, 0x110
	v_mad_u32_u24 v1, v136, s3, v82
	v_mov_b32_e32 v2, 0
	ds_write_b32 v1, v2
                                        ; implicit-def: $vgpr1
; %bb.405:
	s_andn2_saveexec_b64 s[0:1], s[0:1]
	s_cbranch_execz .LBB24_407
; %bb.406:
	v_mul_lo_u32 v1, v1, s33
	v_mul_lo_u32 v2, v50, s25
	v_add3_u32 v2, v2, v80, v1
	v_ashrrev_i32_e32 v3, 31, v2
	v_lshl_add_u64 v[2:3], v[2:3], 3, s[6:7]
	global_load_dwordx2 v[2:3], v[2:3], off
	s_movk_i32 s3, 0x110
	s_waitcnt vmcnt(0)
	v_cvt_pk_f16_f32 v1, v2, v3
	v_pk_mul_f16 v1, v1, v0
	v_mad_u32_u24 v2, v136, s3, v82
	ds_write_b32 v2, v1
.LBB24_407:
	s_or_b64 exec, exec, s[0:1]
	v_lshrrev_b32_e32 v1, 2, v135
	v_add_u32_e32 v1, s2, v1
	v_cmp_le_i32_e32 vcc, s24, v1
	s_sub_i32 s3, 0, s20
	s_or_b64 s[0:1], vcc, s[4:5]
	s_and_saveexec_b64 s[8:9], s[0:1]
	s_xor_b64 s[0:1], exec, s[8:9]
; %bb.408:
	s_movk_i32 s8, 0x110
	v_mad_u32_u24 v1, v135, s8, v82
	v_mov_b32_e32 v2, 0
	ds_write_b32 v1, v2
                                        ; implicit-def: $vgpr1
; %bb.409:
	s_or_saveexec_b64 s[0:1], s[0:1]
	s_mul_i32 s3, s3, s21
	s_xor_b64 exec, exec, s[0:1]
	s_cbranch_execz .LBB24_411
; %bb.410:
	v_mul_lo_u32 v1, v1, s33
	v_mul_lo_u32 v2, v50, s25
	v_add3_u32 v2, v2, v80, v1
	v_ashrrev_i32_e32 v3, 31, v2
	v_lshl_add_u64 v[2:3], v[2:3], 3, s[6:7]
	global_load_dwordx2 v[2:3], v[2:3], off
	s_movk_i32 s8, 0x110
	s_waitcnt vmcnt(0)
	v_cvt_pk_f16_f32 v1, v2, v3
	v_pk_mul_f16 v1, v1, v0
	v_mad_u32_u24 v2, v135, s8, v82
	ds_write_b32 v2, v1
.LBB24_411:
	s_or_b64 exec, exec, s[0:1]
	v_lshrrev_b32_e32 v1, 2, v134
	v_add_u32_e32 v1, s2, v1
	v_cmp_le_i32_e32 vcc, s24, v1
	s_mul_hi_u32 s8, s21, s3
	s_or_b64 s[0:1], vcc, s[4:5]
	s_and_saveexec_b64 s[18:19], s[0:1]
	s_xor_b64 s[0:1], exec, s[18:19]
; %bb.412:
	s_movk_i32 s3, 0x110
	v_mad_u32_u24 v1, v134, s3, v82
	v_mov_b32_e32 v2, 0
	ds_write_b32 v1, v2
                                        ; implicit-def: $vgpr1
; %bb.413:
	s_or_saveexec_b64 s[0:1], s[0:1]
	s_abs_i32 s3, s16
	s_add_i32 s21, s21, s8
	s_xor_b64 exec, exec, s[0:1]
	s_cbranch_execz .LBB24_415
; %bb.414:
	v_mul_lo_u32 v1, v1, s33
	v_mul_lo_u32 v2, v50, s25
	v_add3_u32 v2, v2, v80, v1
	v_ashrrev_i32_e32 v3, 31, v2
	v_lshl_add_u64 v[2:3], v[2:3], 3, s[6:7]
	global_load_dwordx2 v[2:3], v[2:3], off
	s_movk_i32 s8, 0x110
	s_waitcnt vmcnt(0)
	v_cvt_pk_f16_f32 v1, v2, v3
	v_pk_mul_f16 v1, v1, v0
	v_mad_u32_u24 v2, v134, s8, v82
	ds_write_b32 v2, v1
.LBB24_415:
	s_or_b64 exec, exec, s[0:1]
	v_lshrrev_b32_e32 v1, 2, v81
	v_add_u32_e32 v1, s2, v1
	v_cmp_le_i32_e32 vcc, s24, v1
	s_mul_hi_u32 s8, s3, s21
	s_or_b64 s[0:1], vcc, s[4:5]
	s_and_saveexec_b64 s[4:5], s[0:1]
	s_xor_b64 s[0:1], exec, s[4:5]
; %bb.416:
	s_movk_i32 s4, 0x110
	v_mad_u32_u24 v0, v81, s4, v82
	v_mov_b32_e32 v1, 0
	ds_write_b32 v0, v1
                                        ; implicit-def: $vgpr1
                                        ; implicit-def: $vgpr50
                                        ; implicit-def: $vgpr0
; %bb.417:
	s_or_saveexec_b64 s[0:1], s[0:1]
	s_ashr_i32 s9, s16, 31
	s_xor_b64 exec, exec, s[0:1]
	s_cbranch_execz .LBB24_419
; %bb.418:
	v_mul_lo_u32 v1, v1, s33
	v_mul_lo_u32 v2, v50, s25
	v_add3_u32 v2, v2, v80, v1
	v_ashrrev_i32_e32 v3, 31, v2
	v_lshl_add_u64 v[2:3], v[2:3], 3, s[6:7]
	global_load_dwordx2 v[2:3], v[2:3], off
	s_movk_i32 s4, 0x110
	s_waitcnt vmcnt(0)
	v_cvt_pk_f16_f32 v1, v2, v3
	v_pk_mul_f16 v0, v1, v0
	v_mad_u32_u24 v1, v81, s4, v82
	ds_write_b32 v1, v0
.LBB24_419:
	s_or_b64 exec, exec, s[0:1]
	s_mul_hi_u32 s0, s28, s16
	s_mul_i32 s1, s28, s9
	s_add_i32 s0, s0, s1
	s_mul_i32 s1, s29, s16
	v_readlane_b32 s4, v255, 6
	s_add_i32 s0, s0, s1
	s_mul_i32 s1, s28, s16
	v_readlane_b32 s5, v255, 7
	s_add_u32 s1, s10, s1
	s_mul_i32 s4, s17, s5
	s_addc_u32 s0, s11, s0
	s_ashr_i32 s5, s4, 31
	s_add_u32 s4, s1, s4
	s_mul_i32 s8, s8, s20
	s_addc_u32 s5, s0, s5
	s_sub_i32 s0, s3, s8
	s_sub_i32 s1, s0, s20
	s_cmp_ge_u32 s0, s20
	s_cselect_b32 s0, s1, s0
	s_sub_i32 s1, s0, s20
	s_cmp_ge_u32 s0, s20
	s_cselect_b32 s0, s1, s0
	s_xor_b32 s0, s0, s9
	s_sub_i32 s0, s0, s9
	s_ashr_i32 s1, s0, 31
	s_mul_i32 s1, s44, s1
	s_mul_hi_u32 s3, s44, s0
	s_add_i32 s1, s3, s1
	s_mul_i32 s3, s45, s0
	s_add_i32 s1, s1, s3
	s_mul_i32 s0, s44, s0
	s_add_u32 s6, s14, s0
	s_addc_u32 s7, s15, s1
	s_mul_hi_u32 s0, s42, s16
	s_mul_i32 s1, s42, s9
	s_add_i32 s0, s0, s1
	s_mul_i32 s1, s43, s16
	s_add_i32 s0, s0, s1
	s_mul_i32 s1, s42, s16
	s_add_u32 s1, s12, s1
	s_mul_i32 s17, s17, s31
	s_addc_u32 s3, s13, s0
	s_ashr_i32 s8, s17, 31
	s_add_u32 s0, s1, s17
	v_lshrrev_b32_e32 v20, 3, v80
	s_addc_u32 s1, s3, s8
	s_movk_i32 s3, 0x1100
	v_and_b32_e32 v83, 15, v80
	v_and_b32_e32 v1, 0x7e, v20
	v_mad_u32_u24 v0, v145, s3, 0
	v_mul_u32_u24_e32 v90, 0x110, v83
	v_lshlrev_b32_e32 v84, 2, v1
	v_add3_u32 v0, v0, v90, v84
	s_waitcnt lgkmcnt(0)
	s_barrier
	ds_read2_b64 v[12:15], v0 offset1:4
	ds_read2_b64 v[8:11], v0 offset0:8 offset1:12
	ds_read2_b64 v[4:7], v0 offset0:16 offset1:20
	;; [unrolled: 1-line block ×3, first 2 shown]
	v_add_u32_e32 v110, -1, v16
	v_lshrrev_b32_e32 v16, 5, v80
	v_cmp_lt_i32_e32 vcc, s34, v110
	v_lshl_add_u32 v21, v145, 1, v16
	v_lshlrev_b32_e32 v16, 1, v80
	s_movk_i32 s3, 0x110
	v_and_b32_e32 v22, 62, v16
	v_mov_b32_e32 v86, 0
	s_waitcnt lgkmcnt(0)
	s_barrier
	s_cbranch_vccnz .LBB24_424
; %bb.420:
	v_add_u32_e32 v16, s2, v21
	v_mul_hi_u32 v17, s38, v16
	v_add_u32_e32 v17, v16, v17
	v_lshrrev_b32_e32 v17, s39, v17
	v_mul_lo_u32 v17, v17, s24
	v_sub_u32_e32 v17, v16, v17
	v_add_u32_e32 v16, 8, v16
	v_mad_i64_i32 v[58:59], s[8:9], v17, s40, 0
	v_mul_hi_u32 v17, s38, v16
	v_add_u32_e32 v17, v16, v17
	v_lshrrev_b32_e32 v17, s39, v17
	v_mul_lo_u32 v17, v17, s24
	s_movk_i32 s10, 0x90
	v_sub_u32_e32 v16, v16, v17
	v_mov_b32_e32 v17, 0x480
	v_mad_u32_u24 v96, v21, s10, v17
	v_mad_i64_i32 v[62:63], s[8:9], v16, s40, 0
	v_lshrrev_b32_e32 v16, 4, v80
	v_lshlrev_b32_e32 v17, 2, v80
	v_lshl_add_u32 v16, v145, 2, v16
	v_and_b32_e32 v60, 60, v17
	v_mov_b32_e32 v17, 0x1100
	v_mad_u32_u24 v107, v16, s3, v17
	v_mov_b32_e32 v17, 0x2200
	v_mad_u32_u24 v108, v16, s3, v17
	v_mov_b32_e32 v17, 0x3300
	v_lshlrev_b32_e32 v85, 4, v145
	v_mad_u32_u24 v109, v16, s3, v17
	v_lshrrev_b32_e32 v17, 2, v80
	v_and_or_b32 v19, v80, 12, v85
	v_and_b32_e32 v18, 0xfc, v17
	v_lshrrev_b32_e32 v19, 2, v19
	v_mul_u32_u24_e32 v105, 0x90, v19
	v_add_u32_e32 v19, 16, v18
	v_lshrrev_b32_e32 v102, 1, v19
	v_add_u32_e32 v19, 18, v18
	v_lshrrev_b32_e32 v103, 1, v19
	;; [unrolled: 2-line block ×4, first 2 shown]
	v_add_u32_e32 v19, 48, v18
	v_mul_lo_u32 v64, s26, v16
	s_lshl_b32 s8, s26, 4
	v_lshrrev_b32_e32 v98, 1, v19
	v_add_u32_e32 v19, 50, v18
	v_mul_lo_u32 v50, s36, v16
	s_lshl_b32 s3, s36, 4
	v_add_u32_e32 v66, s8, v64
	v_lshrrev_b32_e32 v99, 1, v19
	v_mbcnt_lo_u32_b32 v19, -1, 0
	v_add_u32_e32 v52, s3, v50
	v_add_u32_e32 v68, s8, v66
	v_mbcnt_hi_u32_b32 v91, -1, v19
	v_add_u32_e32 v54, s3, v52
	s_ashr_i32 s27, s26, 31
	v_mul_u32_u24_e32 v97, 0x110, v16
	v_add_u32_e32 v70, s8, v68
	v_and_b32_e32 v19, 64, v91
	s_ashr_i32 s37, s36, 31
	v_add_u32_e32 v56, s3, v54
	v_or_b32_e32 v16, 3, v17
	v_mul_u32_u24_e32 v95, 0x90, v21
	v_mov_b32_e32 v61, 0
	v_ashrrev_i32_e32 v65, 31, v64
	v_ashrrev_i32_e32 v67, 31, v66
	;; [unrolled: 1-line block ×4, first 2 shown]
	v_lshrrev_b32_e32 v106, 1, v18
	v_or_b32_e32 v104, 1, v20
	v_add_u32_e32 v92, 64, v19
	v_xor_b32_e32 v93, 32, v91
	v_xor_b32_e32 v94, 16, v91
	v_ashrrev_i32_e32 v51, 31, v50
	v_ashrrev_i32_e32 v53, 31, v52
	;; [unrolled: 1-line block ×4, first 2 shown]
	v_mul_u32_u24_e32 v88, 0x110, v18
	v_mul_u32_u24_e32 v89, 0x110, v16
	v_mov_b64_e32 v[16:17], s[36:37]
	v_mov_b64_e32 v[18:19], s[26:27]
	v_lshlrev_b32_e32 v48, 1, v22
	v_lshlrev_b32_e32 v87, 1, v83
	s_cbranch_execz .LBB24_425
; %bb.421:
	v_mov_b32_e32 v111, 0xfeffffff
	v_mov_b32_e32 v22, 0
	;; [unrolled: 1-line block ×17, first 2 shown]
	s_branch .LBB24_428
.LBB24_422:
                                        ; implicit-def: $sgpr50_sgpr51
	s_load_dwordx2 s[48:49], s[0:1], 0x74
	v_cvt_f32_u32_e32 v1, s29
	s_branch .LBB24_2
.LBB24_423:
                                        ; implicit-def: $sgpr54_sgpr55
	s_load_dwordx2 s[38:39], s[0:1], 0x5c
	s_branch .LBB24_5
.LBB24_424:
                                        ; implicit-def: $vgpr95
                                        ; implicit-def: $vgpr58_vgpr59
                                        ; implicit-def: $vgpr96
                                        ; implicit-def: $vgpr62_vgpr63
                                        ; implicit-def: $vgpr18_vgpr19
                                        ; implicit-def: $vgpr97
                                        ; implicit-def: $vgpr60
                                        ; implicit-def: $vgpr64_vgpr65
                                        ; implicit-def: $vgpr107
                                        ; implicit-def: $vgpr66_vgpr67
                                        ; implicit-def: $vgpr108
                                        ; implicit-def: $vgpr68_vgpr69
                                        ; implicit-def: $vgpr109
                                        ; implicit-def: $vgpr70_vgpr71
                                        ; implicit-def: $vgpr85
                                        ; implicit-def: $vgpr105
                                        ; implicit-def: $vgpr106
                                        ; implicit-def: $vgpr104
                                        ; implicit-def: $vgpr102
                                        ; implicit-def: $vgpr103
                                        ; implicit-def: $vgpr101
                                        ; implicit-def: $vgpr100
                                        ; implicit-def: $vgpr98
                                        ; implicit-def: $vgpr99
                                        ; implicit-def: $vgpr91
                                        ; implicit-def: $vgpr92
                                        ; implicit-def: $vgpr93
                                        ; implicit-def: $vgpr94
                                        ; implicit-def: $vgpr16_vgpr17
                                        ; implicit-def: $vgpr50_vgpr51
                                        ; implicit-def: $vgpr52_vgpr53
                                        ; implicit-def: $vgpr54_vgpr55
                                        ; implicit-def: $vgpr56_vgpr57
                                        ; implicit-def: $vgpr88
                                        ; implicit-def: $vgpr89
	v_lshlrev_b32_e32 v48, 1, v22
	v_lshlrev_b32_e32 v87, 1, v83
.LBB24_425:
	v_add_u32_e32 v17, s2, v21
	v_mul_hi_u32 v18, s38, v17
	v_add_u32_e32 v18, v17, v18
	v_lshrrev_b32_e32 v18, s39, v18
	v_mul_lo_u32 v18, v18, s24
	v_sub_u32_e32 v18, v17, v18
	v_add_u32_e32 v17, 8, v17
	v_mad_i64_i32 v[58:59], s[2:3], v18, s40, 0
	v_mul_hi_u32 v18, s38, v17
	v_add_u32_e32 v18, v17, v18
	v_lshrrev_b32_e32 v18, s39, v18
	v_mul_lo_u32 v18, v18, s24
	s_movk_i32 s8, 0x90
	v_sub_u32_e32 v17, v17, v18
	v_mov_b32_e32 v18, 0x480
	v_mad_u32_u24 v96, v21, s8, v18
	v_mad_i64_i32 v[62:63], s[2:3], v17, s40, 0
	v_lshrrev_b32_e32 v17, 4, v80
	v_lshlrev_b32_e32 v18, 2, v80
	v_mov_b32_e32 v73, 0
	v_lshl_add_u32 v17, v145, 2, v17
	v_and_b32_e32 v60, 60, v18
	v_mov_b32_e32 v49, v73
	v_mul_u32_u24_e32 v97, 0x110, v17
	v_lshlrev_b32_e32 v18, 2, v60
	v_lshl_add_u64 v[74:75], s[6:7], 0, v[48:49]
	s_movk_i32 s2, 0x110
	v_add3_u32 v49, 0, v97, v18
	v_mov_b32_e32 v18, 0x1100
	v_mad_u32_u24 v107, v17, s2, v18
	v_mov_b32_e32 v18, 0x2200
	v_mad_u32_u24 v108, v17, s2, v18
	;; [unrolled: 2-line block ×3, first 2 shown]
	v_lshrrev_b32_e32 v18, 2, v80
	v_lshlrev_b32_e32 v85, 4, v145
	v_mul_u32_u24_e32 v95, 0x90, v21
	v_and_b32_e32 v19, 0xfc, v18
	v_and_or_b32 v21, v80, 12, v85
	v_lshrrev_b32_e32 v21, 2, v21
	v_add_u32_e32 v22, 18, v19
	v_add_u32_e32 v23, 34, v19
	v_mul_u32_u24_e32 v105, 0x90, v21
	v_mad_u32_u24 v21, v21, s8, 0
	v_or_b32_e32 v104, 1, v20
	v_add_u32_e32 v20, 16, v19
	v_lshrrev_b32_e32 v103, 1, v22
	v_add_u32_e32 v22, 32, v19
	v_lshrrev_b32_e32 v100, 1, v23
	v_add_u32_e32 v23, 48, v19
	v_lshl_add_u32 v116, v19, 1, v21
	v_lshl_add_u32 v117, v104, 2, v21
	v_lshrrev_b32_e32 v102, 1, v20
	v_lshl_add_u32 v20, v20, 1, v21
	v_lshrrev_b32_e32 v101, 1, v22
	;; [unrolled: 2-line block ×3, first 2 shown]
	v_lshl_add_u32 v21, v23, 1, v21
	v_add_u32_e32 v23, 50, v19
	v_lshrrev_b32_e32 v99, 1, v23
	v_mbcnt_lo_u32_b32 v23, -1, 0
	v_mbcnt_hi_u32_b32 v91, -1, v23
	v_and_b32_e32 v23, 64, v91
	v_mul_lo_u32 v64, s26, v17
	s_lshl_b32 s3, s26, 4
	v_add_u32_e32 v92, 64, v23
	v_xor_b32_e32 v93, 32, v91
	v_mul_lo_u32 v50, s36, v17
	s_lshl_b32 s2, s36, 4
	v_add_u32_e32 v66, s3, v64
	v_cmp_lt_i32_e32 vcc, v93, v92
	v_xor_b32_e32 v94, 16, v91
	v_add_u32_e32 v52, s2, v50
	v_add_u32_e32 v68, s3, v66
	v_cndmask_b32_e32 v23, v91, v93, vcc
	v_cmp_lt_i32_e32 vcc, v94, v92
	v_add_u32_e32 v54, s2, v52
	v_or_b32_e32 v17, 3, v18
	v_add_u32_e32 v16, 0, v48
	v_add_u32_e32 v70, s3, v68
	v_lshlrev_b32_e32 v118, 2, v23
	v_cndmask_b32_e32 v23, v91, v94, vcc
	v_add_u32_e32 v56, s2, v54
	v_mul_u32_u24_e32 v88, 0x110, v19
	v_mul_u32_u24_e32 v89, 0x110, v17
	s_ashr_i32 s27, s26, 31
	v_mov_b32_e32 v61, v73
	v_ashrrev_i32_e32 v65, 31, v64
	v_add_u32_e32 v112, 0x1100, v49
	v_ashrrev_i32_e32 v67, 31, v66
	v_add_u32_e32 v113, 0x2200, v49
	;; [unrolled: 2-line block ×3, first 2 shown]
	v_ashrrev_i32_e32 v71, 31, v70
	v_add3_u32 v115, 0, v90, v84
	v_lshrrev_b32_e32 v106, 1, v19
	v_lshlrev_b32_e32 v119, 2, v23
	s_ashr_i32 s37, s36, 31
	v_ashrrev_i32_e32 v51, 31, v50
	v_ashrrev_i32_e32 v53, 31, v52
	;; [unrolled: 1-line block ×4, first 2 shown]
	v_add3_u32 v120, 0, v88, v87
	v_add3_u32 v121, 0, v89, v87
	s_lshl_b32 s8, s34, 6
	v_mov_b32_e32 v111, 0xfeffffff
	v_add_u32_e32 v122, v16, v95
	v_lshlrev_b32_e32 v72, 2, v60
	v_add_u32_e32 v123, 0x4400, v20
	v_add_u32_e32 v124, 0x4400, v22
	;; [unrolled: 1-line block ×3, first 2 shown]
	s_mov_b32 s2, 0x3fb8aa3b
	s_mov_b32 s3, 0xc2ce8ed0
	;; [unrolled: 1-line block ×5, first 2 shown]
	v_mov_b32_e32 v126, 0x7f800000
	v_mov_b32_e32 v86, v73
	;; [unrolled: 1-line block ×18, first 2 shown]
.LBB24_426:                             ; =>This Inner Loop Header: Depth=1
	s_ashr_i32 s9, s8, 31
	v_lshl_add_u64 v[16:17], s[8:9], 1, v[74:75]
	v_lshl_add_u64 v[18:19], v[58:59], 1, v[16:17]
	global_load_dword v18, v[18:19], off
	v_lshl_add_u64 v[16:17], v[62:63], 1, v[16:17]
	global_load_dword v16, v[16:17], off
	s_mul_hi_i32 s15, s8, s26
	s_mul_i32 s14, s8, s26
	s_lshl_b64 s[14:15], s[14:15], 2
	s_add_u32 s14, s4, s14
	s_addc_u32 s15, s5, s15
	v_mov_b32_e32 v30, v111
	v_mov_b32_e32 v29, v86
	s_waitcnt vmcnt(1)
	ds_write_b32 v122, v18 offset:17408
	v_lshl_add_u64 v[18:19], v[66:67], 2, s[14:15]
	s_waitcnt vmcnt(0)
	ds_write_b32 v122, v16 offset:18560
	v_lshl_add_u64 v[16:17], v[64:65], 2, s[14:15]
	v_lshl_add_u64 v[26:27], v[18:19], 0, v[72:73]
	;; [unrolled: 1-line block ×7, first 2 shown]
	global_load_dwordx4 v[16:19], v[16:17], off
	s_mul_hi_i32 s15, s8, s36
	s_mul_i32 s14, s8, s36
	s_lshl_b64 s[14:15], s[14:15], 2
	s_add_u32 s14, s0, s14
	s_addc_u32 s15, s1, s15
	s_add_i32 s34, s34, 1
	s_add_i32 s8, s8, 64
	s_waitcnt vmcnt(0)
	ds_write_b128 v49, v[16:19]
	global_load_dwordx4 v[16:19], v[26:27], off
	v_add_u32_e32 v26, 0x1000, v115
	s_waitcnt vmcnt(0)
	ds_write_b128 v112, v[16:19]
	global_load_dwordx4 v[16:19], v[34:35], off
	s_waitcnt vmcnt(0)
	ds_write_b128 v113, v[16:19]
	global_load_dwordx4 v[16:19], v[36:37], off
	s_waitcnt vmcnt(0)
	ds_write_b128 v114, v[16:19]
	s_waitcnt lgkmcnt(0)
	s_barrier
	ds_read2_b64 v[16:19], v115 offset1:4
	s_waitcnt lgkmcnt(0)
	v_mfma_f32_16x16x16_f16 v[34:37], v[16:17], v[12:13], 0
	v_mfma_f32_16x16x16_f16 v[16:19], v[18:19], v[14:15], v[34:37]
	s_nop 6
	ds_read2_b64 v[34:37], v115 offset0:8 offset1:12
	s_waitcnt lgkmcnt(0)
	v_mfma_f32_16x16x16_f16 v[16:19], v[34:35], v[8:9], v[16:19]
	v_mfma_f32_16x16x16_f16 v[16:19], v[36:37], v[10:11], v[16:19]
	ds_read2_b64 v[34:37], v115 offset0:16 offset1:20
	s_waitcnt lgkmcnt(0)
	v_mfma_f32_16x16x16_f16 v[16:19], v[34:35], v[4:5], v[16:19]
	v_mfma_f32_16x16x16_f16 v[16:19], v[36:37], v[6:7], v[16:19]
	;; [unrolled: 4-line block ×4, first 2 shown]
	s_nop 6
	ds_read2_b64 v[76:79], v26 offset0:40 offset1:44
	s_waitcnt lgkmcnt(0)
	v_mfma_f32_16x16x16_f16 v[34:37], v[76:77], v[8:9], v[34:37]
	v_mfma_f32_16x16x16_f16 v[34:37], v[78:79], v[10:11], v[34:37]
	ds_read2_b64 v[76:79], v26 offset0:48 offset1:52
	s_waitcnt lgkmcnt(0)
	v_mfma_f32_16x16x16_f16 v[34:37], v[76:77], v[4:5], v[34:37]
	v_mfma_f32_16x16x16_f16 v[34:37], v[78:79], v[6:7], v[34:37]
	ds_read2_b64 v[76:79], v26 offset0:56 offset1:60
	v_add_u32_e32 v26, 0x2000, v115
	s_waitcnt lgkmcnt(0)
	v_mfma_f32_16x16x16_f16 v[34:37], v[76:77], v[0:1], v[34:37]
	v_mfma_f32_16x16x16_f16 v[34:37], v[78:79], v[2:3], v[34:37]
	ds_read2_b64 v[76:79], v26 offset0:64 offset1:68
	s_waitcnt lgkmcnt(0)
	v_mfma_f32_16x16x16_f16 v[128:131], v[76:77], v[12:13], 0
	v_mfma_f32_16x16x16_f16 v[76:79], v[78:79], v[14:15], v[128:131]
	s_nop 6
	ds_read2_b64 v[128:131], v26 offset0:72 offset1:76
	s_waitcnt lgkmcnt(0)
	v_mfma_f32_16x16x16_f16 v[76:79], v[128:129], v[8:9], v[76:79]
	v_mfma_f32_16x16x16_f16 v[76:79], v[130:131], v[10:11], v[76:79]
	ds_read2_b64 v[128:131], v26 offset0:80 offset1:84
	s_waitcnt lgkmcnt(0)
	v_mfma_f32_16x16x16_f16 v[76:79], v[128:129], v[4:5], v[76:79]
	v_mfma_f32_16x16x16_f16 v[76:79], v[130:131], v[6:7], v[76:79]
	ds_read2_b64 v[128:131], v26 offset0:88 offset1:92
	v_add_u32_e32 v26, 0x3000, v115
	s_waitcnt lgkmcnt(0)
	v_mfma_f32_16x16x16_f16 v[76:79], v[128:129], v[0:1], v[76:79]
	v_mfma_f32_16x16x16_f16 v[76:79], v[130:131], v[2:3], v[76:79]
	ds_read2_b64 v[128:131], v26 offset0:96 offset1:100
	s_waitcnt lgkmcnt(0)
	v_mfma_f32_16x16x16_f16 v[150:153], v[128:129], v[12:13], 0
	v_mfma_f32_16x16x16_f16 v[128:131], v[130:131], v[14:15], v[150:153]
	s_nop 6
	ds_read2_b64 v[150:153], v26 offset0:104 offset1:108
	s_waitcnt lgkmcnt(0)
	v_mfma_f32_16x16x16_f16 v[128:131], v[150:151], v[8:9], v[128:131]
	v_mfma_f32_16x16x16_f16 v[128:131], v[152:153], v[10:11], v[128:131]
	ds_read2_b64 v[150:153], v26 offset0:112 offset1:116
	s_waitcnt lgkmcnt(0)
	v_mfma_f32_16x16x16_f16 v[128:131], v[150:151], v[4:5], v[128:131]
	v_mfma_f32_16x16x16_f16 v[128:131], v[152:153], v[6:7], v[128:131]
	ds_read2_b64 v[150:153], v26 offset0:120 offset1:124
	s_waitcnt lgkmcnt(0)
	s_barrier
	ds_read_b32 v26, v116 offset:17408
	v_mfma_f32_16x16x16_f16 v[128:131], v[150:151], v[0:1], v[128:131]
	s_waitcnt lgkmcnt(0)
	v_cvt_f32_f16_e32 v27, v26
	v_cvt_f32_f16_sdwa v26, v26 dst_sel:DWORD dst_unused:UNUSED_PAD src0_sel:WORD_1
	v_add_f32_e32 v27, v16, v27
	ds_read_b32 v16, v117 offset:17408
	v_add_f32_e32 v26, v17, v26
	v_mfma_f32_16x16x16_f16 v[128:131], v[152:153], v[2:3], v[128:131]
	s_waitcnt lgkmcnt(0)
	v_cvt_f32_f16_e32 v17, v16
	v_cvt_f32_f16_sdwa v16, v16 dst_sel:DWORD dst_unused:UNUSED_PAD src0_sel:WORD_1
	v_add_f32_e32 v18, v18, v17
	v_add_f32_e32 v19, v19, v16
	ds_read2_b32 v[16:17], v123 offset1:1
	s_waitcnt lgkmcnt(0)
	v_cvt_f32_f16_e32 v28, v16
	v_cvt_f32_f16_sdwa v16, v16 dst_sel:DWORD dst_unused:UNUSED_PAD src0_sel:WORD_1
	v_add_f32_e32 v28, v34, v28
	v_add_f32_e32 v31, v35, v16
	v_cvt_f32_f16_e32 v16, v17
	v_cvt_f32_f16_sdwa v17, v17 dst_sel:DWORD dst_unused:UNUSED_PAD src0_sel:WORD_1
	v_add_f32_e32 v32, v36, v16
	v_add_f32_e32 v34, v37, v17
	ds_read2_b32 v[16:17], v124 offset1:1
	s_waitcnt lgkmcnt(0)
	v_cvt_f32_f16_e32 v35, v16
	v_cvt_f32_f16_sdwa v16, v16 dst_sel:DWORD dst_unused:UNUSED_PAD src0_sel:WORD_1
	v_add_f32_e32 v36, v76, v35
	v_add_f32_e32 v37, v77, v16
	;; [unrolled: 10-line block ×3, first 2 shown]
	v_cvt_f32_f16_e32 v16, v17
	v_cvt_f32_f16_sdwa v17, v17 dst_sel:DWORD dst_unused:UNUSED_PAD src0_sel:WORD_1
	v_add_f32_e32 v35, 0x40051340, v19
	v_add_f32_e32 v128, v130, v16
	;; [unrolled: 1-line block ×5, first 2 shown]
	v_max3_f32 v16, v30, v16, v17
	v_add_f32_e32 v17, 0x40051340, v18
	v_max3_f32 v16, v16, v17, v35
	v_add_f32_e32 v17, 0x40051340, v28
	v_add_f32_e32 v35, 0x40051340, v31
	v_max3_f32 v16, v16, v17, v35
	v_add_f32_e32 v17, 0x40051340, v32
	v_add_f32_e32 v35, 0x40051340, v34
	v_max3_f32 v16, v16, v17, v35
	v_add_f32_e32 v17, 0x40051340, v36
	v_add_f32_e32 v35, 0x40051340, v37
	v_max3_f32 v16, v16, v17, v35
	v_add_f32_e32 v17, 0x40051340, v47
	v_add_f32_e32 v35, 0x40051340, v78
	v_max3_f32 v16, v16, v17, v35
	v_add_f32_e32 v17, 0x40051340, v86
	v_add_f32_e32 v35, 0x40051340, v127
	v_max3_f32 v16, v16, v17, v35
	v_add_f32_e32 v17, 0x40051340, v128
	v_add_f32_e32 v35, 0x40051340, v131
	v_max3_f32 v16, v16, v17, v35
	ds_bpermute_b32 v17, v118, v16
	s_waitcnt lgkmcnt(0)
	v_max_f32_e32 v17, v17, v17
	v_max_f32_e32 v16, v16, v17
	ds_bpermute_b32 v17, v119, v16
	s_waitcnt lgkmcnt(0)
	v_max_f32_e32 v17, v17, v17
	v_max_f32_e32 v111, v16, v17
	v_sub_f32_e32 v16, v27, v111
	v_mul_f32_e32 v17, 0x3fb8aa3b, v16
	v_fma_f32 v27, v16, s2, -v17
	v_rndne_f32_e32 v35, v17
	v_fmac_f32_e32 v27, 0x32a5705f, v16
	v_sub_f32_e32 v17, v17, v35
	v_add_f32_e32 v17, v17, v27
	v_exp_f32_e32 v17, v17
	v_cvt_i32_f32_e32 v27, v35
	v_cmp_ngt_f32_e32 vcc, s3, v16
	v_sub_f32_e32 v18, v18, v111
	v_sub_f32_e32 v19, v19, v111
	v_ldexp_f32 v17, v17, v27
	v_cndmask_b32_e32 v17, 0, v17, vcc
	v_cmp_nlt_f32_e32 vcc, s10, v16
	v_sub_f32_e32 v30, v30, v111
	s_nop 0
	v_cndmask_b32_e32 v16, v126, v17, vcc
	v_sub_f32_e32 v17, v26, v111
	v_mul_f32_e32 v26, 0x3fb8aa3b, v17
	v_fma_f32 v27, v17, s2, -v26
	v_rndne_f32_e32 v35, v26
	v_fmac_f32_e32 v27, 0x32a5705f, v17
	v_sub_f32_e32 v26, v26, v35
	v_add_f32_e32 v26, v26, v27
	v_exp_f32_e32 v26, v26
	v_cvt_i32_f32_e32 v27, v35
	v_cmp_ngt_f32_e32 vcc, s3, v17
	v_ldexp_f32 v26, v26, v27
	v_mul_f32_e32 v27, 0x3fb8aa3b, v18
	v_fma_f32 v35, v18, s2, -v27
	v_rndne_f32_e32 v76, v27
	v_fmac_f32_e32 v35, 0x32a5705f, v18
	v_sub_f32_e32 v27, v27, v76
	v_add_f32_e32 v27, v27, v35
	v_exp_f32_e32 v27, v27
	v_cvt_i32_f32_e32 v35, v76
	v_cndmask_b32_e32 v26, 0, v26, vcc
	v_cmp_nlt_f32_e32 vcc, s10, v17
	v_ldexp_f32 v27, v27, v35
	s_nop 0
	v_cndmask_b32_e32 v17, v126, v26, vcc
	v_cmp_ngt_f32_e32 vcc, s3, v18
	v_add_f32_e32 v26, v16, v17
	s_nop 0
	v_cndmask_b32_e32 v27, 0, v27, vcc
	v_cmp_nlt_f32_e32 vcc, s10, v18
	s_nop 1
	v_cndmask_b32_e32 v18, v126, v27, vcc
	v_add_f32_e32 v27, v18, v26
	v_mul_f32_e32 v26, 0x3fb8aa3b, v19
	v_fma_f32 v35, v19, s2, -v26
	v_rndne_f32_e32 v76, v26
	v_fmac_f32_e32 v35, 0x32a5705f, v19
	v_sub_f32_e32 v26, v26, v76
	v_add_f32_e32 v26, v26, v35
	v_exp_f32_e32 v26, v26
	v_cvt_i32_f32_e32 v35, v76
	v_cmp_ngt_f32_e32 vcc, s3, v19
	v_ldexp_f32 v26, v26, v35
	s_nop 0
	v_cndmask_b32_e32 v26, 0, v26, vcc
	v_cmp_nlt_f32_e32 vcc, s10, v19
	v_sub_f32_e32 v19, v28, v111
	v_mul_f32_e32 v28, 0x3fb8aa3b, v19
	v_fma_f32 v35, v19, s2, -v28
	v_rndne_f32_e32 v76, v28
	v_fmac_f32_e32 v35, 0x32a5705f, v19
	v_sub_f32_e32 v28, v28, v76
	v_add_f32_e32 v28, v28, v35
	v_exp_f32_e32 v28, v28
	v_cvt_i32_f32_e32 v35, v76
	v_cndmask_b32_e32 v26, v126, v26, vcc
	v_cmp_ngt_f32_e32 vcc, s3, v19
	v_add_f32_e32 v27, v26, v27
	v_ldexp_f32 v28, v28, v35
	v_cndmask_b32_e32 v28, 0, v28, vcc
	v_cmp_nlt_f32_e32 vcc, s10, v19
	s_nop 1
	v_cndmask_b32_e32 v19, v126, v28, vcc
	v_add_f32_e32 v28, v19, v27
	v_sub_f32_e32 v27, v31, v111
	v_mul_f32_e32 v31, 0x3fb8aa3b, v27
	v_fma_f32 v35, v27, s2, -v31
	v_rndne_f32_e32 v76, v31
	v_fmac_f32_e32 v35, 0x32a5705f, v27
	v_sub_f32_e32 v31, v31, v76
	v_add_f32_e32 v31, v31, v35
	v_exp_f32_e32 v31, v31
	v_cvt_i32_f32_e32 v35, v76
	v_cmp_ngt_f32_e32 vcc, s3, v27
	v_ldexp_f32 v31, v31, v35
	s_nop 0
	v_cndmask_b32_e32 v31, 0, v31, vcc
	v_cmp_nlt_f32_e32 vcc, s10, v27
	s_nop 1
	v_cndmask_b32_e32 v27, v126, v31, vcc
	v_add_f32_e32 v31, v27, v28
	v_sub_f32_e32 v28, v32, v111
	v_mul_f32_e32 v32, 0x3fb8aa3b, v28
	v_fma_f32 v35, v28, s2, -v32
	v_rndne_f32_e32 v76, v32
	v_fmac_f32_e32 v35, 0x32a5705f, v28
	v_sub_f32_e32 v32, v32, v76
	v_add_f32_e32 v32, v32, v35
	v_exp_f32_e32 v32, v32
	v_cvt_i32_f32_e32 v35, v76
	v_cmp_ngt_f32_e32 vcc, s3, v28
	v_ldexp_f32 v32, v32, v35
	s_nop 0
	v_cndmask_b32_e32 v32, 0, v32, vcc
	v_cmp_nlt_f32_e32 vcc, s10, v28
	s_nop 1
	v_cndmask_b32_e32 v28, v126, v32, vcc
	v_sub_f32_e32 v32, v34, v111
	v_mul_f32_e32 v34, 0x3fb8aa3b, v32
	v_fma_f32 v35, v32, s2, -v34
	v_rndne_f32_e32 v76, v34
	v_fmac_f32_e32 v35, 0x32a5705f, v32
	v_sub_f32_e32 v34, v34, v76
	v_add_f32_e32 v34, v34, v35
	v_exp_f32_e32 v34, v34
	v_cvt_i32_f32_e32 v35, v76
	v_cmp_ngt_f32_e32 vcc, s3, v32
	v_add_f32_e32 v31, v28, v31
	v_ldexp_f32 v34, v34, v35
	v_cndmask_b32_e32 v34, 0, v34, vcc
	v_cmp_nlt_f32_e32 vcc, s10, v32
	s_nop 1
	v_cndmask_b32_e32 v35, v126, v34, vcc
	v_add_f32_e32 v32, v35, v31
	v_sub_f32_e32 v31, v36, v111
	v_mul_f32_e32 v34, 0x3fb8aa3b, v31
	v_fma_f32 v36, v31, s2, -v34
	v_rndne_f32_e32 v76, v34
	v_fmac_f32_e32 v36, 0x32a5705f, v31
	v_sub_f32_e32 v34, v34, v76
	v_add_f32_e32 v34, v34, v36
	v_exp_f32_e32 v34, v34
	v_cvt_i32_f32_e32 v36, v76
	v_cmp_ngt_f32_e32 vcc, s3, v31
	v_ldexp_f32 v34, v34, v36
	s_nop 0
	v_cndmask_b32_e32 v34, 0, v34, vcc
	v_cmp_nlt_f32_e32 vcc, s10, v31
	s_nop 1
	v_cndmask_b32_e32 v31, v126, v34, vcc
	v_sub_f32_e32 v34, v37, v111
	v_mul_f32_e32 v36, 0x3fb8aa3b, v34
	v_fma_f32 v37, v34, s2, -v36
	v_rndne_f32_e32 v76, v36
	v_fmac_f32_e32 v37, 0x32a5705f, v34
	v_sub_f32_e32 v36, v36, v76
	v_add_f32_e32 v36, v36, v37
	v_exp_f32_e32 v36, v36
	v_cvt_i32_f32_e32 v37, v76
	v_cmp_ngt_f32_e32 vcc, s3, v34
	v_add_f32_e32 v32, v31, v32
	v_ldexp_f32 v36, v36, v37
	v_cndmask_b32_e32 v36, 0, v36, vcc
	v_cmp_nlt_f32_e32 vcc, s10, v34
	v_sub_f32_e32 v34, v47, v111
	s_nop 0
	v_cndmask_b32_e32 v76, v126, v36, vcc
	v_mul_f32_e32 v36, 0x3fb8aa3b, v34
	v_fma_f32 v37, v34, s2, -v36
	v_rndne_f32_e32 v47, v36
	v_fmac_f32_e32 v37, 0x32a5705f, v34
	v_sub_f32_e32 v36, v36, v47
	v_add_f32_e32 v36, v36, v37
	v_exp_f32_e32 v36, v36
	v_cvt_i32_f32_e32 v37, v47
	v_cmp_ngt_f32_e32 vcc, s3, v34
	v_add_f32_e32 v32, v76, v32
	v_cvt_pk_f16_f32 v76, v31, v76
	v_ldexp_f32 v36, v36, v37
	v_cndmask_b32_e32 v36, 0, v36, vcc
	v_cmp_nlt_f32_e32 vcc, s10, v34
	v_sub_f32_e32 v34, v78, v111
	s_nop 0
	v_cndmask_b32_e32 v77, v126, v36, vcc
	v_mul_f32_e32 v36, 0x3fb8aa3b, v34
	v_fma_f32 v37, v34, s2, -v36
	v_rndne_f32_e32 v47, v36
	v_fmac_f32_e32 v37, 0x32a5705f, v34
	v_sub_f32_e32 v36, v36, v47
	v_add_f32_e32 v36, v36, v37
	v_exp_f32_e32 v36, v36
	v_cvt_i32_f32_e32 v37, v47
	v_cmp_ngt_f32_e32 vcc, s3, v34
	v_add_f32_e32 v32, v77, v32
	v_ldexp_f32 v36, v36, v37
	v_cndmask_b32_e32 v36, 0, v36, vcc
	v_cmp_nlt_f32_e32 vcc, s10, v34
	v_sub_f32_e32 v34, v86, v111
	s_nop 0
	v_cndmask_b32_e32 v79, v126, v36, vcc
	v_mul_f32_e32 v36, 0x3fb8aa3b, v34
	v_fma_f32 v37, v34, s2, -v36
	v_rndne_f32_e32 v47, v36
	v_fmac_f32_e32 v37, 0x32a5705f, v34
	v_sub_f32_e32 v36, v36, v47
	v_add_f32_e32 v36, v36, v37
	v_exp_f32_e32 v36, v36
	v_cvt_i32_f32_e32 v37, v47
	v_cmp_ngt_f32_e32 vcc, s3, v34
	v_add_f32_e32 v32, v79, v32
	v_cvt_pk_f16_f32 v77, v77, v79
	v_ldexp_f32 v36, v36, v37
	v_cndmask_b32_e32 v36, 0, v36, vcc
	v_cmp_nlt_f32_e32 vcc, s10, v34
	v_sub_f32_e32 v34, v127, v111
	s_nop 0
	v_cndmask_b32_e32 v78, v126, v36, vcc
	v_mul_f32_e32 v36, 0x3fb8aa3b, v34
	v_fma_f32 v37, v34, s2, -v36
	v_rndne_f32_e32 v47, v36
	v_fmac_f32_e32 v37, 0x32a5705f, v34
	v_sub_f32_e32 v36, v36, v47
	v_add_f32_e32 v36, v36, v37
	v_exp_f32_e32 v36, v36
	v_cvt_i32_f32_e32 v37, v47
	v_cmp_ngt_f32_e32 vcc, s3, v34
	v_add_f32_e32 v32, v78, v32
	v_ldexp_f32 v36, v36, v37
	v_cndmask_b32_e32 v36, 0, v36, vcc
	v_cmp_nlt_f32_e32 vcc, s10, v34
	v_sub_f32_e32 v34, v128, v111
	s_nop 0
	v_cndmask_b32_e32 v129, v126, v36, vcc
	v_mul_f32_e32 v36, 0x3fb8aa3b, v34
	v_fma_f32 v37, v34, s2, -v36
	v_rndne_f32_e32 v47, v36
	v_fmac_f32_e32 v37, 0x32a5705f, v34
	v_sub_f32_e32 v36, v36, v47
	v_add_f32_e32 v36, v36, v37
	v_exp_f32_e32 v36, v36
	v_cvt_i32_f32_e32 v37, v47
	v_cmp_ngt_f32_e32 vcc, s3, v34
	v_add_f32_e32 v32, v129, v32
	v_cvt_pk_f16_f32 v78, v78, v129
	v_ldexp_f32 v36, v36, v37
	v_cndmask_b32_e32 v36, 0, v36, vcc
	v_cmp_nlt_f32_e32 vcc, s10, v34
	v_sub_f32_e32 v34, v131, v111
	s_nop 0
	v_cndmask_b32_e32 v130, v126, v36, vcc
	v_mul_f32_e32 v36, 0x3fb8aa3b, v34
	v_fma_f32 v37, v34, s2, -v36
	v_rndne_f32_e32 v47, v36
	v_fmac_f32_e32 v37, 0x32a5705f, v34
	v_sub_f32_e32 v36, v36, v47
	v_add_f32_e32 v36, v36, v37
	v_exp_f32_e32 v36, v36
	v_cvt_i32_f32_e32 v37, v47
	v_cmp_ngt_f32_e32 vcc, s3, v34
	v_add_f32_e32 v32, v130, v32
	v_ldexp_f32 v36, v36, v37
	v_cndmask_b32_e32 v36, 0, v36, vcc
	v_cmp_nlt_f32_e32 vcc, s10, v34
	s_nop 1
	v_cndmask_b32_e32 v131, v126, v36, vcc
	v_add_f32_e32 v86, v131, v32
	v_mul_f32_e32 v32, 0x3fb8aa3b, v30
	v_fma_f32 v34, v30, s2, -v32
	v_rndne_f32_e32 v36, v32
	v_fmac_f32_e32 v34, 0x32a5705f, v30
	v_sub_f32_e32 v32, v32, v36
	v_add_f32_e32 v32, v32, v34
	v_exp_f32_e32 v32, v32
	v_cvt_i32_f32_e32 v34, v36
	v_cmp_ngt_f32_e32 vcc, s3, v30
	v_cvt_pk_f16_f32 v79, v130, v131
	v_ldexp_f32 v32, v32, v34
	v_cndmask_b32_e32 v32, 0, v32, vcc
	v_cmp_nlt_f32_e32 vcc, s10, v30
	s_nop 1
	v_cndmask_b32_e32 v32, v126, v32, vcc
	v_cmp_le_f32_e32 vcc, s11, v30
	s_nop 1
	v_cndmask_b32_e32 v30, 0, v32, vcc
	v_fmac_f32_e32 v86, v29, v30
	v_cvt_f16_f32_e32 v29, v30
	v_cmp_lt_i32_e32 vcc, s34, v110
	s_and_b64 vcc, exec, vcc
	v_mul_u32_u24_e32 v47, 0x10001, v29
	v_pk_mul_f16 v29, v43, v47
	v_pk_mul_f16 v37, v42, v47
	v_lshl_add_u64 v[42:43], v[52:53], 2, s[14:15]
	v_pk_mul_f16 v23, v23, v47
	v_pk_mul_f16 v22, v22, v47
	;; [unrolled: 1-line block ×14, first 2 shown]
	v_lshl_add_u64 v[38:39], v[50:51], 2, s[14:15]
	v_lshl_add_u64 v[46:47], v[42:43], 0, v[72:73]
	;; [unrolled: 1-line block ×7, first 2 shown]
	global_load_dwordx4 v[42:45], v[38:39], off
	v_cvt_f32_f16_e32 v152, v22
	v_cvt_f32_f16_sdwa v153, v22 dst_sel:DWORD dst_unused:UNUSED_PAD src0_sel:WORD_1
	v_cvt_f32_f16_e32 v130, v21
	v_cvt_f32_f16_sdwa v131, v21 dst_sel:DWORD dst_unused:UNUSED_PAD src0_sel:WORD_1
	s_waitcnt vmcnt(0)
	ds_write_b128 v49, v[42:45]
	global_load_dwordx4 v[42:45], v[46:47], off
	v_cvt_pk_f16_f32 v47, v28, v35
	v_cvt_pk_f16_f32 v46, v19, v27
	s_waitcnt vmcnt(0)
	ds_write_b128 v112, v[42:45]
	global_load_dwordx4 v[42:45], v[132:133], off
	v_cvt_f32_f16_e32 v132, v20
	v_cvt_f32_f16_sdwa v133, v20 dst_sel:DWORD dst_unused:UNUSED_PAD src0_sel:WORD_1
	s_waitcnt vmcnt(0)
	ds_write_b128 v113, v[42:45]
	global_load_dwordx4 v[42:45], v[150:151], off
	v_cvt_f32_f16_e32 v150, v23
	v_cvt_f32_f16_sdwa v151, v23 dst_sel:DWORD dst_unused:UNUSED_PAD src0_sel:WORD_1
	s_waitcnt vmcnt(0)
	ds_write_b128 v114, v[42:45]
	s_waitcnt lgkmcnt(0)
	s_barrier
	ds_read_u16 v33, v120 offset:272
	ds_read_u16 v38, v120 offset:544
	ds_read_u16 v22, v121
	ds_read_u16 v39, v121 offset:32
	v_cvt_pk_f16_f32 v45, v18, v26
	v_cvt_pk_f16_f32 v44, v16, v17
	s_waitcnt lgkmcnt(1)
	v_perm_b32 v23, v22, v38, s12
	ds_read_u16 v22, v120
	ds_read_u16 v38, v120 offset:32
	s_waitcnt lgkmcnt(1)
	v_perm_b32 v22, v33, v22, s12
	s_nop 1
	v_mfma_f32_16x16x16_f16 v[150:153], v[22:23], v[44:45], v[150:153]
	ds_read_u16 v23, v120 offset:4352
	ds_read_u16 v26, v120 offset:4624
	;; [unrolled: 1-line block ×4, first 2 shown]
	s_nop 3
	v_cvt_f16_f32_e32 v16, v150
	v_cvt_f16_f32_e32 v17, v151
	;; [unrolled: 1-line block ×4, first 2 shown]
	v_cvt_f32_f16_e32 v150, v16
	v_cvt_f32_f16_e32 v151, v17
	s_waitcnt lgkmcnt(0)
	v_perm_b32 v17, v42, v33, s12
	v_perm_b32 v16, v26, v23, s12
	v_cvt_f32_f16_e32 v152, v18
	v_cvt_f32_f16_e32 v153, v22
	ds_read_u16 v22, v120 offset:8704
	ds_read_u16 v26, v120 offset:8976
	;; [unrolled: 1-line block ×4, first 2 shown]
	v_mfma_f32_16x16x16_f16 v[16:19], v[16:17], v[46:47], v[150:153]
	s_waitcnt lgkmcnt(2)
	v_perm_b32 v22, v26, v22, s12
	s_waitcnt lgkmcnt(0)
	v_perm_b32 v23, v27, v23, s12
	s_nop 3
	v_cvt_f16_f32_e32 v16, v16
	v_cvt_f16_f32_e32 v17, v17
	;; [unrolled: 1-line block ×4, first 2 shown]
	v_cvt_f32_f16_e32 v16, v16
	v_cvt_f32_f16_e32 v17, v17
	;; [unrolled: 1-line block ×4, first 2 shown]
	s_nop 1
	v_mfma_f32_16x16x16_f16 v[16:19], v[22:23], v[76:77], v[16:19]
	ds_read_u16 v22, v120 offset:13056
	ds_read_u16 v26, v120 offset:13328
	;; [unrolled: 1-line block ×4, first 2 shown]
	s_nop 3
	v_cvt_f16_f32_e32 v16, v16
	v_cvt_f16_f32_e32 v17, v17
	;; [unrolled: 1-line block ×4, first 2 shown]
	s_waitcnt lgkmcnt(0)
	v_perm_b32 v23, v27, v23, s12
	v_perm_b32 v22, v26, v22, s12
	v_cvt_f32_f16_e32 v16, v16
	v_cvt_f32_f16_e32 v17, v17
	;; [unrolled: 1-line block ×4, first 2 shown]
	s_nop 1
	v_mfma_f32_16x16x16_f16 v[16:19], v[22:23], v[78:79], v[16:19]
	ds_read_u16 v22, v120 offset:304
	ds_read_u16 v23, v120 offset:576
	;; [unrolled: 1-line block ×6, first 2 shown]
	s_waitcnt lgkmcnt(5)
	v_perm_b32 v20, v22, v38, s12
	s_waitcnt lgkmcnt(4)
	v_perm_b32 v21, v39, v23, s12
	;; [unrolled: 2-line block ×3, first 2 shown]
	v_perm_b32 v26, v28, v26, s12
	v_mfma_f32_16x16x16_f16 v[20:23], v[20:21], v[44:45], v[130:133]
	s_nop 2
	v_cvt_f32_f16_e32 v130, v25
	v_cvt_f32_f16_sdwa v131, v25 dst_sel:DWORD dst_unused:UNUSED_PAD src0_sel:WORD_1
	s_nop 2
	v_cvt_f16_f32_e32 v20, v20
	v_cvt_f16_f32_e32 v21, v21
	;; [unrolled: 1-line block ×4, first 2 shown]
	v_cvt_f32_f16_e32 v20, v20
	v_cvt_f32_f16_e32 v21, v21
	;; [unrolled: 1-line block ×5, first 2 shown]
	v_cvt_f32_f16_sdwa v133, v24 dst_sel:DWORD dst_unused:UNUSED_PAD src0_sel:WORD_1
	v_mfma_f32_16x16x16_f16 v[20:23], v[26:27], v[46:47], v[20:23]
	ds_read_u16 v26, v120 offset:8736
	ds_read_u16 v28, v120 offset:9008
	;; [unrolled: 1-line block ×4, first 2 shown]
	s_nop 3
	v_cvt_f16_f32_e32 v20, v20
	v_cvt_f16_f32_e32 v21, v21
	;; [unrolled: 1-line block ×4, first 2 shown]
	s_waitcnt lgkmcnt(0)
	v_perm_b32 v27, v31, v27, s12
	v_perm_b32 v26, v28, v26, s12
	v_cvt_f32_f16_e32 v20, v20
	v_cvt_f32_f16_e32 v21, v21
	;; [unrolled: 1-line block ×4, first 2 shown]
	s_nop 1
	v_mfma_f32_16x16x16_f16 v[20:23], v[26:27], v[76:77], v[20:23]
	ds_read_u16 v26, v120 offset:13088
	ds_read_u16 v28, v120 offset:13360
	;; [unrolled: 1-line block ×4, first 2 shown]
	s_nop 3
	v_cvt_f16_f32_e32 v20, v20
	v_cvt_f16_f32_e32 v21, v21
	;; [unrolled: 1-line block ×4, first 2 shown]
	s_waitcnt lgkmcnt(0)
	v_perm_b32 v27, v31, v27, s12
	v_perm_b32 v26, v28, v26, s12
	v_cvt_f32_f16_e32 v20, v20
	v_cvt_f32_f16_e32 v21, v21
	;; [unrolled: 1-line block ×4, first 2 shown]
	s_nop 1
	v_mfma_f32_16x16x16_f16 v[20:23], v[26:27], v[78:79], v[20:23]
	ds_read_u16 v26, v120 offset:64
	ds_read_u16 v27, v120 offset:336
	;; [unrolled: 1-line block ×4, first 2 shown]
	s_waitcnt lgkmcnt(2)
	v_perm_b32 v24, v27, v26, s12
	s_nop 1
	v_cvt_pk_f16_f32 v21, v20, v21
	s_waitcnt lgkmcnt(0)
	v_perm_b32 v25, v31, v28, s12
	ds_read_u16 v28, v120 offset:4416
	ds_read_u16 v31, v120 offset:4688
	;; [unrolled: 1-line block ×4, first 2 shown]
	v_mfma_f32_16x16x16_f16 v[24:27], v[24:25], v[44:45], v[130:133]
	s_waitcnt lgkmcnt(0)
	v_perm_b32 v39, v35, v33, s12
	v_perm_b32 v38, v31, v28, s12
	ds_read_u16 v28, v120 offset:8768
	ds_read_u16 v31, v120 offset:9040
	;; [unrolled: 1-line block ×4, first 2 shown]
	s_nop 0
	v_cvt_f16_f32_e32 v24, v24
	v_cvt_f16_f32_e32 v25, v25
	;; [unrolled: 1-line block ×4, first 2 shown]
	v_cvt_f32_f16_e32 v24, v24
	v_cvt_f32_f16_e32 v25, v25
	;; [unrolled: 1-line block ×5, first 2 shown]
	v_cvt_f32_f16_sdwa v133, v29 dst_sel:DWORD dst_unused:UNUSED_PAD src0_sel:WORD_1
	v_mfma_f32_16x16x16_f16 v[24:27], v[38:39], v[46:47], v[24:27]
	s_waitcnt lgkmcnt(0)
	v_perm_b32 v39, v35, v33, s12
	v_perm_b32 v38, v31, v28, s12
	ds_read_u16 v28, v120 offset:13120
	ds_read_u16 v31, v120 offset:13392
	;; [unrolled: 1-line block ×4, first 2 shown]
	s_nop 0
	v_cvt_f16_f32_e32 v24, v24
	v_cvt_f16_f32_e32 v25, v25
	;; [unrolled: 1-line block ×4, first 2 shown]
	v_cvt_f32_f16_e32 v24, v24
	v_cvt_f32_f16_e32 v25, v25
	;; [unrolled: 1-line block ×5, first 2 shown]
	v_cvt_f32_f16_sdwa v131, v30 dst_sel:DWORD dst_unused:UNUSED_PAD src0_sel:WORD_1
	v_mfma_f32_16x16x16_f16 v[24:27], v[38:39], v[76:77], v[24:27]
	s_waitcnt lgkmcnt(0)
	v_perm_b32 v39, v35, v33, s12
	v_perm_b32 v38, v31, v28, s12
	ds_read_u16 v28, v120 offset:96
	ds_read_u16 v31, v120 offset:368
	;; [unrolled: 1-line block ×4, first 2 shown]
	s_nop 0
	v_cvt_f16_f32_e32 v24, v24
	v_cvt_f16_f32_e32 v25, v25
	;; [unrolled: 1-line block ×4, first 2 shown]
	s_waitcnt lgkmcnt(0)
	v_perm_b32 v29, v35, v33, s12
	v_perm_b32 v28, v31, v28, s12
	v_cvt_f32_f16_e32 v24, v24
	v_cvt_f32_f16_e32 v25, v25
	;; [unrolled: 1-line block ×4, first 2 shown]
	v_mfma_f32_16x16x16_f16 v[28:31], v[28:29], v[44:45], v[130:133]
	v_cvt_pk_f16_f32 v20, v22, v23
	v_cvt_pk_f16_f32 v23, v16, v17
	;; [unrolled: 1-line block ×3, first 2 shown]
	v_mfma_f32_16x16x16_f16 v[24:27], v[38:39], v[78:79], v[24:27]
	ds_read_u16 v33, v120 offset:4448
	ds_read_u16 v35, v120 offset:4720
	;; [unrolled: 1-line block ×4, first 2 shown]
	v_cvt_f16_f32_e32 v28, v28
	v_cvt_f16_f32_e32 v29, v29
	;; [unrolled: 1-line block ×4, first 2 shown]
	s_waitcnt lgkmcnt(0)
	v_perm_b32 v39, v39, v38, s12
	v_perm_b32 v38, v35, v33, s12
	v_cvt_f32_f16_e32 v28, v28
	v_cvt_f32_f16_e32 v29, v29
	;; [unrolled: 1-line block ×5, first 2 shown]
	v_cvt_f32_f16_sdwa v133, v32 dst_sel:DWORD dst_unused:UNUSED_PAD src0_sel:WORD_1
	v_mfma_f32_16x16x16_f16 v[28:31], v[38:39], v[46:47], v[28:31]
	ds_read_u16 v33, v120 offset:8800
	ds_read_u16 v35, v120 offset:9072
	;; [unrolled: 1-line block ×4, first 2 shown]
	v_cvt_f32_f16_e32 v130, v34
	v_cvt_f32_f16_sdwa v131, v34 dst_sel:DWORD dst_unused:UNUSED_PAD src0_sel:WORD_1
	s_nop 1
	v_cvt_f16_f32_e32 v28, v28
	v_cvt_f16_f32_e32 v29, v29
	;; [unrolled: 1-line block ×4, first 2 shown]
	s_waitcnt lgkmcnt(0)
	v_perm_b32 v39, v39, v38, s12
	v_perm_b32 v38, v35, v33, s12
	v_cvt_f32_f16_e32 v28, v28
	v_cvt_f32_f16_e32 v29, v29
	;; [unrolled: 1-line block ×4, first 2 shown]
	v_cvt_pk_f16_f32 v25, v24, v25
	v_cvt_pk_f16_f32 v24, v26, v27
	v_mfma_f32_16x16x16_f16 v[28:31], v[38:39], v[76:77], v[28:31]
	ds_read_u16 v33, v120 offset:13152
	ds_read_u16 v35, v120 offset:13424
	;; [unrolled: 1-line block ×4, first 2 shown]
	s_nop 3
	v_cvt_f16_f32_e32 v28, v28
	v_cvt_f16_f32_e32 v29, v29
	;; [unrolled: 1-line block ×4, first 2 shown]
	s_waitcnt lgkmcnt(0)
	v_perm_b32 v39, v39, v38, s12
	v_perm_b32 v38, v35, v33, s12
	v_cvt_f32_f16_e32 v28, v28
	v_cvt_f32_f16_e32 v29, v29
	;; [unrolled: 1-line block ×4, first 2 shown]
	s_nop 1
	v_mfma_f32_16x16x16_f16 v[28:31], v[38:39], v[78:79], v[28:31]
	ds_read_u16 v35, v120 offset:128
	ds_read_u16 v38, v120 offset:400
	;; [unrolled: 1-line block ×4, first 2 shown]
	s_waitcnt lgkmcnt(2)
	v_perm_b32 v32, v38, v35, s12
	s_waitcnt lgkmcnt(0)
	v_perm_b32 v33, v39, v33, s12
	ds_read_u16 v38, v120 offset:4480
	ds_read_u16 v42, v120 offset:4752
	;; [unrolled: 1-line block ×4, first 2 shown]
	v_mfma_f32_16x16x16_f16 v[32:35], v[32:33], v[44:45], v[130:133]
	s_waitcnt lgkmcnt(0)
	v_perm_b32 v39, v43, v39, s12
	v_perm_b32 v38, v42, v38, s12
	v_cvt_f32_f16_e32 v130, v37
	s_nop 3
	v_cvt_f16_f32_e32 v32, v32
	v_cvt_f16_f32_e32 v33, v33
	;; [unrolled: 1-line block ×4, first 2 shown]
	v_cvt_f32_f16_e32 v32, v32
	v_cvt_f32_f16_e32 v33, v33
	;; [unrolled: 1-line block ×4, first 2 shown]
	v_cvt_f32_f16_sdwa v131, v37 dst_sel:DWORD dst_unused:UNUSED_PAD src0_sel:WORD_1
	v_cvt_f32_f16_e32 v132, v36
	v_mfma_f32_16x16x16_f16 v[32:35], v[38:39], v[46:47], v[32:35]
	ds_read_u16 v38, v120 offset:8832
	ds_read_u16 v42, v120 offset:9104
	;; [unrolled: 1-line block ×4, first 2 shown]
	v_cvt_f32_f16_sdwa v133, v36 dst_sel:DWORD dst_unused:UNUSED_PAD src0_sel:WORD_1
	s_nop 2
	v_cvt_f16_f32_e32 v32, v32
	v_cvt_f16_f32_e32 v33, v33
	;; [unrolled: 1-line block ×4, first 2 shown]
	s_waitcnt lgkmcnt(0)
	v_perm_b32 v39, v43, v39, s12
	v_perm_b32 v38, v42, v38, s12
	v_cvt_f32_f16_e32 v32, v32
	v_cvt_f32_f16_e32 v33, v33
	;; [unrolled: 1-line block ×4, first 2 shown]
	s_nop 1
	v_mfma_f32_16x16x16_f16 v[32:35], v[38:39], v[76:77], v[32:35]
	ds_read_u16 v38, v120 offset:13184
	ds_read_u16 v42, v120 offset:13456
	;; [unrolled: 1-line block ×4, first 2 shown]
	s_nop 3
	v_cvt_f16_f32_e32 v32, v32
	v_cvt_f16_f32_e32 v33, v33
	;; [unrolled: 1-line block ×4, first 2 shown]
	s_waitcnt lgkmcnt(0)
	v_perm_b32 v39, v43, v39, s12
	v_perm_b32 v38, v42, v38, s12
	v_cvt_f32_f16_e32 v32, v32
	v_cvt_f32_f16_e32 v33, v33
	;; [unrolled: 1-line block ×4, first 2 shown]
	s_nop 1
	v_mfma_f32_16x16x16_f16 v[32:35], v[38:39], v[78:79], v[32:35]
	ds_read_u16 v38, v120 offset:160
	ds_read_u16 v39, v120 offset:432
	ds_read_u16 v42, v120 offset:704
	ds_read_u16 v43, v121 offset:160
	s_waitcnt lgkmcnt(2)
	v_perm_b32 v36, v39, v38, s12
	s_waitcnt lgkmcnt(0)
	v_perm_b32 v37, v43, v42, s12
	s_nop 1
	v_mfma_f32_16x16x16_f16 v[36:39], v[36:37], v[44:45], v[130:133]
	ds_read_u16 v42, v120 offset:4512
	ds_read_u16 v129, v120 offset:4784
	;; [unrolled: 1-line block ×4, first 2 shown]
	v_cvt_f32_f16_sdwa v131, v41 dst_sel:DWORD dst_unused:UNUSED_PAD src0_sel:WORD_1
	v_cvt_f32_f16_e32 v132, v40
	s_nop 1
	v_cvt_f16_f32_e32 v36, v36
	v_cvt_f16_f32_e32 v37, v37
	;; [unrolled: 1-line block ×4, first 2 shown]
	s_waitcnt lgkmcnt(0)
	v_perm_b32 v43, v130, v43, s12
	v_perm_b32 v42, v129, v42, s12
	v_cvt_f32_f16_e32 v36, v36
	v_cvt_f32_f16_e32 v37, v37
	;; [unrolled: 1-line block ×4, first 2 shown]
	v_cvt_f32_f16_sdwa v133, v40 dst_sel:DWORD dst_unused:UNUSED_PAD src0_sel:WORD_1
	s_nop 0
	v_mfma_f32_16x16x16_f16 v[36:39], v[42:43], v[46:47], v[36:39]
	ds_read_u16 v42, v120 offset:8864
	ds_read_u16 v129, v120 offset:9136
	;; [unrolled: 1-line block ×4, first 2 shown]
	s_nop 3
	v_cvt_f16_f32_e32 v36, v36
	v_cvt_f16_f32_e32 v37, v37
	;; [unrolled: 1-line block ×4, first 2 shown]
	s_waitcnt lgkmcnt(0)
	v_perm_b32 v43, v130, v43, s12
	v_perm_b32 v42, v129, v42, s12
	v_cvt_f32_f16_e32 v36, v36
	v_cvt_f32_f16_e32 v37, v37
	;; [unrolled: 1-line block ×4, first 2 shown]
	s_nop 1
	v_mfma_f32_16x16x16_f16 v[36:39], v[42:43], v[76:77], v[36:39]
	ds_read_u16 v42, v120 offset:13216
	ds_read_u16 v129, v120 offset:13488
	ds_read_u16 v43, v120 offset:13760
	ds_read_u16 v130, v121 offset:13216
	s_nop 3
	v_cvt_f16_f32_e32 v36, v36
	v_cvt_f16_f32_e32 v37, v37
	;; [unrolled: 1-line block ×4, first 2 shown]
	s_waitcnt lgkmcnt(0)
	v_perm_b32 v43, v130, v43, s12
	v_perm_b32 v42, v129, v42, s12
	v_cvt_f32_f16_e32 v36, v36
	v_cvt_f32_f16_e32 v37, v37
	;; [unrolled: 1-line block ×5, first 2 shown]
	s_nop 0
	v_mfma_f32_16x16x16_f16 v[36:39], v[42:43], v[78:79], v[36:39]
	ds_read_u16 v42, v120 offset:192
	ds_read_u16 v43, v120 offset:464
	;; [unrolled: 1-line block ×4, first 2 shown]
	s_waitcnt lgkmcnt(2)
	v_perm_b32 v40, v43, v42, s12
	s_nop 1
	v_cvt_pk_f16_f32 v38, v38, v39
	s_waitcnt lgkmcnt(0)
	v_perm_b32 v41, v149, v129, s12
	v_cvt_pk_f16_f32 v39, v32, v33
	v_cvt_pk_f16_f32 v33, v34, v35
	v_mfma_f32_16x16x16_f16 v[40:43], v[40:41], v[44:45], v[130:133]
	ds_read_u16 v129, v120 offset:4544
	s_nop 1
	ds_read_u16 v130, v120 offset:4816
	ds_read_u16 v131, v120 offset:5088
	;; [unrolled: 1-line block ×3, first 2 shown]
	v_cvt_f32_f16_sdwa v133, v127 dst_sel:DWORD dst_unused:UNUSED_PAD src0_sel:WORD_1
	s_nop 0
	v_cvt_f16_f32_e32 v40, v40
	v_cvt_f16_f32_e32 v41, v41
	;; [unrolled: 1-line block ×4, first 2 shown]
	s_waitcnt lgkmcnt(0)
	v_perm_b32 v131, v132, v131, s12
	v_perm_b32 v130, v130, v129, s12
	v_cvt_f32_f16_e32 v40, v40
	v_cvt_f32_f16_e32 v41, v41
	;; [unrolled: 1-line block ×4, first 2 shown]
	s_nop 1
	v_mfma_f32_16x16x16_f16 v[40:43], v[130:131], v[46:47], v[40:43]
	ds_read_u16 v129, v120 offset:8896
	ds_read_u16 v130, v120 offset:9168
	;; [unrolled: 1-line block ×4, first 2 shown]
	s_nop 3
	v_cvt_f16_f32_e32 v40, v40
	v_cvt_f16_f32_e32 v41, v41
	;; [unrolled: 1-line block ×4, first 2 shown]
	s_waitcnt lgkmcnt(0)
	v_perm_b32 v131, v132, v131, s12
	v_perm_b32 v130, v130, v129, s12
	v_cvt_f32_f16_e32 v40, v40
	v_cvt_f32_f16_e32 v41, v41
	v_cvt_f32_f16_e32 v42, v42
	v_cvt_f32_f16_e32 v43, v43
	s_nop 1
	v_mfma_f32_16x16x16_f16 v[40:43], v[130:131], v[76:77], v[40:43]
	ds_read_u16 v129, v120 offset:13248
	ds_read_u16 v130, v120 offset:13520
	;; [unrolled: 1-line block ×4, first 2 shown]
	s_nop 3
	v_cvt_f16_f32_e32 v40, v40
	v_cvt_f16_f32_e32 v41, v41
	;; [unrolled: 1-line block ×4, first 2 shown]
	s_waitcnt lgkmcnt(0)
	v_perm_b32 v131, v132, v131, s12
	v_perm_b32 v130, v130, v129, s12
	ds_read_u16 v149, v120 offset:224
	ds_read_u16 v150, v120 offset:496
	;; [unrolled: 1-line block ×4, first 2 shown]
	v_cvt_f32_f16_e32 v40, v40
	v_cvt_f32_f16_e32 v41, v41
	;; [unrolled: 1-line block ×4, first 2 shown]
	s_waitcnt lgkmcnt(0)
	v_perm_b32 v129, v151, v129, s12
	v_cvt_f32_f16_e32 v132, v127
	v_mfma_f32_16x16x16_f16 v[40:43], v[130:131], v[78:79], v[40:43]
	v_cvt_f32_f16_e32 v130, v128
	v_cvt_f32_f16_sdwa v131, v128 dst_sel:DWORD dst_unused:UNUSED_PAD src0_sel:WORD_1
	v_perm_b32 v128, v150, v149, s12
	s_nop 1
	v_mfma_f32_16x16x16_f16 v[128:131], v[128:129], v[44:45], v[130:133]
	s_nop 2
	ds_read_u16 v132, v120 offset:4576
	ds_read_u16 v133, v120 offset:4848
	;; [unrolled: 1-line block ×4, first 2 shown]
	v_cvt_pk_f16_f32 v41, v40, v41
	v_cvt_pk_f16_f32 v40, v42, v43
	v_cvt_f16_f32_e32 v44, v128
	v_cvt_f16_f32_e32 v45, v129
	;; [unrolled: 1-line block ×4, first 2 shown]
	v_cvt_f32_f16_e32 v128, v44
	v_cvt_f32_f16_e32 v129, v45
	s_waitcnt lgkmcnt(0)
	v_perm_b32 v45, v150, v149, s12
	v_perm_b32 v44, v133, v132, s12
	v_cvt_f32_f16_e32 v130, v127
	v_cvt_f32_f16_e32 v131, v131
	v_cvt_pk_f16_f32 v42, v36, v37
	v_cvt_pk_f16_f32 v43, v30, v31
	v_mfma_f32_16x16x16_f16 v[44:47], v[44:45], v[46:47], v[128:131]
	ds_read_u16 v127, v120 offset:8928
	s_nop 1
	ds_read_u16 v128, v120 offset:9200
	ds_read_u16 v129, v120 offset:9472
	ds_read_u16 v130, v121 offset:8928
	s_nop 1
	v_cvt_f16_f32_e32 v44, v44
	v_cvt_f16_f32_e32 v45, v45
	;; [unrolled: 1-line block ×4, first 2 shown]
	s_waitcnt lgkmcnt(0)
	v_perm_b32 v129, v130, v129, s12
	v_perm_b32 v128, v128, v127, s12
	v_cvt_f32_f16_e32 v44, v44
	v_cvt_f32_f16_e32 v45, v45
	;; [unrolled: 1-line block ×4, first 2 shown]
	s_nop 1
	v_mfma_f32_16x16x16_f16 v[44:47], v[128:129], v[76:77], v[44:47]
	ds_read_u16 v76, v120 offset:13280
	ds_read_u16 v127, v120 offset:13552
	;; [unrolled: 1-line block ×4, first 2 shown]
	s_waitcnt lgkmcnt(0)
	s_barrier
	s_nop 1
	v_cvt_f16_f32_e32 v44, v44
	v_cvt_f16_f32_e32 v45, v45
	;; [unrolled: 1-line block ×4, first 2 shown]
	v_perm_b32 v77, v128, v77, s12
	v_perm_b32 v76, v127, v76, s12
	v_cvt_f32_f16_e32 v44, v44
	v_cvt_f32_f16_e32 v45, v45
	;; [unrolled: 1-line block ×4, first 2 shown]
	s_nop 1
	v_mfma_f32_16x16x16_f16 v[44:47], v[76:77], v[78:79], v[44:47]
	s_nop 7
	v_cvt_pk_f16_f32 v45, v44, v45
	v_cvt_pk_f16_f32 v44, v46, v47
	;; [unrolled: 1-line block ×3, first 2 shown]
	s_cbranch_vccnz .LBB24_426
; %bb.427:
	v_mov_b64_e32 v[16:17], s[36:37]
	v_mov_b64_e32 v[18:19], s[26:27]
.LBB24_428:
	s_lshl_b32 s8, s34, 6
	s_ashr_i32 s9, s8, 31
	s_lshl_b64 s[2:3], s[8:9], 1
	s_add_u32 s2, s6, s2
	s_addc_u32 s3, s7, s3
	v_mov_b32_e32 v49, 0
	v_lshl_add_u64 v[26:27], s[2:3], 0, v[48:49]
	v_lshl_add_u64 v[28:29], v[58:59], 1, v[26:27]
	;; [unrolled: 1-line block ×3, first 2 shown]
	global_load_dword v32, v[28:29], off
	global_load_dword v47, v[26:27], off
	v_mul_lo_u32 v26, v18, s9
	v_mul_hi_u32 v27, v18, s8
	v_add_u32_e32 v26, v27, v26
	v_mul_lo_u32 v19, v19, s8
	v_add_u32_e32 v19, v26, v19
	v_mul_lo_u32 v18, v18, s8
	v_lshlrev_b64 v[18:19], 2, v[18:19]
	v_lshl_add_u64 v[26:27], s[4:5], 0, v[18:19]
	v_lshl_add_u64 v[28:29], v[64:65], 2, v[26:27]
	v_lshlrev_b64 v[18:19], 2, v[60:61]
	v_lshl_add_u64 v[28:29], v[28:29], 0, v[18:19]
	v_lshl_add_u64 v[30:31], v[66:67], 2, v[26:27]
	;; [unrolled: 1-line block ×7, first 2 shown]
	global_load_dwordx4 v[34:37], v[28:29], off
	global_load_dwordx4 v[62:65], v[30:31], off
	;; [unrolled: 1-line block ×4, first 2 shown]
	v_add_u32_e32 v26, 0, v48
	v_lshlrev_b32_e32 v27, 2, v60
	v_add3_u32 v48, 0, v90, v84
	v_add_u32_e32 v58, v26, v95
	v_add_u32_e32 v26, v26, v96
	v_add3_u32 v28, 0, v97, v27
	v_add3_u32 v29, 0, v107, v27
	;; [unrolled: 1-line block ×4, first 2 shown]
	v_add_u32_e32 v27, 0x2000, v48
	v_cmp_lt_i32_e32 vcc, v93, v92
	s_mov_b32 s4, 0x3fb8aa3b
	s_mov_b32 s3, 0xc2ce8ed0
	;; [unrolled: 1-line block ×3, first 2 shown]
	v_readlane_b32 s12, v255, 2
	v_readlane_b32 s10, v255, 4
	;; [unrolled: 1-line block ×3, first 2 shown]
	s_waitcnt vmcnt(5)
	ds_write_b32 v58, v32 offset:17408
	s_waitcnt vmcnt(4)
	ds_write_b32 v26, v47 offset:17408
	s_waitcnt vmcnt(3)
	ds_write_b128 v28, v[34:37]
	s_waitcnt vmcnt(2)
	ds_write_b128 v29, v[62:65]
	;; [unrolled: 2-line block ×4, first 2 shown]
	v_add_u32_e32 v26, 0x1000, v48
	v_add_u32_e32 v32, 0x3000, v48
	s_waitcnt lgkmcnt(0)
	s_barrier
	ds_read2_b64 v[34:37], v48 offset1:4
	ds_read2_b64 v[62:65], v26 offset0:32 offset1:36
	ds_read2_b64 v[70:73], v27 offset0:64 offset1:68
	;; [unrolled: 1-line block ×3, first 2 shown]
	s_waitcnt lgkmcnt(3)
	v_mfma_f32_16x16x16_f16 v[58:61], v[34:35], v[12:13], 0
	s_waitcnt lgkmcnt(2)
	v_mfma_f32_16x16x16_f16 v[66:69], v[62:63], v[12:13], 0
	;; [unrolled: 2-line block ×4, first 2 shown]
	v_mfma_f32_16x16x16_f16 v[34:37], v[36:37], v[14:15], v[58:61]
	v_mfma_f32_16x16x16_f16 v[58:61], v[64:65], v[14:15], v[66:69]
	;; [unrolled: 1-line block ×3, first 2 shown]
	s_nop 1
	ds_read2_b64 v[66:69], v48 offset0:8 offset1:12
	ds_read2_b64 v[70:73], v26 offset0:40 offset1:44
	v_mfma_f32_16x16x16_f16 v[12:15], v[114:115], v[14:15], v[116:119]
	ds_read2_b64 v[74:77], v27 offset0:72 offset1:76
	ds_read2_b64 v[112:115], v32 offset0:104 offset1:108
	s_waitcnt lgkmcnt(3)
	v_mfma_f32_16x16x16_f16 v[34:37], v[66:67], v[8:9], v[34:37]
	s_waitcnt lgkmcnt(2)
	v_mfma_f32_16x16x16_f16 v[58:61], v[70:71], v[8:9], v[58:61]
	;; [unrolled: 2-line block ×4, first 2 shown]
	v_mfma_f32_16x16x16_f16 v[34:37], v[68:69], v[10:11], v[34:37]
	ds_read2_b64 v[66:69], v26 offset0:48 offset1:52
	v_mfma_f32_16x16x16_f16 v[58:61], v[72:73], v[10:11], v[58:61]
	ds_read2_b64 v[70:73], v27 offset0:80 offset1:84
	;; [unrolled: 2-line block ×3, first 2 shown]
	v_mfma_f32_16x16x16_f16 v[8:11], v[114:115], v[10:11], v[12:15]
	s_nop 2
	ds_read2_b64 v[12:15], v48 offset0:16 offset1:20
	s_waitcnt lgkmcnt(0)
	v_mfma_f32_16x16x16_f16 v[34:37], v[12:13], v[4:5], v[34:37]
	v_mfma_f32_16x16x16_f16 v[58:61], v[66:67], v[4:5], v[58:61]
	;; [unrolled: 1-line block ×6, first 2 shown]
	ds_read2_b64 v[66:69], v27 offset0:88 offset1:92
	v_mfma_f32_16x16x16_f16 v[58:61], v[72:73], v[6:7], v[62:65]
	ds_read2_b64 v[70:73], v32 offset0:120 offset1:124
	s_nop 1
	ds_read2_b64 v[62:65], v48 offset0:24 offset1:28
	v_mfma_f32_16x16x16_f16 v[4:7], v[76:77], v[6:7], v[8:11]
	s_nop 2
	ds_read2_b64 v[8:11], v26 offset0:56 offset1:60
	s_waitcnt lgkmcnt(1)
	v_mfma_f32_16x16x16_f16 v[12:15], v[62:63], v[0:1], v[12:15]
	v_add_u32_e32 v26, 0, v105
	v_lshl_add_u32 v27, v106, 2, v26
	v_lshl_add_u32 v47, v104, 2, v26
	s_waitcnt lgkmcnt(0)
	v_mfma_f32_16x16x16_f16 v[34:37], v[8:9], v[0:1], v[34:37]
	v_lshl_add_u32 v8, v102, 2, v26
	v_lshl_add_u32 v9, v103, 2, v26
	;; [unrolled: 1-line block ×6, first 2 shown]
	v_mfma_f32_16x16x16_f16 v[58:61], v[66:67], v[0:1], v[58:61]
	s_barrier
	v_mfma_f32_16x16x16_f16 v[4:7], v[70:71], v[0:1], v[4:7]
	ds_read_b32 v0, v27 offset:17408
	ds_read_b32 v1, v47 offset:17408
	;; [unrolled: 1-line block ×8, first 2 shown]
	s_waitcnt lgkmcnt(7)
	v_cvt_f32_f16_e32 v63, v0
	v_mfma_f32_16x16x16_f16 v[12:15], v[64:65], v[2:3], v[12:15]
	v_cvt_f32_f16_sdwa v64, v0 dst_sel:DWORD dst_unused:UNUSED_PAD src0_sel:WORD_1
	s_waitcnt lgkmcnt(6)
	v_cvt_f32_f16_e32 v65, v1
	v_mfma_f32_16x16x16_f16 v[8:11], v[10:11], v[2:3], v[34:37]
	v_mfma_f32_16x16x16_f16 v[34:37], v[68:69], v[2:3], v[58:61]
	s_nop 2
	v_cvt_f32_f16_sdwa v58, v1 dst_sel:DWORD dst_unused:UNUSED_PAD src0_sel:WORD_1
	v_mfma_f32_16x16x16_f16 v[0:3], v[72:73], v[2:3], v[4:7]
	s_waitcnt lgkmcnt(5)
	v_cvt_f32_f16_e32 v59, v27
	v_cvt_f32_f16_sdwa v27, v27 dst_sel:DWORD dst_unused:UNUSED_PAD src0_sel:WORD_1
	v_add_f32_e32 v8, v8, v59
	v_add_f32_e32 v4, v12, v63
	s_waitcnt lgkmcnt(4)
	v_cvt_f32_f16_e32 v12, v47
	v_add_f32_e32 v5, v13, v64
	v_cvt_f32_f16_sdwa v13, v47 dst_sel:DWORD dst_unused:UNUSED_PAD src0_sel:WORD_1
	v_add_f32_e32 v6, v14, v65
	v_add_f32_e32 v10, v10, v12
	s_waitcnt lgkmcnt(3)
	v_cvt_f32_f16_e32 v12, v32
	v_add_f32_e32 v11, v11, v13
	v_cvt_f32_f16_sdwa v13, v32 dst_sel:DWORD dst_unused:UNUSED_PAD src0_sel:WORD_1
	s_waitcnt lgkmcnt(1)
	v_cvt_f32_f16_sdwa v32, v62 dst_sel:DWORD dst_unused:UNUSED_PAD src0_sel:WORD_1
	v_add_f32_e32 v12, v34, v12
	s_waitcnt lgkmcnt(0)
	v_cvt_f32_f16_e32 v34, v26
	v_cvt_f32_f16_sdwa v26, v26 dst_sel:DWORD dst_unused:UNUSED_PAD src0_sel:WORD_1
	v_add_f32_e32 v7, v15, v58
	v_cvt_f32_f16_e32 v14, v48
	v_cvt_f32_f16_sdwa v15, v48 dst_sel:DWORD dst_unused:UNUSED_PAD src0_sel:WORD_1
	v_add_f32_e32 v67, v1, v32
	v_add_f32_e32 v68, v2, v34
	;; [unrolled: 1-line block ×5, first 2 shown]
	v_cvt_f32_f16_e32 v27, v62
	v_add_f32_e32 v69, v3, v26
	v_max3_f32 v1, v111, v1, v2
	v_add_f32_e32 v2, 0x40051340, v6
	v_add_f32_e32 v3, 0x40051340, v7
	v_max3_f32 v1, v1, v2, v3
	v_add_f32_e32 v2, 0x40051340, v8
	v_add_f32_e32 v3, 0x40051340, v9
	;; [unrolled: 1-line block ×3, first 2 shown]
	v_max3_f32 v1, v1, v2, v3
	v_add_f32_e32 v2, 0x40051340, v10
	v_add_f32_e32 v3, 0x40051340, v11
	;; [unrolled: 1-line block ×4, first 2 shown]
	v_max3_f32 v1, v1, v2, v3
	v_add_f32_e32 v2, 0x40051340, v12
	v_add_f32_e32 v3, 0x40051340, v13
	;; [unrolled: 1-line block ×3, first 2 shown]
	v_max3_f32 v1, v1, v2, v3
	v_add_f32_e32 v2, 0x40051340, v14
	v_add_f32_e32 v3, 0x40051340, v15
	v_max3_f32 v1, v1, v2, v3
	v_add_f32_e32 v2, 0x40051340, v0
	v_add_f32_e32 v3, 0x40051340, v67
	v_max3_f32 v1, v1, v2, v3
	v_add_f32_e32 v2, 0x40051340, v68
	v_add_f32_e32 v3, 0x40051340, v69
	v_max3_f32 v1, v1, v2, v3
	v_cndmask_b32_e32 v2, v91, v93, vcc
	v_lshlrev_b32_e32 v47, 2, v2
	ds_bpermute_b32 v2, v47, v1
	v_cmp_lt_i32_e32 vcc, v94, v92
	s_waitcnt lgkmcnt(0)
	v_max_f32_e32 v2, v2, v2
	v_max_f32_e32 v1, v1, v2
	v_cndmask_b32_e32 v2, v91, v94, vcc
	v_lshlrev_b32_e32 v48, 2, v2
	ds_bpermute_b32 v2, v48, v1
	s_waitcnt lgkmcnt(0)
	v_max_f32_e32 v2, v2, v2
	v_max_f32_e32 v32, v1, v2
	v_sub_f32_e32 v1, v4, v32
	v_mul_f32_e32 v2, 0x3fb8aa3b, v1
	v_fma_f32 v3, v1, s4, -v2
	v_rndne_f32_e32 v4, v2
	v_fmac_f32_e32 v3, 0x32a5705f, v1
	v_sub_f32_e32 v2, v2, v4
	v_add_f32_e32 v2, v2, v3
	v_exp_f32_e32 v2, v2
	v_cvt_i32_f32_e32 v3, v4
	v_cmp_ngt_f32_e32 vcc, s3, v1
	v_sub_f32_e32 v71, v0, v32
	v_mul_lo_u32 v0, v16, s9
	v_ldexp_f32 v2, v2, v3
	v_sub_f32_e32 v3, v5, v32
	v_mul_f32_e32 v4, 0x3fb8aa3b, v3
	v_fma_f32 v5, v3, s4, -v4
	v_rndne_f32_e32 v26, v4
	v_fmac_f32_e32 v5, 0x32a5705f, v3
	v_sub_f32_e32 v4, v4, v26
	v_add_f32_e32 v4, v4, v5
	v_exp_f32_e32 v5, v4
	v_cvt_i32_f32_e32 v27, v26
	v_cndmask_b32_e32 v2, 0, v2, vcc
	v_mov_b32_e32 v4, 0x7f800000
	v_cmp_nlt_f32_e32 vcc, s2, v1
	v_ldexp_f32 v1, v5, v27
	s_nop 0
	v_cndmask_b32_e32 v26, v4, v2, vcc
	v_sub_f32_e32 v2, v6, v32
	v_mul_f32_e32 v5, 0x3fb8aa3b, v2
	v_fma_f32 v6, v2, s4, -v5
	v_rndne_f32_e32 v27, v5
	v_fmac_f32_e32 v6, 0x32a5705f, v2
	v_sub_f32_e32 v5, v5, v27
	v_add_f32_e32 v5, v5, v6
	v_exp_f32_e32 v5, v5
	v_cvt_i32_f32_e32 v6, v27
	v_cmp_ngt_f32_e32 vcc, s3, v3
	s_nop 1
	v_cndmask_b32_e32 v1, 0, v1, vcc
	v_cmp_nlt_f32_e32 vcc, s2, v3
	v_sub_f32_e32 v3, v7, v32
	s_nop 0
	v_cndmask_b32_e32 v27, v4, v1, vcc
	v_ldexp_f32 v1, v5, v6
	v_mul_f32_e32 v5, 0x3fb8aa3b, v3
	v_fma_f32 v6, v3, s4, -v5
	v_rndne_f32_e32 v7, v5
	v_fmac_f32_e32 v6, 0x32a5705f, v3
	v_sub_f32_e32 v5, v5, v7
	v_add_f32_e32 v5, v5, v6
	v_exp_f32_e32 v5, v5
	v_cvt_i32_f32_e32 v6, v7
	v_cmp_ngt_f32_e32 vcc, s3, v2
	s_nop 1
	v_cndmask_b32_e32 v1, 0, v1, vcc
	v_cmp_nlt_f32_e32 vcc, s2, v2
	v_sub_f32_e32 v2, v8, v32
	s_nop 0
	v_cndmask_b32_e32 v58, v4, v1, vcc
	v_ldexp_f32 v1, v5, v6
	;; [unrolled: 16-line block ×8, first 2 shown]
	v_mul_f32_e32 v5, 0x3fb8aa3b, v2
	v_fma_f32 v6, v2, s4, -v5
	v_rndne_f32_e32 v7, v5
	v_fmac_f32_e32 v6, 0x32a5705f, v2
	v_sub_f32_e32 v5, v5, v7
	v_add_f32_e32 v5, v5, v6
	v_exp_f32_e32 v5, v5
	v_cvt_i32_f32_e32 v6, v7
	v_cmp_ngt_f32_e32 vcc, s3, v3
	s_nop 1
	v_cndmask_b32_e32 v1, 0, v1, vcc
	v_cmp_nlt_f32_e32 vcc, s2, v3
	s_nop 1
	v_cndmask_b32_e32 v65, v4, v1, vcc
	v_ldexp_f32 v1, v5, v6
	v_sub_f32_e32 v5, v15, v32
	v_mul_f32_e32 v3, 0x3fb8aa3b, v5
	v_fma_f32 v6, v5, s4, -v3
	v_rndne_f32_e32 v7, v3
	v_cmp_ngt_f32_e32 vcc, s3, v2
	v_fmac_f32_e32 v6, 0x32a5705f, v5
	v_sub_f32_e32 v3, v3, v7
	v_cndmask_b32_e32 v1, 0, v1, vcc
	v_cmp_nlt_f32_e32 vcc, s2, v2
	v_add_f32_e32 v3, v3, v6
	v_exp_f32_e32 v3, v3
	v_cndmask_b32_e32 v66, v4, v1, vcc
	v_mul_hi_u32 v1, v16, s8
	v_cvt_i32_f32_e32 v6, v7
	v_add_u32_e32 v0, v1, v0
	v_mul_lo_u32 v1, v17, s8
	v_add_u32_e32 v1, v0, v1
	v_mul_lo_u32 v0, v16, s8
	v_lshlrev_b64 v[0:1], 2, v[0:1]
	v_lshl_add_u64 v[0:1], s[0:1], 0, v[0:1]
	v_ldexp_f32 v70, v3, v6
	v_lshl_add_u64 v[2:3], v[50:51], 2, v[0:1]
	v_lshl_add_u64 v[6:7], v[2:3], 0, v[18:19]
	;; [unrolled: 1-line block ×8, first 2 shown]
	global_load_dwordx4 v[0:3], v[6:7], off
	global_load_dwordx4 v[12:15], v[8:9], off
	global_load_dwordx4 v[16:19], v[10:11], off
	global_load_dwordx4 v[34:37], v[50:51], off
	v_mul_f32_e32 v6, 0x3fb8aa3b, v71
	v_fma_f32 v7, v71, s4, -v6
	v_rndne_f32_e32 v8, v6
	v_fmac_f32_e32 v7, 0x32a5705f, v71
	v_sub_f32_e32 v6, v6, v8
	v_add_f32_e32 v6, v6, v7
	v_exp_f32_e32 v6, v6
	v_cvt_i32_f32_e32 v7, v8
	v_cmp_ngt_f32_e32 vcc, s3, v5
	v_sub_f32_e32 v11, v111, v32
	v_mul_f32_e32 v53, 0x3fb8aa3b, v11
	v_cndmask_b32_e32 v8, 0, v70, vcc
	v_cmp_nlt_f32_e32 vcc, s2, v5
	v_ldexp_f32 v5, v6, v7
	v_sub_f32_e32 v6, v67, v32
	v_mul_f32_e32 v7, 0x3fb8aa3b, v6
	v_cndmask_b32_e32 v50, v4, v8, vcc
	v_fma_f32 v8, v6, s4, -v7
	v_rndne_f32_e32 v9, v7
	v_fmac_f32_e32 v8, 0x32a5705f, v6
	v_sub_f32_e32 v7, v7, v9
	v_add_f32_e32 v7, v7, v8
	v_exp_f32_e32 v7, v7
	v_cvt_i32_f32_e32 v8, v9
	v_cmp_ngt_f32_e32 vcc, s3, v71
	v_fma_f32 v54, v11, s4, -v53
	v_rndne_f32_e32 v55, v53
	v_cndmask_b32_e32 v5, 0, v5, vcc
	v_cmp_nlt_f32_e32 vcc, s2, v71
	v_fmac_f32_e32 v54, 0x32a5705f, v11
	v_sub_f32_e32 v53, v53, v55
	v_cndmask_b32_e32 v51, v4, v5, vcc
	v_ldexp_f32 v5, v7, v8
	v_sub_f32_e32 v8, v68, v32
	v_mul_f32_e32 v7, 0x3fb8aa3b, v8
	v_fma_f32 v9, v8, s4, -v7
	v_rndne_f32_e32 v10, v7
	v_fmac_f32_e32 v9, 0x32a5705f, v8
	v_sub_f32_e32 v7, v7, v10
	v_add_f32_e32 v7, v7, v9
	v_exp_f32_e32 v7, v7
	v_cvt_i32_f32_e32 v9, v10
	v_cmp_ngt_f32_e32 vcc, s3, v6
	v_add_f32_e32 v53, v53, v54
	v_exp_f32_e32 v53, v53
	v_cndmask_b32_e32 v5, 0, v5, vcc
	v_cmp_nlt_f32_e32 vcc, s2, v6
	v_cvt_i32_f32_e32 v54, v55
	s_mov_b32 s0, 0xc1a00000
	v_cndmask_b32_e32 v52, v4, v5, vcc
	v_ldexp_f32 v5, v7, v9
	v_sub_f32_e32 v7, v69, v32
	v_mul_f32_e32 v6, 0x3fb8aa3b, v7
	v_fma_f32 v9, v7, s4, -v6
	v_rndne_f32_e32 v10, v6
	v_cmp_ngt_f32_e32 vcc, s3, v8
	v_fmac_f32_e32 v9, 0x32a5705f, v7
	v_sub_f32_e32 v6, v6, v10
	v_cndmask_b32_e32 v5, 0, v5, vcc
	v_add_f32_e32 v6, v6, v9
	v_cvt_i32_f32_e32 v9, v10
	v_ldexp_f32 v10, v53, v54
	v_cmp_ngt_f32_e32 vcc, s3, v11
	v_exp_f32_e32 v6, v6
	s_waitcnt vmcnt(3)
	ds_write_b128 v28, v[0:3]
	s_waitcnt vmcnt(2)
	ds_write_b128 v29, v[12:15]
	;; [unrolled: 2-line block ×4, first 2 shown]
	v_cndmask_b32_e32 v10, 0, v10, vcc
	v_cmp_nlt_f32_e32 vcc, s2, v11
	s_waitcnt lgkmcnt(0)
	s_barrier
	v_cndmask_b32_e32 v10, v4, v10, vcc
	v_cmp_le_f32_e32 vcc, s0, v11
	s_mov_b32 s0, 0x5040100
	s_nop 0
	v_cndmask_b32_e32 v53, 0, v10, vcc
	v_cvt_f16_f32_e32 v11, v53
	v_cmp_nlt_f32_e32 vcc, s2, v8
	v_ldexp_f32 v10, v6, v9
	v_add3_u32 v6, 0, v89, v87
	v_mul_u32_u24_e32 v55, 0x10001, v11
	v_cndmask_b32_e32 v54, v4, v5, vcc
	v_pk_mul_f16 v8, v23, v55
	v_pk_mul_f16 v9, v22, v55
	v_add3_u32 v5, 0, v88, v87
	v_cvt_f32_f16_e32 v0, v8
	v_cvt_f32_f16_sdwa v1, v8 dst_sel:DWORD dst_unused:UNUSED_PAD src0_sel:WORD_1
	v_cvt_f32_f16_e32 v2, v9
	v_cvt_f32_f16_sdwa v3, v9 dst_sel:DWORD dst_unused:UNUSED_PAD src0_sel:WORD_1
	ds_read_u16 v11, v5 offset:544
	ds_read_u16 v8, v5 offset:576
	;; [unrolled: 1-line block ×8, first 2 shown]
	ds_read_u16 v13, v6
	ds_read_u16 v17, v6 offset:32
	ds_read_u16 v23, v6 offset:64
	;; [unrolled: 1-line block ×7, first 2 shown]
	s_waitcnt lgkmcnt(7)
	v_perm_b32 v15, v13, v11, s0
	ds_read_u16 v11, v5
	ds_read_u16 v13, v5 offset:32
	ds_read_u16 v69, v5 offset:64
	;; [unrolled: 1-line block ×15, first 2 shown]
	s_waitcnt lgkmcnt(7)
	v_perm_b32 v14, v14, v11, s0
	v_cvt_pk_f16_f32 v29, v58, v59
	v_cvt_pk_f16_f32 v28, v26, v27
	v_cmp_ngt_f32_e32 vcc, s3, v7
	v_cvt_pk_f16_f32 v31, v62, v63
	v_mfma_f32_16x16x16_f16 v[0:3], v[14:15], v[28:29], v[0:3]
	v_cndmask_b32_e32 v19, 0, v10, vcc
	ds_read_u16 v10, v5 offset:4896
	ds_read_u16 v14, v5 offset:4928
	;; [unrolled: 1-line block ×16, first 2 shown]
	s_waitcnt lgkmcnt(7)
	v_perm_b32 v11, v11, v10, s0
	v_cvt_f16_f32_e32 v0, v0
	v_cvt_f16_f32_e32 v1, v1
	;; [unrolled: 1-line block ×4, first 2 shown]
	ds_read_u16 v10, v5 offset:4352
	ds_read_u16 v103, v5 offset:4384
	;; [unrolled: 1-line block ×16, first 2 shown]
	s_waitcnt lgkmcnt(7)
	v_perm_b32 v10, v30, v10, s0
	v_cvt_f32_f16_e32 v0, v0
	v_cvt_f32_f16_e32 v1, v1
	;; [unrolled: 1-line block ×4, first 2 shown]
	v_cvt_pk_f16_f32 v30, v60, v61
	v_cmp_nlt_f32_e32 vcc, s2, v7
	v_cvt_pk_f16_f32 v35, v66, v50
	v_mfma_f32_16x16x16_f16 v[0:3], v[10:11], v[30:31], v[0:3]
	v_cndmask_b32_e32 v117, v4, v19, vcc
	ds_read_u16 v4, v5 offset:9248
	ds_read_u16 v19, v5 offset:9280
	;; [unrolled: 1-line block ×16, first 2 shown]
	s_waitcnt lgkmcnt(7)
	v_perm_b32 v11, v7, v4, s0
	v_cvt_f16_f32_e32 v0, v0
	v_cvt_f16_f32_e32 v1, v1
	;; [unrolled: 1-line block ×4, first 2 shown]
	ds_read_u16 v4, v5 offset:8704
	ds_read_u16 v131, v5 offset:8736
	;; [unrolled: 1-line block ×16, first 2 shown]
	s_waitcnt lgkmcnt(7)
	v_perm_b32 v10, v7, v4, s0
	v_cvt_f32_f16_e32 v0, v0
	v_cvt_f32_f16_e32 v1, v1
	;; [unrolled: 1-line block ×4, first 2 shown]
	v_cvt_pk_f16_f32 v34, v64, v65
	ds_read_u16 v4, v5 offset:13600
	ds_read_u16 v160, v5 offset:13632
	;; [unrolled: 1-line block ×16, first 2 shown]
	v_mfma_f32_16x16x16_f16 v[0:3], v[10:11], v[34:35], v[0:3]
	s_waitcnt lgkmcnt(7)
	v_perm_b32 v7, v7, v4, s0
	ds_read_u16 v4, v5 offset:13056
	ds_read_u16 v174, v5 offset:13088
	;; [unrolled: 1-line block ×16, first 2 shown]
	s_waitcnt lgkmcnt(7)
	v_perm_b32 v6, v6, v4, s0
	v_cvt_f16_f32_e32 v0, v0
	v_cvt_f16_f32_e32 v1, v1
	;; [unrolled: 1-line block ×4, first 2 shown]
	v_cvt_f32_f16_e32 v0, v0
	v_cvt_f32_f16_e32 v1, v1
	;; [unrolled: 1-line block ×4, first 2 shown]
	v_pk_mul_f16 v21, v21, v55
	v_pk_mul_f16 v20, v20, v55
	v_cvt_pk_f16_f32 v37, v54, v117
	v_cvt_pk_f16_f32 v36, v51, v52
	v_perm_b32 v11, v17, v8, s0
	v_perm_b32 v10, v18, v13, s0
	v_mfma_f32_16x16x16_f16 v[0:3], v[6:7], v[36:37], v[0:3]
	v_cvt_f32_f16_e32 v4, v21
	v_cvt_f32_f16_sdwa v5, v21 dst_sel:DWORD dst_unused:UNUSED_PAD src0_sel:WORD_1
	v_cvt_f32_f16_e32 v6, v20
	v_cvt_f32_f16_sdwa v7, v20 dst_sel:DWORD dst_unused:UNUSED_PAD src0_sel:WORD_1
	v_pk_mul_f16 v8, v25, v55
	v_pk_mul_f16 v13, v24, v55
	v_mfma_f32_16x16x16_f16 v[4:7], v[10:11], v[28:29], v[4:7]
	v_perm_b32 v11, v96, v14, s0
	v_perm_b32 v10, v110, v103, s0
	v_cvt_f32_f16_e32 v18, v8
	v_perm_b32 v9, v23, v9, s0
	s_nop 3
	v_cvt_f16_f32_e32 v4, v4
	v_cvt_f16_f32_e32 v5, v5
	;; [unrolled: 1-line block ×4, first 2 shown]
	v_cvt_f32_f16_e32 v4, v4
	v_cvt_f32_f16_e32 v5, v5
	;; [unrolled: 1-line block ×5, first 2 shown]
	v_cvt_f32_f16_sdwa v21, v13 dst_sel:DWORD dst_unused:UNUSED_PAD src0_sel:WORD_1
	v_mfma_f32_16x16x16_f16 v[4:7], v[10:11], v[30:31], v[4:7]
	v_perm_b32 v11, v124, v19, s0
	v_perm_b32 v10, v153, v131, s0
	v_cvt_f32_f16_sdwa v19, v8 dst_sel:DWORD dst_unused:UNUSED_PAD src0_sel:WORD_1
	v_perm_b32 v8, v78, v69, s0
	s_nop 3
	v_cvt_f16_f32_e32 v4, v4
	v_cvt_f16_f32_e32 v5, v5
	;; [unrolled: 1-line block ×4, first 2 shown]
	v_cvt_f32_f16_e32 v4, v4
	v_cvt_f32_f16_e32 v5, v5
	;; [unrolled: 1-line block ×4, first 2 shown]
	v_perm_b32 v15, v97, v15, s0
	v_perm_b32 v14, v111, v104, s0
	v_mfma_f32_16x16x16_f16 v[4:7], v[10:11], v[34:35], v[4:7]
	v_perm_b32 v11, v167, v160, s0
	s_waitcnt lgkmcnt(6)
	v_perm_b32 v10, v181, v174, s0
	v_pk_mul_f16 v13, v46, v55
	v_pk_mul_f16 v17, v43, v55
	s_nop 2
	v_cvt_f16_f32_e32 v4, v4
	v_cvt_f16_f32_e32 v5, v5
	;; [unrolled: 1-line block ×4, first 2 shown]
	v_cvt_f32_f16_e32 v4, v4
	v_cvt_f32_f16_e32 v5, v5
	;; [unrolled: 1-line block ×4, first 2 shown]
	v_pk_mul_f16 v23, v42, v55
	v_pk_mul_f16 v24, v38, v55
	v_mfma_f32_16x16x16_f16 v[4:7], v[10:11], v[36:37], v[4:7]
	v_cvt_f32_f16_sdwa v69, v23 dst_sel:DWORD dst_unused:UNUSED_PAD src0_sel:WORD_1
	v_perm_b32 v25, v100, v93, s0
	v_perm_b32 v43, v73, v57, s0
	v_mfma_f32_16x16x16_f16 v[8:11], v[8:9], v[28:29], v[18:21]
	v_perm_b32 v42, v90, v77, s0
	s_mov_b32 s1, 0
	v_cmp_gt_u32_e32 vcc, 16, v80
	v_cvt_f32_f16_e32 v18, v13
	v_cvt_f32_f16_sdwa v19, v13 dst_sel:DWORD dst_unused:UNUSED_PAD src0_sel:WORD_1
	s_nop 2
	v_cvt_f16_f32_e32 v8, v8
	v_cvt_f16_f32_e32 v9, v9
	;; [unrolled: 1-line block ×4, first 2 shown]
	v_cvt_f32_f16_e32 v8, v8
	v_cvt_f32_f16_e32 v9, v9
	;; [unrolled: 1-line block ×4, first 2 shown]
	v_perm_b32 v13, v67, v12, s0
	v_perm_b32 v12, v79, v70, s0
	v_mfma_f32_16x16x16_f16 v[8:11], v[14:15], v[30:31], v[8:11]
	v_perm_b32 v15, v125, v118, s0
	v_perm_b32 v14, v154, v132, s0
	v_cvt_f32_f16_e32 v20, v17
	v_cvt_f32_f16_sdwa v21, v17 dst_sel:DWORD dst_unused:UNUSED_PAD src0_sel:WORD_1
	s_nop 3
	v_cvt_f16_f32_e32 v8, v8
	v_cvt_f16_f32_e32 v9, v9
	;; [unrolled: 1-line block ×4, first 2 shown]
	v_cvt_f32_f16_e32 v8, v8
	v_cvt_f32_f16_e32 v9, v9
	v_cvt_f32_f16_e32 v10, v10
	v_cvt_f32_f16_e32 v11, v11
	v_pk_mul_f16 v17, v39, v55
	v_cvt_f32_f16_e32 v70, v24
	v_mfma_f32_16x16x16_f16 v[8:11], v[14:15], v[34:35], v[8:11]
	v_perm_b32 v15, v168, v161, s0
	s_waitcnt lgkmcnt(5)
	v_perm_b32 v14, v182, v175, s0
	s_waitcnt lgkmcnt(0)
	s_barrier
	s_nop 2
	v_cvt_f16_f32_e32 v8, v8
	v_cvt_f16_f32_e32 v9, v9
	;; [unrolled: 1-line block ×4, first 2 shown]
	v_cvt_f32_f16_e32 v8, v8
	v_cvt_f32_f16_e32 v9, v9
	;; [unrolled: 1-line block ×4, first 2 shown]
	s_nop 1
	v_mfma_f32_16x16x16_f16 v[8:11], v[14:15], v[36:37], v[8:11]
	s_barrier
	v_mfma_f32_16x16x16_f16 v[12:15], v[12:13], v[28:29], v[18:21]
	s_nop 2
	v_perm_b32 v19, v98, v91, s0
	v_perm_b32 v18, v112, v105, s0
	s_nop 2
	v_cvt_f16_f32_e32 v12, v12
	v_cvt_f16_f32_e32 v13, v13
	;; [unrolled: 1-line block ×4, first 2 shown]
	v_cvt_f32_f16_e32 v12, v12
	v_cvt_f32_f16_e32 v13, v13
	;; [unrolled: 1-line block ×4, first 2 shown]
	v_pk_mul_f16 v21, v33, v55
	v_pk_mul_f16 v33, v41, v55
	v_mfma_f32_16x16x16_f16 v[12:15], v[18:19], v[30:31], v[12:15]
	v_perm_b32 v19, v126, v119, s0
	v_perm_b32 v18, v155, v133, s0
	v_cvt_f32_f16_e32 v20, v21
	v_cvt_f32_f16_sdwa v21, v21 dst_sel:DWORD dst_unused:UNUSED_PAD src0_sel:WORD_1
	s_nop 3
	v_cvt_f16_f32_e32 v12, v12
	v_cvt_f16_f32_e32 v13, v13
	;; [unrolled: 1-line block ×4, first 2 shown]
	v_cvt_f32_f16_e32 v12, v12
	v_cvt_f32_f16_e32 v13, v13
	;; [unrolled: 1-line block ×4, first 2 shown]
	v_pk_mul_f16 v41, v40, v55
	v_cvt_f32_f16_e32 v38, v33
	v_mfma_f32_16x16x16_f16 v[12:15], v[18:19], v[34:35], v[12:15]
	v_perm_b32 v19, v169, v162, s0
	v_perm_b32 v18, v183, v176, s0
	v_cvt_f32_f16_sdwa v39, v33 dst_sel:DWORD dst_unused:UNUSED_PAD src0_sel:WORD_1
	v_cvt_f32_f16_e32 v40, v41
	s_nop 3
	v_cvt_f16_f32_e32 v12, v12
	v_cvt_f16_f32_e32 v13, v13
	;; [unrolled: 1-line block ×4, first 2 shown]
	v_cvt_f32_f16_e32 v12, v12
	v_cvt_f32_f16_e32 v13, v13
	;; [unrolled: 1-line block ×4, first 2 shown]
	v_cvt_f32_f16_sdwa v41, v41 dst_sel:DWORD dst_unused:UNUSED_PAD src0_sel:WORD_1
	s_nop 0
	v_mfma_f32_16x16x16_f16 v[12:15], v[18:19], v[36:37], v[12:15]
	v_cvt_f32_f16_e32 v18, v17
	v_cvt_f32_f16_sdwa v19, v17 dst_sel:DWORD dst_unused:UNUSED_PAD src0_sel:WORD_1
	v_perm_b32 v17, v68, v16, s0
	v_perm_b32 v16, v87, v74, s0
	v_cvt_f32_f16_e32 v68, v23
	s_nop 0
	v_mfma_f32_16x16x16_f16 v[16:19], v[16:17], v[28:29], v[18:21]
	s_nop 2
	v_perm_b32 v21, v99, v92, s0
	v_perm_b32 v20, v113, v106, s0
	s_nop 2
	v_cvt_f16_f32_e32 v16, v16
	v_cvt_f16_f32_e32 v17, v17
	v_cvt_f16_f32_e32 v18, v18
	v_cvt_f16_f32_e32 v19, v19
	v_cvt_f32_f16_e32 v16, v16
	v_cvt_f32_f16_e32 v17, v17
	v_cvt_f32_f16_e32 v18, v18
	v_cvt_f32_f16_e32 v19, v19
	s_nop 1
	v_mfma_f32_16x16x16_f16 v[16:19], v[20:21], v[30:31], v[16:19]
	v_perm_b32 v21, v127, v120, s0
	v_perm_b32 v20, v156, v149, s0
	s_nop 5
	v_cvt_f16_f32_e32 v16, v16
	v_cvt_f16_f32_e32 v17, v17
	v_cvt_f16_f32_e32 v18, v18
	v_cvt_f16_f32_e32 v19, v19
	v_cvt_f32_f16_e32 v16, v16
	v_cvt_f32_f16_e32 v17, v17
	v_cvt_f32_f16_e32 v18, v18
	v_cvt_f32_f16_e32 v19, v19
	s_nop 1
	v_mfma_f32_16x16x16_f16 v[16:19], v[20:21], v[34:35], v[16:19]
	;; [unrolled: 13-line block ×3, first 2 shown]
	v_perm_b32 v21, v71, v22, s0
	v_perm_b32 v20, v88, v75, s0
	v_cvt_f32_f16_sdwa v71, v24 dst_sel:DWORD dst_unused:UNUSED_PAD src0_sel:WORD_1
	v_perm_b32 v24, v114, v107, s0
	s_nop 0
	v_mfma_f32_16x16x16_f16 v[20:23], v[20:21], v[28:29], v[68:71]
	s_nop 7
	v_cvt_f16_f32_e32 v20, v20
	v_cvt_f16_f32_e32 v21, v21
	v_cvt_f16_f32_e32 v22, v22
	v_cvt_f16_f32_e32 v23, v23
	v_cvt_f32_f16_e32 v20, v20
	v_cvt_f32_f16_e32 v21, v21
	v_cvt_f32_f16_e32 v22, v22
	v_cvt_f32_f16_e32 v23, v23
	s_nop 1
	v_mfma_f32_16x16x16_f16 v[20:23], v[24:25], v[30:31], v[20:23]
	v_perm_b32 v25, v128, v121, s0
	v_perm_b32 v24, v157, v150, s0
	s_nop 5
	v_cvt_f16_f32_e32 v20, v20
	v_cvt_f16_f32_e32 v21, v21
	v_cvt_f16_f32_e32 v22, v22
	v_cvt_f16_f32_e32 v23, v23
	v_cvt_f32_f16_e32 v20, v20
	v_cvt_f32_f16_e32 v21, v21
	v_cvt_f32_f16_e32 v22, v22
	v_cvt_f32_f16_e32 v23, v23
	s_nop 1
	v_mfma_f32_16x16x16_f16 v[20:23], v[24:25], v[34:35], v[20:23]
	v_perm_b32 v25, v171, v164, s0
	v_perm_b32 v24, v185, v178, s0
	;; [unrolled: 13-line block ×3, first 2 shown]
	s_nop 1
	v_mfma_f32_16x16x16_f16 v[38:41], v[24:25], v[28:29], v[38:41]
	s_nop 7
	v_cvt_f16_f32_e32 v24, v38
	v_cvt_f16_f32_e32 v25, v39
	v_cvt_f16_f32_e32 v33, v40
	v_cvt_f16_f32_e32 v41, v41
	v_cvt_f32_f16_e32 v38, v24
	v_cvt_f32_f16_e32 v39, v25
	v_perm_b32 v25, v101, v94, s0
	v_perm_b32 v24, v115, v108, s0
	v_cvt_f32_f16_e32 v40, v33
	v_cvt_f32_f16_e32 v41, v41
	v_add_f32_e32 v33, v26, v27
	v_add_f32_e32 v33, v58, v33
	v_mfma_f32_16x16x16_f16 v[24:27], v[24:25], v[30:31], v[38:41]
	v_add_f32_e32 v33, v59, v33
	v_add_f32_e32 v33, v60, v33
	s_nop 0
	v_perm_b32 v39, v129, v122, s0
	v_perm_b32 v38, v158, v151, s0
	s_nop 2
	v_cvt_f16_f32_e32 v24, v24
	v_cvt_f16_f32_e32 v25, v25
	;; [unrolled: 1-line block ×4, first 2 shown]
	v_cvt_f32_f16_e32 v24, v24
	v_cvt_f32_f16_e32 v25, v25
	;; [unrolled: 1-line block ×4, first 2 shown]
	v_pk_mul_f16 v40, v45, v55
	v_pk_mul_f16 v41, v44, v55
	v_mfma_f32_16x16x16_f16 v[24:27], v[38:39], v[34:35], v[24:27]
	v_perm_b32 v39, v172, v165, s0
	v_perm_b32 v38, v186, v179, s0
	v_add_f32_e32 v33, v61, v33
	v_add_f32_e32 v33, v62, v33
	s_nop 3
	v_cvt_f16_f32_e32 v24, v24
	v_cvt_f16_f32_e32 v25, v25
	;; [unrolled: 1-line block ×4, first 2 shown]
	v_cvt_f32_f16_e32 v24, v24
	v_cvt_f32_f16_e32 v25, v25
	;; [unrolled: 1-line block ×4, first 2 shown]
	v_add_f32_e32 v33, v63, v33
	v_add_f32_e32 v33, v64, v33
	v_mfma_f32_16x16x16_f16 v[24:27], v[38:39], v[36:37], v[24:27]
	v_cvt_f32_f16_e32 v38, v40
	v_cvt_f32_f16_sdwa v39, v40 dst_sel:DWORD dst_unused:UNUSED_PAD src0_sel:WORD_1
	v_cvt_f32_f16_e32 v40, v41
	v_cvt_f32_f16_sdwa v41, v41 dst_sel:DWORD dst_unused:UNUSED_PAD src0_sel:WORD_1
	v_add_f32_e32 v33, v65, v33
	v_add_f32_e32 v33, v66, v33
	v_mfma_f32_16x16x16_f16 v[38:41], v[42:43], v[28:29], v[38:41]
	v_add_f32_e32 v33, v50, v33
	v_add_f32_e32 v33, v51, v33
	;; [unrolled: 1-line block ×4, first 2 shown]
	s_nop 3
	v_cvt_f16_f32_e32 v28, v38
	v_cvt_f16_f32_e32 v29, v39
	;; [unrolled: 1-line block ×4, first 2 shown]
	v_cvt_f32_f16_e32 v38, v28
	v_cvt_f32_f16_e32 v39, v29
	v_perm_b32 v29, v102, v95, s0
	v_perm_b32 v28, v116, v109, s0
	v_cvt_f32_f16_e32 v40, v40
	v_cvt_f32_f16_e32 v41, v41
	v_add_f32_e32 v33, v117, v33
	v_fmac_f32_e32 v33, v86, v53
	v_mfma_f32_16x16x16_f16 v[28:31], v[28:29], v[30:31], v[38:41]
	s_nop 2
	v_perm_b32 v39, v130, v123, s0
	v_perm_b32 v38, v159, v152, s0
	s_nop 2
	v_cvt_f16_f32_e32 v28, v28
	v_cvt_f16_f32_e32 v29, v29
	;; [unrolled: 1-line block ×4, first 2 shown]
	v_cvt_f32_f16_e32 v28, v28
	v_cvt_f32_f16_e32 v29, v29
	;; [unrolled: 1-line block ×4, first 2 shown]
	s_nop 1
	v_mfma_f32_16x16x16_f16 v[28:31], v[38:39], v[34:35], v[28:31]
	ds_bpermute_b32 v38, v47, v33
	v_perm_b32 v35, v173, v166, s0
	v_perm_b32 v34, v187, v180, s0
	s_waitcnt lgkmcnt(0)
	v_add_f32_e32 v33, v33, v38
	s_nop 2
	v_cvt_f16_f32_e32 v28, v28
	v_cvt_f16_f32_e32 v29, v29
	;; [unrolled: 1-line block ×4, first 2 shown]
	v_cvt_f32_f16_e32 v28, v28
	v_cvt_f32_f16_e32 v29, v29
	;; [unrolled: 1-line block ×4, first 2 shown]
	s_nop 1
	v_mfma_f32_16x16x16_f16 v[28:31], v[34:35], v[36:37], v[28:31]
	ds_bpermute_b32 v34, v48, v33
	s_and_saveexec_b64 s[4:5], vcc
	s_cbranch_execz .LBB24_430
; %bb.429:
	v_readlane_b32 s0, v255, 5
	s_add_i32 s0, s0, s10
	s_lshl_b32 s0, s0, 6
	s_lshl_b64 s[2:3], s[0:1], 3
	s_add_u32 s2, s22, s2
	s_addc_u32 s3, s23, s3
	v_or_b32_e32 v48, v85, v80
	v_lshl_add_u64 v[36:37], v[48:49], 3, s[2:3]
	s_waitcnt lgkmcnt(0)
	v_add_f32_e32 v33, v33, v34
	global_store_dwordx2 v[36:37], v[32:33], off
.LBB24_430:
	s_or_b64 exec, exec, s[4:5]
	s_load_dword s0, s[12:13], 0x0
	s_load_dword s2, s[12:13], 0x10
	v_cvt_pk_f16_f32 v2, v2, v3
	v_cvt_pk_f16_f32 v3, v4, v5
	v_cvt_pk_f16_f32 v5, v8, v9
	v_cvt_pk_f16_f32 v9, v16, v17
	s_waitcnt lgkmcnt(0)
	s_lshr_b32 s2, s2, 16
	v_or_b32_e32 v16, v85, v83
	s_cmp_lg_u32 s2, 0
	v_mul_i32_i24_e32 v16, 0x110, v16
	s_cselect_b64 s[2:3], -1, 0
	v_cvt_pk_f16_f32 v0, v0, v1
	v_cvt_pk_f16_f32 v4, v10, v11
	s_movk_i32 s4, 0x110
	v_add3_u32 v16, 0, v84, v16
	s_cmp_lg_u64 s[2:3], 0
	v_cvt_pk_f16_f32 v1, v6, v7
	v_cvt_pk_f16_f32 v6, v14, v15
	;; [unrolled: 1-line block ×10, first 2 shown]
	s_addc_u32 s0, s0, 0
	ds_write2_b32 v16, v0, v2 offset1:1
	ds_write2_b32 v16, v3, v1 offset0:8 offset1:9
	ds_write2_b32 v16, v5, v4 offset0:16 offset1:17
	;; [unrolled: 1-line block ×7, first 2 shown]
	v_mad_u32_u24 v4, v145, s4, v82
	s_lshl_b32 s0, s0, 7
	s_waitcnt lgkmcnt(0)
	s_barrier
	ds_read_b32 v1, v4
	ds_read_b32 v3, v4 offset:1088
	ds_read_b32 v5, v4 offset:2176
	;; [unrolled: 1-line block ×7, first 2 shown]
	s_lshl_b32 s2, s10, 12
	s_mov_b32 s3, s1
	s_lshl_b64 s[0:1], s[0:1], 3
	s_waitcnt lgkmcnt(7)
	v_cvt_f32_f16_e32 v0, v1
	v_cvt_f32_f16_sdwa v1, v1 dst_sel:DWORD dst_unused:UNUSED_PAD src0_sel:WORD_1
	s_add_u32 s5, s22, s0
	v_lshlrev_b32_e32 v2, 6, v145
	s_addc_u32 s6, s23, s1
	s_lshl_b64 s[0:1], s[2:3], 3
	v_add_lshl_u32 v11, v2, v80, 3
	s_waitcnt lgkmcnt(6)
	v_cvt_f32_f16_e32 v2, v3
	v_cvt_f32_f16_sdwa v3, v3 dst_sel:DWORD dst_unused:UNUSED_PAD src0_sel:WORD_1
	s_add_u32 s0, s5, s0
	s_addc_u32 s1, s6, s1
	v_pk_add_f32 v[0:1], v[0:1], 0 op_sel_hi:[1,0]
	global_store_dwordx2 v11, v[0:1], s[0:1]
	v_lshlrev_b32_e32 v0, 6, v148
	v_add_lshl_u32 v11, v0, v80, 3
	v_pk_add_f32 v[0:1], v[2:3], 0 op_sel_hi:[1,0]
	s_waitcnt lgkmcnt(5)
	v_cvt_f32_f16_e32 v2, v5
	v_cvt_f32_f16_sdwa v3, v5 dst_sel:DWORD dst_unused:UNUSED_PAD src0_sel:WORD_1
	global_store_dwordx2 v11, v[0:1], s[0:1]
	v_lshlrev_b32_e32 v0, 6, v147
	v_add_lshl_u32 v5, v0, v80, 3
	v_pk_add_f32 v[0:1], v[2:3], 0 op_sel_hi:[1,0]
	s_waitcnt lgkmcnt(4)
	v_cvt_f32_f16_e32 v2, v6
	v_cvt_f32_f16_sdwa v3, v6 dst_sel:DWORD dst_unused:UNUSED_PAD src0_sel:WORD_1
	global_store_dwordx2 v5, v[0:1], s[0:1]
	v_lshlrev_b32_e32 v0, 6, v146
	v_add_lshl_u32 v5, v0, v80, 3
	v_pk_add_f32 v[0:1], v[2:3], 0 op_sel_hi:[1,0]
	v_and_b32_e32 v2, 15, v145
	s_movk_i32 s2, 0x7f0
	v_and_or_b32 v3, v144, s2, v2
	v_and_or_b32 v6, v140, s2, v2
	v_mad_u32_u24 v3, v3, s4, v82
	v_mad_u32_u24 v6, v6, s4, v82
	v_and_or_b32 v2, v136, s2, v2
	v_mad_u32_u24 v2, v2, s4, v82
	ds_read_b32 v3, v3
	ds_read_b32 v6, v6
	ds_read_b32 v11, v4 offset:10880
	ds_read_b32 v12, v4 offset:11968
	ds_read_b32 v13, v2
	ds_read_b32 v14, v4 offset:14144
	ds_read_b32 v15, v4 offset:15232
	;; [unrolled: 1-line block ×3, first 2 shown]
	s_waitcnt lgkmcnt(7)
	v_cvt_f32_f16_e32 v2, v3
	v_cvt_f32_f16_sdwa v3, v3 dst_sel:DWORD dst_unused:UNUSED_PAD src0_sel:WORD_1
	global_store_dwordx2 v5, v[0:1], s[0:1]
	v_lshlrev_b32_e32 v0, 6, v144
	v_add_lshl_u32 v5, v0, v80, 3
	v_pk_add_f32 v[0:1], v[2:3], 0 op_sel_hi:[1,0]
	v_cvt_f32_f16_e32 v2, v7
	v_cvt_f32_f16_sdwa v3, v7 dst_sel:DWORD dst_unused:UNUSED_PAD src0_sel:WORD_1
	global_store_dwordx2 v5, v[0:1], s[0:1]
	v_lshlrev_b32_e32 v0, 6, v143
	v_add_lshl_u32 v5, v0, v80, 3
	v_pk_add_f32 v[0:1], v[2:3], 0 op_sel_hi:[1,0]
	;; [unrolled: 6-line block ×4, first 2 shown]
	s_waitcnt lgkmcnt(6)
	v_cvt_f32_f16_e32 v2, v6
	v_cvt_f32_f16_sdwa v3, v6 dst_sel:DWORD dst_unused:UNUSED_PAD src0_sel:WORD_1
	global_store_dwordx2 v5, v[0:1], s[0:1]
	v_lshlrev_b32_e32 v0, 6, v140
	v_add_lshl_u32 v5, v0, v80, 3
	v_pk_add_f32 v[0:1], v[2:3], 0 op_sel_hi:[1,0]
	v_cvt_f32_f16_e32 v2, v10
	v_cvt_f32_f16_sdwa v3, v10 dst_sel:DWORD dst_unused:UNUSED_PAD src0_sel:WORD_1
	global_store_dwordx2 v5, v[0:1], s[0:1]
	v_lshlrev_b32_e32 v0, 6, v139
	v_add_lshl_u32 v5, v0, v80, 3
	v_pk_add_f32 v[0:1], v[2:3], 0 op_sel_hi:[1,0]
	s_waitcnt lgkmcnt(5)
	v_cvt_f32_f16_e32 v2, v11
	v_cvt_f32_f16_sdwa v3, v11 dst_sel:DWORD dst_unused:UNUSED_PAD src0_sel:WORD_1
	global_store_dwordx2 v5, v[0:1], s[0:1]
	v_lshlrev_b32_e32 v0, 6, v138
	v_add_lshl_u32 v5, v0, v80, 3
	v_pk_add_f32 v[0:1], v[2:3], 0 op_sel_hi:[1,0]
	s_waitcnt lgkmcnt(4)
	;; [unrolled: 7-line block ×6, first 2 shown]
	v_cvt_f32_f16_e32 v2, v4
	v_cvt_f32_f16_sdwa v3, v4 dst_sel:DWORD dst_unused:UNUSED_PAD src0_sel:WORD_1
	global_store_dwordx2 v5, v[0:1], s[0:1]
	v_lshlrev_b32_e32 v0, 6, v81
	v_add_lshl_u32 v4, v0, v80, 3
	v_pk_add_f32 v[0:1], v[2:3], 0 op_sel_hi:[1,0]
	global_store_dwordx2 v4, v[0:1], s[0:1]
.LBB24_431:
	s_endpgm
	.section	.rodata,"a",@progbits
	.p2align	6, 0x0
	.amdhsa_kernel _ZL18flash_attn_ext_f16ILi128ELi128ELi16ELi4ELb0ELb0EEvPKcS1_S1_S1_S1_PKiPfP15HIP_vector_typeIfLj2EEffffjfiS5_IjLj3EEiiiiiiiiiiiliiliiiiil
		.amdhsa_group_segment_fixed_size 0
		.amdhsa_private_segment_fixed_size 44
		.amdhsa_kernarg_size 464
		.amdhsa_user_sgpr_count 2
		.amdhsa_user_sgpr_dispatch_ptr 0
		.amdhsa_user_sgpr_queue_ptr 0
		.amdhsa_user_sgpr_kernarg_segment_ptr 1
		.amdhsa_user_sgpr_dispatch_id 0
		.amdhsa_user_sgpr_kernarg_preload_length 0
		.amdhsa_user_sgpr_kernarg_preload_offset 0
		.amdhsa_user_sgpr_private_segment_size 0
		.amdhsa_uses_dynamic_stack 0
		.amdhsa_enable_private_segment 1
		.amdhsa_system_sgpr_workgroup_id_x 1
		.amdhsa_system_sgpr_workgroup_id_y 0
		.amdhsa_system_sgpr_workgroup_id_z 0
		.amdhsa_system_sgpr_workgroup_info 0
		.amdhsa_system_vgpr_workitem_id 1
		.amdhsa_next_free_vgpr 256
		.amdhsa_next_free_sgpr 100
		.amdhsa_accum_offset 256
		.amdhsa_reserve_vcc 1
		.amdhsa_float_round_mode_32 0
		.amdhsa_float_round_mode_16_64 0
		.amdhsa_float_denorm_mode_32 3
		.amdhsa_float_denorm_mode_16_64 3
		.amdhsa_dx10_clamp 1
		.amdhsa_ieee_mode 1
		.amdhsa_fp16_overflow 0
		.amdhsa_tg_split 0
		.amdhsa_exception_fp_ieee_invalid_op 0
		.amdhsa_exception_fp_denorm_src 0
		.amdhsa_exception_fp_ieee_div_zero 0
		.amdhsa_exception_fp_ieee_overflow 0
		.amdhsa_exception_fp_ieee_underflow 0
		.amdhsa_exception_fp_ieee_inexact 0
		.amdhsa_exception_int_div_zero 0
	.end_amdhsa_kernel
	.section	.text._ZL18flash_attn_ext_f16ILi128ELi128ELi16ELi4ELb0ELb0EEvPKcS1_S1_S1_S1_PKiPfP15HIP_vector_typeIfLj2EEffffjfiS5_IjLj3EEiiiiiiiiiiiliiliiiiil,"axG",@progbits,_ZL18flash_attn_ext_f16ILi128ELi128ELi16ELi4ELb0ELb0EEvPKcS1_S1_S1_S1_PKiPfP15HIP_vector_typeIfLj2EEffffjfiS5_IjLj3EEiiiiiiiiiiiliiliiiiil,comdat
.Lfunc_end24:
	.size	_ZL18flash_attn_ext_f16ILi128ELi128ELi16ELi4ELb0ELb0EEvPKcS1_S1_S1_S1_PKiPfP15HIP_vector_typeIfLj2EEffffjfiS5_IjLj3EEiiiiiiiiiiiliiliiiiil, .Lfunc_end24-_ZL18flash_attn_ext_f16ILi128ELi128ELi16ELi4ELb0ELb0EEvPKcS1_S1_S1_S1_PKiPfP15HIP_vector_typeIfLj2EEffffjfiS5_IjLj3EEiiiiiiiiiiiliiliiiiil
                                        ; -- End function
	.set _ZL18flash_attn_ext_f16ILi128ELi128ELi16ELi4ELb0ELb0EEvPKcS1_S1_S1_S1_PKiPfP15HIP_vector_typeIfLj2EEffffjfiS5_IjLj3EEiiiiiiiiiiiliiliiiiil.num_vgpr, 256
	.set _ZL18flash_attn_ext_f16ILi128ELi128ELi16ELi4ELb0ELb0EEvPKcS1_S1_S1_S1_PKiPfP15HIP_vector_typeIfLj2EEffffjfiS5_IjLj3EEiiiiiiiiiiiliiliiiiil.num_agpr, 0
	.set _ZL18flash_attn_ext_f16ILi128ELi128ELi16ELi4ELb0ELb0EEvPKcS1_S1_S1_S1_PKiPfP15HIP_vector_typeIfLj2EEffffjfiS5_IjLj3EEiiiiiiiiiiiliiliiiiil.numbered_sgpr, 100
	.set _ZL18flash_attn_ext_f16ILi128ELi128ELi16ELi4ELb0ELb0EEvPKcS1_S1_S1_S1_PKiPfP15HIP_vector_typeIfLj2EEffffjfiS5_IjLj3EEiiiiiiiiiiiliiliiiiil.num_named_barrier, 0
	.set _ZL18flash_attn_ext_f16ILi128ELi128ELi16ELi4ELb0ELb0EEvPKcS1_S1_S1_S1_PKiPfP15HIP_vector_typeIfLj2EEffffjfiS5_IjLj3EEiiiiiiiiiiiliiliiiiil.private_seg_size, 44
	.set _ZL18flash_attn_ext_f16ILi128ELi128ELi16ELi4ELb0ELb0EEvPKcS1_S1_S1_S1_PKiPfP15HIP_vector_typeIfLj2EEffffjfiS5_IjLj3EEiiiiiiiiiiiliiliiiiil.uses_vcc, 1
	.set _ZL18flash_attn_ext_f16ILi128ELi128ELi16ELi4ELb0ELb0EEvPKcS1_S1_S1_S1_PKiPfP15HIP_vector_typeIfLj2EEffffjfiS5_IjLj3EEiiiiiiiiiiiliiliiiiil.uses_flat_scratch, 0
	.set _ZL18flash_attn_ext_f16ILi128ELi128ELi16ELi4ELb0ELb0EEvPKcS1_S1_S1_S1_PKiPfP15HIP_vector_typeIfLj2EEffffjfiS5_IjLj3EEiiiiiiiiiiiliiliiiiil.has_dyn_sized_stack, 0
	.set _ZL18flash_attn_ext_f16ILi128ELi128ELi16ELi4ELb0ELb0EEvPKcS1_S1_S1_S1_PKiPfP15HIP_vector_typeIfLj2EEffffjfiS5_IjLj3EEiiiiiiiiiiiliiliiiiil.has_recursion, 0
	.set _ZL18flash_attn_ext_f16ILi128ELi128ELi16ELi4ELb0ELb0EEvPKcS1_S1_S1_S1_PKiPfP15HIP_vector_typeIfLj2EEffffjfiS5_IjLj3EEiiiiiiiiiiiliiliiiiil.has_indirect_call, 0
	.section	.AMDGPU.csdata,"",@progbits
; Kernel info:
; codeLenInByte = 61292
; TotalNumSgprs: 106
; NumVgprs: 256
; NumAgprs: 0
; TotalNumVgprs: 256
; ScratchSize: 44
; MemoryBound: 0
; FloatMode: 240
; IeeeMode: 1
; LDSByteSize: 0 bytes/workgroup (compile time only)
; SGPRBlocks: 13
; VGPRBlocks: 31
; NumSGPRsForWavesPerEU: 106
; NumVGPRsForWavesPerEU: 256
; AccumOffset: 256
; Occupancy: 2
; WaveLimiterHint : 0
; COMPUTE_PGM_RSRC2:SCRATCH_EN: 1
; COMPUTE_PGM_RSRC2:USER_SGPR: 2
; COMPUTE_PGM_RSRC2:TRAP_HANDLER: 0
; COMPUTE_PGM_RSRC2:TGID_X_EN: 1
; COMPUTE_PGM_RSRC2:TGID_Y_EN: 0
; COMPUTE_PGM_RSRC2:TGID_Z_EN: 0
; COMPUTE_PGM_RSRC2:TIDIG_COMP_CNT: 1
; COMPUTE_PGM_RSRC3_GFX90A:ACCUM_OFFSET: 63
; COMPUTE_PGM_RSRC3_GFX90A:TG_SPLIT: 0
	.section	.text._ZL18flash_attn_ext_f16ILi128ELi128ELi16ELi4ELb1ELb0EEvPKcS1_S1_S1_S1_PKiPfP15HIP_vector_typeIfLj2EEffffjfiS5_IjLj3EEiiiiiiiiiiiliiliiiiil,"axG",@progbits,_ZL18flash_attn_ext_f16ILi128ELi128ELi16ELi4ELb1ELb0EEvPKcS1_S1_S1_S1_PKiPfP15HIP_vector_typeIfLj2EEffffjfiS5_IjLj3EEiiiiiiiiiiiliiliiiiil,comdat
	.globl	_ZL18flash_attn_ext_f16ILi128ELi128ELi16ELi4ELb1ELb0EEvPKcS1_S1_S1_S1_PKiPfP15HIP_vector_typeIfLj2EEffffjfiS5_IjLj3EEiiiiiiiiiiiliiliiiiil ; -- Begin function _ZL18flash_attn_ext_f16ILi128ELi128ELi16ELi4ELb1ELb0EEvPKcS1_S1_S1_S1_PKiPfP15HIP_vector_typeIfLj2EEffffjfiS5_IjLj3EEiiiiiiiiiiiliiliiiiil
	.p2align	8
	.type	_ZL18flash_attn_ext_f16ILi128ELi128ELi16ELi4ELb1ELb0EEvPKcS1_S1_S1_S1_PKiPfP15HIP_vector_typeIfLj2EEffffjfiS5_IjLj3EEiiiiiiiiiiiliiliiiiil,@function
_ZL18flash_attn_ext_f16ILi128ELi128ELi16ELi4ELb1ELb0EEvPKcS1_S1_S1_S1_PKiPfP15HIP_vector_typeIfLj2EEffffjfiS5_IjLj3EEiiiiiiiiiiiliiliiiiil: ; @_ZL18flash_attn_ext_f16ILi128ELi128ELi16ELi4ELb1ELb0EEvPKcS1_S1_S1_S1_PKiPfP15HIP_vector_typeIfLj2EEffffjfiS5_IjLj3EEiiiiiiiiiiiliiliiiiil
; %bb.0:
	s_load_dwordx2 s[4:5], s[0:1], 0x80
	s_load_dwordx4 s[24:27], s[0:1], 0x64
	s_mov_b32 s28, s2
                                        ; implicit-def: $vgpr255 : SGPR spill to VGPR lane
	s_mov_b32 s6, 0
	s_waitcnt lgkmcnt(0)
	s_abs_i32 s2, s5
	v_cvt_f32_u32_e32 v1, s2
	s_sub_i32 s8, 0, s2
	s_abs_i32 s7, s25
	s_xor_b32 s3, s25, s5
	v_rcp_iflag_f32_e32 v1, v1
	s_ashr_i32 s3, s3, 31
	v_mul_f32_e32 v1, 0x4f7ffffe, v1
	v_cvt_u32_f32_e32 v1, v1
	s_nop 0
	v_readfirstlane_b32 s9, v1
	s_mul_i32 s8, s8, s9
	s_mul_hi_u32 s8, s9, s8
	s_add_i32 s9, s9, s8
	s_mul_hi_u32 s8, s7, s9
	s_mul_i32 s9, s8, s2
	s_sub_i32 s7, s7, s9
	s_add_i32 s10, s8, 1
	s_sub_i32 s9, s7, s2
	s_cmp_ge_u32 s7, s2
	s_cselect_b32 s8, s10, s8
	s_cselect_b32 s7, s9, s7
	s_add_i32 s9, s8, 1
	s_cmp_ge_u32 s7, s2
	s_cselect_b32 s2, s9, s8
	s_add_i32 s4, s4, 63
	s_xor_b32 s2, s2, s3
	s_ashr_i32 s7, s4, 31
	s_sub_i32 s3, s2, s3
	s_lshr_b32 s2, s7, 26
	s_add_i32 s4, s4, s2
	s_add_i32 s2, s24, 15
	s_lshr_b32 s7, s2, 4
	s_add_i32 s2, s3, 3
	s_ashr_i32 s52, s4, 6
	s_ashr_i32 s4, s2, 31
	s_lshr_b32 s4, s4, 30
	s_add_i32 s2, s2, s4
	s_ashr_i32 s2, s2, 2
	v_writelane_b32 v255, s7, 0
	s_mul_i32 s4, s7, s52
	v_writelane_b32 v255, s4, 1
	s_mul_i32 s2, s4, s2
	;; [unrolled: 2-line block ×4, first 2 shown]
	s_ashr_i32 s10, s2, 31
	s_mul_i32 s4, s10, s28
	s_mul_hi_u32 s5, s2, s28
	s_add_i32 s7, s5, s4
	s_load_dword s26, s[0:1], 0xd0
	s_add_u32 s4, s0, 0xd0
	s_addc_u32 s5, s1, 0
	v_writelane_b32 v255, s4, 4
	s_cmp_lg_u64 s[6:7], 0
	s_mul_i32 s6, s2, s28
	v_writelane_b32 v255, s5, 5
	s_cbranch_scc0 .LBB25_679
; %bb.1:
	s_waitcnt lgkmcnt(0)
	s_add_u32 s4, s26, 0
	s_addc_u32 s5, 0, 0
	s_xor_b64 s[8:9], s[4:5], 0
	v_cvt_f32_u32_e32 v1, s8
	v_cvt_f32_u32_e32 v2, s9
	s_sub_u32 s11, 0, s8
	s_subb_u32 s14, 0, s9
	v_fmamk_f32 v1, v2, 0x4f800000, v1
	v_rcp_f32_e32 v1, v1
	s_nop 0
	v_mul_f32_e32 v1, 0x5f7ffffc, v1
	v_mul_f32_e32 v2, 0x2f800000, v1
	v_trunc_f32_e32 v2, v2
	v_fmamk_f32 v1, v2, 0xcf800000, v1
	v_cvt_u32_f32_e32 v2, v2
	v_cvt_u32_f32_e32 v1, v1
	v_readfirstlane_b32 s15, v2
	v_readfirstlane_b32 s12, v1
	s_mul_i32 s13, s11, s15
	s_mul_hi_u32 s17, s11, s12
	s_mul_i32 s16, s14, s12
	s_add_i32 s13, s17, s13
	s_add_i32 s13, s13, s16
	s_mul_i32 s18, s11, s12
	s_mul_i32 s17, s12, s13
	s_mul_hi_u32 s19, s12, s18
	s_mul_hi_u32 s16, s12, s13
	s_add_u32 s17, s19, s17
	s_addc_u32 s16, 0, s16
	s_mul_hi_u32 s20, s15, s18
	s_mul_i32 s18, s15, s18
	s_add_u32 s17, s17, s18
	s_mul_hi_u32 s19, s15, s13
	s_addc_u32 s16, s16, s20
	s_addc_u32 s17, s19, 0
	s_mul_i32 s13, s15, s13
	s_add_u32 s13, s16, s13
	s_addc_u32 s16, 0, s17
	s_add_u32 s17, s12, s13
	s_cselect_b64 s[12:13], -1, 0
	s_cmp_lg_u64 s[12:13], 0
	s_addc_u32 s15, s15, s16
	s_mul_i32 s12, s11, s15
	s_mul_hi_u32 s13, s11, s17
	s_add_i32 s12, s13, s12
	s_mul_i32 s14, s14, s17
	s_add_i32 s12, s12, s14
	s_mul_i32 s11, s11, s17
	s_mul_hi_u32 s14, s15, s11
	s_mul_i32 s16, s15, s11
	s_mul_i32 s19, s17, s12
	s_mul_hi_u32 s11, s17, s11
	s_mul_hi_u32 s18, s17, s12
	s_add_u32 s11, s11, s19
	s_addc_u32 s18, 0, s18
	s_add_u32 s11, s11, s16
	s_mul_hi_u32 s13, s15, s12
	s_addc_u32 s11, s18, s14
	s_addc_u32 s13, s13, 0
	s_mul_i32 s12, s15, s12
	s_add_u32 s11, s11, s12
	s_addc_u32 s14, 0, s13
	s_add_u32 s11, s17, s11
	s_cselect_b64 s[12:13], -1, 0
	s_cmp_lg_u64 s[12:13], 0
	s_addc_u32 s16, s15, s14
	s_ashr_i32 s12, s7, 31
	s_add_u32 s14, s6, s12
	s_mov_b32 s13, s12
	s_addc_u32 s15, s7, s12
	s_xor_b64 s[14:15], s[14:15], s[12:13]
	s_mul_i32 s17, s14, s16
	s_mul_hi_u32 s18, s14, s11
	s_mul_hi_u32 s7, s14, s16
	s_add_u32 s17, s18, s17
	s_addc_u32 s7, 0, s7
	s_mul_hi_u32 s19, s15, s11
	s_mul_i32 s11, s15, s11
	s_add_u32 s11, s17, s11
	s_mul_hi_u32 s18, s15, s16
	s_addc_u32 s7, s7, s19
	s_addc_u32 s11, s18, 0
	s_mul_i32 s16, s15, s16
	s_add_u32 s7, s7, s16
	s_addc_u32 s11, 0, s11
	s_mul_i32 s16, s8, s11
	s_mul_hi_u32 s17, s8, s7
	s_add_i32 s16, s17, s16
	s_mul_i32 s17, s9, s7
	s_add_i32 s20, s16, s17
	s_sub_i32 s18, s15, s20
	s_mul_i32 s16, s8, s7
	s_sub_u32 s14, s14, s16
	s_cselect_b64 s[16:17], -1, 0
	s_cmp_lg_u64 s[16:17], 0
	s_subb_u32 s21, s18, s9
	s_sub_u32 s22, s14, s8
	s_cselect_b64 s[18:19], -1, 0
	s_cmp_lg_u64 s[18:19], 0
	s_subb_u32 s18, s21, 0
	s_cmp_ge_u32 s18, s9
	s_cselect_b32 s19, -1, 0
	s_cmp_ge_u32 s22, s8
	s_cselect_b32 s21, -1, 0
	s_cmp_eq_u32 s18, s9
	s_cselect_b32 s18, s21, s19
	s_add_u32 s19, s7, 1
	s_addc_u32 s21, s11, 0
	s_add_u32 s22, s7, 2
	s_addc_u32 s23, s11, 0
	s_cmp_lg_u32 s18, 0
	s_cselect_b32 s18, s22, s19
	s_cselect_b32 s19, s23, s21
	s_cmp_lg_u64 s[16:17], 0
	s_subb_u32 s15, s15, s20
	s_cmp_ge_u32 s15, s9
	s_cselect_b32 s16, -1, 0
	s_cmp_ge_u32 s14, s8
	s_cselect_b32 s8, -1, 0
	s_cmp_eq_u32 s15, s9
	s_cselect_b32 s8, s8, s16
	s_cmp_lg_u32 s8, 0
	s_cselect_b32 s9, s19, s11
	s_cselect_b32 s8, s18, s7
	s_xor_b64 s[12:13], s[12:13], 0
	s_xor_b64 s[8:9], s[8:9], s[12:13]
	s_sub_u32 s50, s8, s12
	s_load_dwordx2 s[48:49], s[0:1], 0x74
	v_cvt_f32_u32_e32 v1, s26
	s_cbranch_execnz .LBB25_3
.LBB25_2:
	v_rcp_iflag_f32_e32 v2, v1
	s_sub_i32 s4, 0, s26
	v_mul_f32_e32 v2, 0x4f7ffffe, v2
	v_cvt_u32_f32_e32 v2, v2
	s_nop 0
	v_readfirstlane_b32 s5, v2
	s_mul_i32 s4, s4, s5
	s_mul_hi_u32 s4, s5, s4
	s_add_i32 s5, s5, s4
	s_mul_hi_u32 s4, s6, s5
	s_mul_i32 s7, s4, s26
	s_sub_i32 s6, s6, s7
	s_add_i32 s5, s4, 1
	s_sub_i32 s7, s6, s26
	s_cmp_ge_u32 s6, s26
	s_cselect_b32 s4, s5, s4
	s_cselect_b32 s6, s7, s6
	s_add_i32 s5, s4, 1
	s_cmp_ge_u32 s6, s26
	s_cselect_b32 s50, s5, s4
.LBB25_3:
	s_add_i32 s4, s28, 1
	s_mul_i32 s5, s10, s4
	s_mul_hi_u32 s6, s2, s4
	s_add_i32 s9, s6, s5
	s_mov_b32 s8, 0
	s_cmp_lg_u64 s[8:9], 0
	s_mul_i32 s2, s2, s4
	v_writelane_b32 v255, s28, 6
	s_cbranch_scc0 .LBB25_680
; %bb.4:
	s_add_u32 s4, s26, 0
	s_addc_u32 s5, 0, 0
	s_xor_b64 s[6:7], s[4:5], 0
	v_cvt_f32_u32_e32 v2, s6
	v_cvt_f32_u32_e32 v3, s7
	s_sub_u32 s8, 0, s6
	s_subb_u32 s12, 0, s7
	v_fmamk_f32 v2, v3, 0x4f800000, v2
	v_rcp_f32_e32 v2, v2
	s_nop 0
	v_mul_f32_e32 v2, 0x5f7ffffc, v2
	v_mul_f32_e32 v3, 0x2f800000, v2
	v_trunc_f32_e32 v3, v3
	v_fmamk_f32 v2, v3, 0xcf800000, v2
	v_cvt_u32_f32_e32 v3, v3
	v_cvt_u32_f32_e32 v2, v2
	v_readfirstlane_b32 s13, v3
	v_readfirstlane_b32 s10, v2
	s_mul_i32 s11, s8, s13
	s_mul_hi_u32 s15, s8, s10
	s_mul_i32 s14, s12, s10
	s_add_i32 s11, s15, s11
	s_add_i32 s11, s11, s14
	s_mul_i32 s16, s8, s10
	s_mul_i32 s15, s10, s11
	s_mul_hi_u32 s17, s10, s16
	s_mul_hi_u32 s14, s10, s11
	s_add_u32 s15, s17, s15
	s_addc_u32 s14, 0, s14
	s_mul_hi_u32 s18, s13, s16
	s_mul_i32 s16, s13, s16
	s_add_u32 s15, s15, s16
	s_mul_hi_u32 s17, s13, s11
	s_addc_u32 s14, s14, s18
	s_addc_u32 s15, s17, 0
	s_mul_i32 s11, s13, s11
	s_add_u32 s11, s14, s11
	s_addc_u32 s14, 0, s15
	s_add_u32 s15, s10, s11
	s_cselect_b64 s[10:11], -1, 0
	s_cmp_lg_u64 s[10:11], 0
	s_addc_u32 s13, s13, s14
	s_mul_i32 s10, s8, s13
	s_mul_hi_u32 s11, s8, s15
	s_add_i32 s10, s11, s10
	s_mul_i32 s12, s12, s15
	s_add_i32 s10, s10, s12
	s_mul_i32 s8, s8, s15
	s_mul_hi_u32 s12, s13, s8
	s_mul_i32 s14, s13, s8
	s_mul_i32 s17, s15, s10
	s_mul_hi_u32 s8, s15, s8
	s_mul_hi_u32 s16, s15, s10
	s_add_u32 s8, s8, s17
	s_addc_u32 s16, 0, s16
	s_add_u32 s8, s8, s14
	s_mul_hi_u32 s11, s13, s10
	s_addc_u32 s8, s16, s12
	s_addc_u32 s11, s11, 0
	s_mul_i32 s10, s13, s10
	s_add_u32 s8, s8, s10
	s_addc_u32 s12, 0, s11
	s_add_u32 s14, s15, s8
	s_cselect_b64 s[10:11], -1, 0
	s_cmp_lg_u64 s[10:11], 0
	s_addc_u32 s12, s13, s12
	s_ashr_i32 s10, s9, 31
	s_add_u32 s8, s2, s10
	s_mov_b32 s11, s10
	s_addc_u32 s9, s9, s10
	s_xor_b64 s[8:9], s[8:9], s[10:11]
	s_mul_i32 s15, s8, s12
	s_mul_hi_u32 s16, s8, s14
	s_mul_hi_u32 s13, s8, s12
	s_add_u32 s15, s16, s15
	s_addc_u32 s13, 0, s13
	s_mul_hi_u32 s17, s9, s14
	s_mul_i32 s14, s9, s14
	s_add_u32 s14, s15, s14
	s_mul_hi_u32 s16, s9, s12
	s_addc_u32 s13, s13, s17
	s_addc_u32 s14, s16, 0
	s_mul_i32 s12, s9, s12
	s_add_u32 s16, s13, s12
	s_addc_u32 s17, 0, s14
	s_mul_i32 s12, s6, s17
	s_mul_hi_u32 s13, s6, s16
	s_add_i32 s12, s13, s12
	s_mul_i32 s13, s7, s16
	s_add_i32 s18, s12, s13
	s_sub_i32 s14, s9, s18
	s_mul_i32 s12, s6, s16
	s_sub_u32 s8, s8, s12
	s_cselect_b64 s[12:13], -1, 0
	s_cmp_lg_u64 s[12:13], 0
	s_subb_u32 s19, s14, s7
	s_sub_u32 s20, s8, s6
	s_cselect_b64 s[14:15], -1, 0
	s_cmp_lg_u64 s[14:15], 0
	s_subb_u32 s14, s19, 0
	s_cmp_ge_u32 s14, s7
	s_cselect_b32 s15, -1, 0
	s_cmp_ge_u32 s20, s6
	s_cselect_b32 s19, -1, 0
	s_cmp_eq_u32 s14, s7
	s_cselect_b32 s14, s19, s15
	s_add_u32 s15, s16, 1
	s_addc_u32 s19, s17, 0
	s_add_u32 s20, s16, 2
	s_addc_u32 s21, s17, 0
	s_cmp_lg_u32 s14, 0
	s_cselect_b32 s14, s20, s15
	s_cselect_b32 s15, s21, s19
	s_cmp_lg_u64 s[12:13], 0
	s_subb_u32 s9, s9, s18
	s_cmp_ge_u32 s9, s7
	s_cselect_b32 s12, -1, 0
	s_cmp_ge_u32 s8, s6
	s_cselect_b32 s6, -1, 0
	s_cmp_eq_u32 s9, s7
	s_cselect_b32 s6, s6, s12
	s_cmp_lg_u32 s6, 0
	s_cselect_b32 s7, s15, s17
	s_cselect_b32 s6, s14, s16
	s_xor_b64 s[8:9], s[10:11], 0
	s_xor_b64 s[6:7], s[6:7], s[8:9]
	s_sub_u32 s54, s6, s8
	s_load_dwordx2 s[38:39], s[0:1], 0x5c
	s_cbranch_execnz .LBB25_6
.LBB25_5:
	v_rcp_iflag_f32_e32 v1, v1
	s_sub_i32 s4, 0, s26
	v_mul_f32_e32 v1, 0x4f7ffffe, v1
	v_cvt_u32_f32_e32 v1, v1
	s_nop 0
	v_readfirstlane_b32 s5, v1
	s_mul_i32 s4, s4, s5
	s_mul_hi_u32 s4, s5, s4
	s_add_i32 s5, s5, s4
	s_mul_hi_u32 s4, s2, s5
	s_mul_i32 s6, s4, s26
	s_sub_i32 s2, s2, s6
	s_add_i32 s5, s4, 1
	s_sub_i32 s6, s2, s26
	s_cmp_ge_u32 s2, s26
	s_cselect_b32 s4, s5, s4
	s_cselect_b32 s2, s6, s2
	s_add_i32 s5, s4, 1
	s_cmp_ge_u32 s2, s26
	s_cselect_b32 s54, s5, s4
.LBB25_6:
	s_abs_i32 s53, s52
	v_cvt_f32_u32_e32 v1, s53
	s_load_dwordx16 s[8:23], s[0:1], 0x0
	s_load_dword s2, s[0:1], 0x40
	s_load_dword s33, s[0:1], 0x54
	s_load_dwordx2 s[4:5], s[0:1], 0x8c
	s_load_dwordx4 s[28:31], s[0:1], 0x98
	s_load_dwordx2 s[42:43], s[0:1], 0xa8
	s_load_dwordx2 s[56:57], s[0:1], 0xb8
	;; [unrolled: 1-line block ×3, first 2 shown]
	v_writelane_b32 v255, s26, 7
	s_waitcnt lgkmcnt(0)
	s_mov_b32 s1, s5
	v_rcp_iflag_f32_e32 v1, v1
	s_ashr_i32 s36, s4, 2
	s_sub_i32 s4, 0, s53
	v_writelane_b32 v255, s0, 8
	v_mul_f32_e32 v1, 0x4f7ffffe, v1
	v_cvt_u32_f32_e32 v1, v1
	v_writelane_b32 v255, s1, 9
	s_ashr_i32 s1, s52, 31
	v_writelane_b32 v255, s1, 10
	v_readfirstlane_b32 s46, v1
	s_mul_i32 s4, s4, s46
	s_mul_hi_u32 s4, s46, s4
	s_abs_i32 s1, s50
	s_add_i32 s46, s46, s4
	s_mul_hi_u32 s4, s1, s46
	s_mul_i32 s4, s4, s53
	s_sub_i32 s1, s1, s4
	s_ashr_i32 s51, s27, 3
	s_ashr_i32 s35, s48, 3
	;; [unrolled: 1-line block ×5, first 2 shown]
	s_sub_i32 s4, s1, s53
	s_cmp_ge_u32 s1, s53
	s_cselect_b32 s1, s4, s1
	s_sub_i32 s4, s1, s53
	s_cmp_ge_u32 s1, s53
	s_cselect_b32 s1, s4, s1
	s_xor_b32 s1, s1, s0
	s_sub_i32 s34, s1, s0
	s_sub_i32 s0, s54, s50
	s_add_i32 s6, s0, s34
	s_min_i32 s58, s52, s6
	s_cmp_gt_i32 s54, s50
	s_cselect_b64 s[4:5], -1, 0
	s_cmp_le_i32 s54, s50
	s_cselect_b64 s[0:1], -1, 0
	s_cmp_gt_i32 s52, s6
	v_cvt_f16_f32_e32 v1, s2
	s_cselect_b64 s[6:7], -1, 0
	v_writelane_b32 v255, s35, 11
	s_or_b64 s[0:1], s[6:7], s[0:1]
	v_bfe_u32 v150, v0, 10, 10
	v_writelane_b32 v255, s56, 12
	s_mov_b32 s61, 0
	s_and_b64 vcc, exec, s[0:1]
	v_bfe_u32 v46, v0, 10, 2
	v_lshlrev_b32_e32 v154, 4, v150
	v_lshrrev_b32_e32 v47, 10, v0
	v_add_u32_e32 v153, 4, v150
	v_add_u32_e32 v152, 8, v150
	;; [unrolled: 1-line block ×15, first 2 shown]
	v_mbcnt_lo_u32_b32 v155, -1, 0
	v_writelane_b32 v255, s57, 13
	s_cbranch_vccnz .LBB25_610
; %bb.7:
	s_cmp_eq_u64 s[16:17], 0
	s_cselect_b64 s[0:1], -1, 0
	v_writelane_b32 v255, s0, 14
	s_cmp_lg_u64 s[18:19], 0
	v_and_b32_e32 v4, 15, v0
	v_writelane_b32 v255, s1, 15
	s_cselect_b64 s[0:1], -1, 0
	v_writelane_b32 v255, s0, 16
	v_bfe_u32 v6, v0, 1, 9
	v_mul_u32_u24_e32 v5, 0x110, v4
	v_writelane_b32 v255, s1, 17
	s_movk_i32 s0, 0x1100
	v_mad_u32_u24 v3, v150, s0, 0
	v_and_b32_e32 v7, 0x78, v6
	v_and_b32_e32 v48, 0x3ff, v0
	v_add3_u32 v49, v3, v5, v7
	v_bfe_u32 v3, v0, 5, 5
	v_lshlrev_b32_e32 v2, 2, v48
	v_lshl_add_u32 v53, v150, 1, v3
	v_bfe_u32 v3, v0, 4, 6
	v_lshl_add_u32 v3, v150, 2, v3
	v_and_b32_e32 v52, 60, v2
	v_mul_u32_u24_e32 v5, 0x110, v3
	v_lshlrev_b32_e32 v8, 2, v52
	v_mul_lo_u32 v54, s36, v3
	s_lshl_b32 s1, s36, 4
	v_add3_u32 v75, 0, v5, v8
	v_and_or_b32 v8, v0, 12, v154
	s_movk_i32 s0, 0x90
	v_add_u32_e32 v56, s1, v54
	v_lshrrev_b32_e32 v8, 2, v8
	v_add_u32_e32 v58, s1, v56
	v_mad_u32_u24 v8, v8, s0, 0
	s_movk_i32 s0, 0x1fc
	v_add_u32_e32 v60, s1, v58
	v_bitop3_b32 v6, v6, s0, 4 bitop3:0xc8
	v_readlane_b32 s0, v255, 6
	s_mov_b32 s1, s61
	s_lshl_b32 s60, s0, 6
	v_writelane_b32 v255, s0, 18
	s_ashr_i32 s41, s40, 31
	s_ashr_i32 s37, s36, 31
	s_ashr_i32 s27, s26, 31
	s_lshl_b32 s5, s26, 4
	v_writelane_b32 v255, s1, 19
	s_lshl_b64 s[0:1], s[60:61], 3
	s_add_u32 s0, s22, s0
	v_readlane_b32 s47, v255, 3
	s_addc_u32 s1, s23, s1
	s_abs_i32 s55, s47
	v_add_u32_e32 v157, v8, v6
	v_cvt_f32_u32_e32 v6, s55
	v_bfe_u32 v5, v0, 2, 8
	v_add_u32_e32 v77, 0, v7
	v_and_b32_e32 v7, 60, v5
	v_lshl_add_u32 v156, v7, 1, v8
	v_mul_lo_u32 v62, s26, v3
	v_mul_u32_u24_e32 v3, 0x110, v7
	v_lshlrev_b32_e32 v7, 1, v4
	v_or_b32_e32 v5, 3, v5
	v_add3_u32 v158, 0, v3, v7
	v_rcp_iflag_f32_e32 v3, v6
	v_mul_u32_u24_e32 v5, 0x110, v5
	v_readlane_b32 s7, v255, 2
	v_add3_u32 v159, 0, v5, v7
	v_or_b32_e32 v5, v154, v48
	s_abs_i32 s60, s7
	v_lshlrev_b32_e32 v50, 3, v5
	v_cvt_f32_u32_e32 v5, s60
	v_mul_f32_e32 v3, 0x4f7ffffe, v3
	v_cvt_u32_f32_e32 v3, v3
	v_mov_b32_e32 v51, 0
	v_rcp_iflag_f32_e32 v5, v5
	v_lshl_add_u64 v[68:69], s[0:1], 0, v[50:51]
	s_sub_i32 s0, 0, s55
	v_mul_lo_u32 v6, s0, v3
	v_readlane_b32 s6, v255, 1
	v_mul_hi_u32 v6, v3, v6
	s_abs_i32 s61, s6
	v_add_u32_e32 v160, v3, v6
	v_mul_f32_e32 v3, 0x4f7ffffe, v5
	v_cvt_f32_u32_e32 v5, s61
	v_cvt_u32_f32_e32 v3, v3
	s_sub_i32 s0, 0, s60
	s_movk_i32 s2, 0x110
	v_rcp_iflag_f32_e32 v5, v5
	v_mul_lo_u32 v6, s0, v3
	v_mul_hi_u32 v6, v3, v6
	s_sub_i32 s0, 0, s61
	v_mul_f32_e32 v5, 0x4f7ffffe, v5
	v_cvt_u32_f32_e32 v5, v5
	v_add_u32_e32 v161, v3, v6
	s_abs_i32 s30, s56
	v_cvt_f32_u32_e32 v7, s30
	v_mul_lo_u32 v6, s0, v5
	v_mul_hi_u32 v6, v5, v6
	v_add_u32_e32 v162, v5, v6
	v_mov_b32_e32 v5, 0x440
	v_mad_u32_u24 v164, v150, s2, v5
	v_mov_b32_e32 v5, 0x880
	v_mad_u32_u24 v165, v150, s2, v5
	;; [unrolled: 2-line block ×6, first 2 shown]
	s_movk_i32 s1, 0x1f0
	v_bfe_u32 v5, v0, 10, 4
	v_rcp_iflag_f32_e32 v3, v7
	v_and_or_b32 v6, v149, s1, v5
	v_and_or_b32 v7, v145, s1, v5
	;; [unrolled: 1-line block ×3, first 2 shown]
	v_mad_u32_u24 v174, v150, s2, 0
	v_mul_u32_u24_e32 v8, 0x110, v6
	v_mad_u32_u24 v170, v6, s2, 0
	v_mul_u32_u24_e32 v6, 0x110, v7
	;; [unrolled: 2-line block ×3, first 2 shown]
	v_mad_u32_u24 v172, v5, s2, 0
	v_add_u32_e32 v5, 0x1dc0, v174
	v_add_u32_e32 v188, v5, v2
	;; [unrolled: 1-line block ×4, first 2 shown]
	scratch_store_dword off, v5, off        ; 4-byte Folded Spill
	v_add_u32_e32 v5, 0x2a80, v174
	v_add_u32_e32 v5, v5, v2
	scratch_store_dword off, v5, off offset:4 ; 4-byte Folded Spill
	v_add_u32_e32 v5, 0x2ec0, v174
	v_add_u32_e32 v5, v5, v2
	v_mul_f32_e32 v3, 0x4f7ffffe, v3
	v_cmp_gt_u32_e64 s[56:57], 16, v48
	scratch_store_dword off, v5, off offset:8 ; 4-byte Folded Spill
	v_add_u32_e32 v5, v172, v2
	v_cvt_u32_f32_e32 v3, v3
	v_writelane_b32 v255, s56, 20
	scratch_store_dword off, v5, off offset:16 ; 4-byte Folded Spill
	v_add_u32_e32 v5, 0x3740, v174
	v_writelane_b32 v255, s57, 21
	v_add_u32_e32 v5, v5, v2
	s_ashr_i32 s1, s47, 31
	scratch_store_dword off, v5, off offset:20 ; 4-byte Folded Spill
	v_add_u32_e32 v5, 0x3b80, v174
	v_writelane_b32 v255, s1, 22
	s_ashr_i32 s1, s7, 31
	v_add_u32_e32 v5, v5, v2
	v_writelane_b32 v255, s1, 23
	s_ashr_i32 s1, s6, 31
	v_readfirstlane_b32 s0, v3
	v_add_u32_e32 v176, 0x440, v174
	v_add_u32_e32 v178, 0x880, v174
	;; [unrolled: 1-line block ×5, first 2 shown]
	scratch_store_dword off, v5, off offset:24 ; 4-byte Folded Spill
	v_add_u32_e32 v5, 0x3fc0, v174
	v_writelane_b32 v255, s1, 24
	s_sub_i32 s1, 0, s30
	v_add_u32_e32 v173, 0, v2
	v_add_u32_e32 v175, v174, v2
	;; [unrolled: 1-line block ×10, first 2 shown]
	s_mul_i32 s1, s1, s0
	v_add_u32_e32 v64, s5, v62
	v_and_b32_e32 v3, 31, v0
	scratch_store_dword off, v2, off offset:28 ; 4-byte Folded Spill
	s_mul_hi_u32 s1, s0, s1
                                        ; implicit-def: $vgpr2
                                        ; implicit-def: $vgpr2
	;; [unrolled: 1-line block ×3, first 2 shown]
	v_add_u32_e32 v66, s5, v64
	v_lshlrev_b32_e32 v50, 2, v3
	v_or_b32_e32 v3, v154, v4
	s_add_i32 s0, s0, s1
	v_add_u32_e32 v2, v173, v7
	v_add_u32_e32 v70, s5, v66
	v_mul_u32_u24_e32 v163, 0x110, v3
	v_add_u32_e32 v3, v154, v48
	v_writelane_b32 v255, s0, 25
	s_lshl_b64 s[0:1], s[40:41], 1
	scratch_store_dword off, v2, off offset:12 ; 4-byte Folded Spill
	v_lshlrev_b32_e32 v2, 1, v48
	s_mov_b32 s4, 0x10001
	v_ashrrev_i32_e32 v55, 31, v54
	v_ashrrev_i32_e32 v57, 31, v56
	;; [unrolled: 1-line block ×8, first 2 shown]
	v_mul_u32_u24_e32 v3, 0x110, v3
	v_writelane_b32 v255, s0, 26
	v_and_b32_e32 v74, 62, v2
	v_mad_u32_u24 v203, v4, s2, v77
	v_writelane_b32 v255, s1, 27
	v_lshlrev_b32_e32 v72, 4, v4
	v_mov_b32_e32 v73, v51
	s_lshl_b64 s[64:65], s[26:27], 8
	s_lshl_b64 s[66:67], s[36:37], 8
	s_mov_b32 s41, 0x3f200000
	s_mov_b32 s47, 0x3fb8aa3b
	;; [unrolled: 1-line block ×4, first 2 shown]
	s_brev_b32 s62, -2
	s_mov_b32 s63, 0xc1a00000
	s_mov_b32 s2, 0x5040100
	v_add_u32_e32 v204, v173, v8
	v_add_u32_e32 v205, v173, v6
	s_mov_b64 s[68:69], 0x80
	v_add_u32_e32 v207, 0, v3
	v_mul_lo_u32 v208, v1, s4
	v_mul_u32_u24_e32 v209, 0x90, v53
	v_add_u32_e32 v210, 8, v53
	v_lshl_add_u32 v211, v74, 1, 0
	v_add_u32_e32 v212, 0x1100, v75
	v_add_u32_e32 v213, 0x2200, v75
	;; [unrolled: 1-line block ×6, first 2 shown]
	v_mul_u32_u24_e32 v218, 0x110, v150
	v_lshrrev_b32_e32 v219, 2, v153
	v_lshrrev_b32_e32 v220, 2, v152
	v_lshrrev_b32_e32 v221, 2, v151
	v_lshrrev_b32_e32 v222, 2, v149
	v_lshrrev_b32_e32 v223, 2, v148
	v_lshrrev_b32_e32 v224, 2, v147
	v_lshrrev_b32_e32 v225, 2, v146
	v_lshrrev_b32_e32 v226, 2, v145
	v_lshrrev_b32_e32 v227, 2, v144
	v_lshrrev_b32_e32 v228, 2, v143
	v_lshrrev_b32_e32 v229, 2, v142
	v_lshrrev_b32_e32 v230, 2, v141
	v_lshrrev_b32_e32 v231, 2, v140
	v_lshrrev_b32_e32 v232, 2, v139
	v_lshrrev_b32_e32 v233, 2, v138
	v_mov_b32_e32 v234, 0x3ca908c9
	v_mbcnt_hi_u32_b32 v235, -1, v155
	v_mov_b32_e32 v236, 0x7f800000
	v_and_b32_e32 v76, 3, v0
	v_mad_u64_u32 v[78:79], s[4:5], v46, s35, v[48:49]
	v_lshl_add_u64 v[80:81], s[14:15], 0, v[50:51]
	v_lshl_add_u64 v[82:83], v[62:63], 2, s[12:13]
	;; [unrolled: 1-line block ×9, first 2 shown]
	s_branch .LBB25_9
.LBB25_8:                               ;   in Loop: Header=BB25_9 Depth=1
	s_or_b64 exec, exec, s[4:5]
	s_add_i32 s4, s50, s52
	s_abs_i32 s6, s4
	s_mul_hi_u32 s7, s6, s46
	s_mul_i32 s7, s7, s53
	s_sub_i32 s6, s6, s7
	s_ashr_i32 s5, s4, 31
	s_sub_i32 s7, s6, s53
	s_cmp_ge_u32 s6, s53
	s_cselect_b32 s6, s7, s6
	s_sub_i32 s7, s6, s53
	s_cmp_ge_u32 s6, s53
	s_cselect_b32 s6, s7, s6
	s_xor_b32 s6, s6, s5
	s_sub_i32 s5, s5, s6
	s_add_i32 s50, s4, s5
	s_sub_i32 s6, s54, s50
	s_min_i32 s58, s52, s6
	s_cmp_gt_i32 s54, s50
	s_cselect_b64 s[4:5], -1, 0
	s_cmp_le_i32 s52, s6
	s_cselect_b64 s[6:7], -1, 0
	s_and_b64 s[6:7], s[6:7], s[4:5]
	s_mov_b32 s34, 0
	s_and_b64 vcc, exec, s[6:7]
	s_cbranch_vccz .LBB25_610
.LBB25_9:                               ; =>This Loop Header: Depth=1
                                        ;     Child Loop BB25_80 Depth 2
                                        ;     Child Loop BB25_378 Depth 2
	s_ashr_i32 s4, s50, 31
	v_readlane_b32 s5, v255, 22
	s_xor_b32 s4, s4, s5
	s_abs_i32 s5, s50
	v_mul_hi_u32 v2, s5, v160
	v_mul_lo_u32 v3, v2, s55
	v_sub_u32_e32 v3, s5, v3
	v_add_u32_e32 v4, 1, v2
	v_subrev_u32_e32 v5, s55, v3
	v_cmp_le_u32_e32 vcc, s55, v3
	s_nop 1
	v_cndmask_b32_e32 v2, v2, v4, vcc
	v_cndmask_b32_e32 v3, v3, v5, vcc
	v_add_u32_e32 v4, 1, v2
	v_cmp_le_u32_e32 vcc, s55, v3
	s_nop 1
	v_cndmask_b32_e32 v2, v2, v4, vcc
	v_xor_b32_e32 v2, s4, v2
	v_subrev_u32_e32 v2, s4, v2
	v_readlane_b32 s4, v255, 3
	s_nop 1
	v_mul_lo_u32 v3, v2, s4
	v_sub_u32_e32 v4, s50, v3
	v_sub_u32_e32 v5, 0, v4
	v_max_i32_e32 v5, v4, v5
	v_mul_hi_u32 v6, v5, v161
	v_mul_lo_u32 v7, v6, s60
	v_sub_u32_e32 v5, v5, v7
	v_add_u32_e32 v7, 1, v6
	v_subrev_u32_e32 v8, s60, v5
	v_cmp_le_u32_e32 vcc, s60, v5
	v_ashrrev_i32_e32 v3, 31, v4
	v_readlane_b32 s4, v255, 23
	v_cndmask_b32_e32 v6, v6, v7, vcc
	v_cndmask_b32_e32 v5, v5, v8, vcc
	v_add_u32_e32 v7, 1, v6
	v_cmp_le_u32_e32 vcc, s60, v5
	v_xor_b32_e32 v3, s4, v3
	v_readlane_b32 s4, v255, 2
	v_cndmask_b32_e32 v5, v6, v7, vcc
	v_xor_b32_e32 v5, v5, v3
	v_sub_u32_e32 v3, v5, v3
	v_mul_lo_u32 v5, v3, s4
	v_sub_u32_e32 v4, v4, v5
	v_sub_u32_e32 v6, 0, v4
	v_max_i32_e32 v6, v4, v6
	v_mul_hi_u32 v7, v6, v162
	v_mul_lo_u32 v8, v7, s61
	v_sub_u32_e32 v6, v6, v8
	v_add_u32_e32 v8, 1, v7
	v_subrev_u32_e32 v9, s61, v6
	v_cmp_le_u32_e32 vcc, s61, v6
	v_ashrrev_i32_e32 v5, 31, v4
	v_readlane_b32 s4, v255, 24
	v_cndmask_b32_e32 v7, v7, v8, vcc
	v_cndmask_b32_e32 v6, v6, v9, vcc
	v_add_u32_e32 v8, 1, v7
	v_cmp_le_u32_e32 vcc, s61, v6
	v_xor_b32_e32 v5, s4, v5
	v_readlane_b32 s4, v255, 1
	v_cndmask_b32_e32 v6, v7, v8, vcc
	v_xor_b32_e32 v6, v6, v5
	v_sub_u32_e32 v5, v6, v5
	v_mul_lo_u32 v6, v5, s4
	v_sub_u32_e32 v4, v4, v6
	v_sub_u32_e32 v7, 0, v4
	v_ashrrev_i32_e32 v6, 31, v4
	v_max_i32_e32 v4, v4, v7
	v_mul_hi_u32 v7, v4, s46
	v_mul_lo_u32 v8, v7, s53
	v_sub_u32_e32 v4, v4, v8
	v_add_u32_e32 v8, 1, v7
	v_subrev_u32_e32 v9, s53, v4
	v_cmp_le_u32_e32 vcc, s53, v4
	v_readlane_b32 s4, v255, 10
	s_nop 0
	v_cndmask_b32_e32 v7, v7, v8, vcc
	v_cndmask_b32_e32 v4, v4, v9, vcc
	v_add_u32_e32 v8, 1, v7
	v_cmp_le_u32_e32 vcc, s53, v4
	v_xor_b32_e32 v6, s4, v6
	v_readlane_b32 s4, v255, 16
	v_cndmask_b32_e32 v4, v7, v8, vcc
	v_xor_b32_e32 v4, v4, v6
	v_readlane_b32 s5, v255, 17
	s_andn2_b64 vcc, exec, s[4:5]
	v_sub_u32_e32 v4, v4, v6
	s_cbranch_vccnz .LBB25_11
; %bb.10:                               ;   in Loop: Header=BB25_9 Depth=1
	v_readlane_b32 s4, v255, 0
	s_nop 1
	v_mul_lo_u32 v6, v2, s4
	v_add_u32_e32 v6, v4, v6
	v_ashrrev_i32_e32 v7, 31, v6
	v_lshlrev_b64 v[6:7], 2, v[6:7]
	v_lshl_add_u64 v[6:7], s[18:19], 0, v[6:7]
	global_load_dword v6, v[6:7], off
	s_waitcnt vmcnt(0)
	v_readfirstlane_b32 s4, v6
	s_ashr_i32 s5, s4, 31
	s_lshr_b32 s5, s5, 26
	s_add_i32 s4, s4, s5
	s_ashr_i32 s4, s4, 6
	s_min_i32 s58, s58, s4
.LBB25_11:                              ;   in Loop: Header=BB25_9 Depth=1
	v_mul_lo_u32 v6, v3, s3
	v_lshlrev_b32_e32 v5, 2, v5
	v_add_u32_e32 v6, v5, v6
	v_mul_lo_u32 v8, v2, s49
	v_ashrrev_i32_e32 v9, 31, v8
	v_mul_lo_u32 v10, v6, s48
	v_lshl_add_u64 v[8:9], s[8:9], 0, v[8:9]
	v_ashrrev_i32_e32 v11, 31, v10
	v_ashrrev_i32_e32 v7, 31, v2
	v_lshl_add_u64 v[118:119], v[8:9], 0, v[10:11]
	v_mul_hi_u32 v8, s28, v2
	v_mul_lo_u32 v9, s28, v7
	v_readlane_b32 s4, v255, 8
	v_add_u32_e32 v8, v8, v9
	v_mul_lo_u32 v9, s29, v2
	v_readlane_b32 s5, v255, 9
	v_add_u32_e32 v109, v8, v9
	v_mul_lo_u32 v108, s28, v2
	v_mul_lo_u32 v110, v3, s5
	v_lshl_add_u64 v[8:9], s[10:11], 0, v[108:109]
	v_ashrrev_i32_e32 v111, 31, v110
	v_lshl_add_u64 v[104:105], v[8:9], 0, v[110:111]
	v_sub_u32_e32 v8, 0, v2
	v_max_i32_e32 v8, v2, v8
	v_readlane_b32 s4, v255, 25
	v_mul_lo_u32 v114, s42, v2
	v_mul_lo_u32 v116, v3, s31
	v_mul_hi_u32 v9, v8, s4
	v_mul_lo_u32 v9, v9, s30
	v_sub_u32_e32 v8, v8, v9
	v_subrev_u32_e32 v9, s30, v8
	v_cmp_le_u32_e32 vcc, s30, v8
	s_mul_i32 s4, s24, s25
	v_ashrrev_i32_e32 v117, 31, v116
	v_cndmask_b32_e32 v8, v8, v9, vcc
	v_subrev_u32_e32 v9, s30, v8
	v_cmp_le_u32_e32 vcc, s30, v8
	v_lshlrev_b32_e32 v134, 4, v4
	s_cmp_lg_u32 s34, 0
	v_cndmask_b32_e32 v8, v8, v9, vcc
	v_xor_b32_e32 v8, v8, v7
	v_sub_u32_e32 v8, v8, v7
	v_ashrrev_i32_e32 v9, 31, v8
	v_mul_lo_u32 v9, s44, v9
	v_mul_hi_u32 v10, s44, v8
	v_add_u32_e32 v9, v10, v9
	v_mul_lo_u32 v10, s45, v8
	v_mul_lo_u32 v112, s44, v8
	;; [unrolled: 1-line block ×3, first 2 shown]
	v_add_u32_e32 v8, v6, v8
	v_lshlrev_b32_e32 v50, 6, v8
	v_add_u32_e32 v113, v9, v10
	v_lshlrev_b64 v[8:9], 3, v[50:51]
	v_lshl_add_u64 v[98:99], s[20:21], 0, v[8:9]
	v_mul_hi_u32 v8, s42, v2
	v_mul_lo_u32 v7, s42, v7
	v_add_u32_e32 v7, v8, v7
	v_mul_lo_u32 v8, s43, v2
	v_add_u32_e32 v115, v7, v8
	v_ashrrev_i32_e32 v7, 31, v6
	v_lshlrev_b64 v[2:3], 2, v[6:7]
	v_readlane_b32 s4, v255, 14
	v_lshl_add_u64 v[2:3], s[16:17], 0, v[2:3]
	v_readlane_b32 s5, v255, 15
	v_lshl_add_u64 v[8:9], s[12:13], 0, v[114:115]
	v_lshl_add_u64 v[106:107], s[14:15], 0, v[112:113]
	v_cndmask_b32_e64 v100, v2, 0, s[4:5]
	v_bfe_u32 v2, v47, 2, 8
	v_lshl_add_u64 v[102:103], v[8:9], 0, v[116:117]
	v_cndmask_b32_e64 v101, v3, 0, s[4:5]
	v_add_u32_e32 v237, v2, v134
	v_or_b32_e32 v135, v46, v5
	s_cbranch_scc0 .LBB25_146
; %bb.12:                               ;   in Loop: Header=BB25_9 Depth=1
	v_cmp_le_i32_e64 s[4:5], s24, v237
	v_cmp_le_i32_e64 s[6:7], s3, v135
	v_cmp_gt_i32_e32 vcc, s3, v135
	s_or_b64 s[4:5], s[4:5], s[6:7]
	s_and_saveexec_b64 s[6:7], s[4:5]
	s_xor_b64 s[4:5], exec, s[6:7]
; %bb.13:                               ;   in Loop: Header=BB25_9 Depth=1
	v_add_u32_e32 v2, v173, v218
	ds_write_b32 v2, v51
; %bb.14:                               ;   in Loop: Header=BB25_9 Depth=1
	s_andn2_saveexec_b64 s[4:5], s[4:5]
	s_cbranch_execz .LBB25_16
; %bb.15:                               ;   in Loop: Header=BB25_9 Depth=1
	v_mad_u64_u32 v[2:3], s[6:7], v237, s51, v[78:79]
	v_ashrrev_i32_e32 v3, 31, v2
	v_lshl_add_u64 v[2:3], v[2:3], 3, v[118:119]
	global_load_dwordx2 v[2:3], v[2:3], off
	s_waitcnt vmcnt(0)
	v_cvt_pk_f16_f32 v2, v2, v3
	v_pk_mul_f16 v2, v2, v208
	v_add_u32_e32 v3, v173, v218
	ds_write_b32 v3, v2
.LBB25_16:                              ;   in Loop: Header=BB25_9 Depth=1
	s_or_b64 exec, exec, s[4:5]
	v_add_u32_e32 v249, v219, v134
	v_cmp_le_i32_e64 s[4:5], s24, v249
	s_xor_b64 s[6:7], vcc, -1
	s_or_b64 s[4:5], s[4:5], s[6:7]
	s_and_saveexec_b64 s[56:57], s[4:5]
	s_xor_b64 s[4:5], exec, s[56:57]
; %bb.17:                               ;   in Loop: Header=BB25_9 Depth=1
	v_add_u32_e32 v2, v173, v164
	ds_write_b32 v2, v51
; %bb.18:                               ;   in Loop: Header=BB25_9 Depth=1
	s_andn2_saveexec_b64 s[4:5], s[4:5]
	s_cbranch_execz .LBB25_20
; %bb.19:                               ;   in Loop: Header=BB25_9 Depth=1
	v_mad_u64_u32 v[2:3], s[56:57], v249, s51, v[78:79]
	v_ashrrev_i32_e32 v3, 31, v2
	v_lshl_add_u64 v[2:3], v[2:3], 3, v[118:119]
	global_load_dwordx2 v[2:3], v[2:3], off
	s_waitcnt vmcnt(0)
	v_cvt_pk_f16_f32 v2, v2, v3
	v_pk_mul_f16 v2, v2, v208
	v_add_u32_e32 v3, v173, v164
	ds_write_b32 v3, v2
.LBB25_20:                              ;   in Loop: Header=BB25_9 Depth=1
	s_or_b64 exec, exec, s[4:5]
	v_add_u32_e32 v248, v220, v134
	v_cmp_le_i32_e32 vcc, s24, v248
	s_or_b64 s[4:5], vcc, s[6:7]
	s_and_saveexec_b64 s[56:57], s[4:5]
	s_xor_b64 s[4:5], exec, s[56:57]
; %bb.21:                               ;   in Loop: Header=BB25_9 Depth=1
	v_add_u32_e32 v2, v173, v165
	ds_write_b32 v2, v51
; %bb.22:                               ;   in Loop: Header=BB25_9 Depth=1
	s_andn2_saveexec_b64 s[4:5], s[4:5]
	s_cbranch_execz .LBB25_24
; %bb.23:                               ;   in Loop: Header=BB25_9 Depth=1
	v_mad_u64_u32 v[2:3], s[56:57], v248, s51, v[78:79]
	v_ashrrev_i32_e32 v3, 31, v2
	v_lshl_add_u64 v[2:3], v[2:3], 3, v[118:119]
	global_load_dwordx2 v[2:3], v[2:3], off
	s_waitcnt vmcnt(0)
	v_cvt_pk_f16_f32 v2, v2, v3
	v_pk_mul_f16 v2, v2, v208
	v_add_u32_e32 v3, v173, v165
	ds_write_b32 v3, v2
.LBB25_24:                              ;   in Loop: Header=BB25_9 Depth=1
	s_or_b64 exec, exec, s[4:5]
	v_add_u32_e32 v247, v221, v134
	v_cmp_le_i32_e32 vcc, s24, v247
	s_or_b64 s[4:5], vcc, s[6:7]
	;; [unrolled: 23-line block ×6, first 2 shown]
	s_and_saveexec_b64 s[56:57], s[4:5]
	s_xor_b64 s[4:5], exec, s[56:57]
; %bb.41:                               ;   in Loop: Header=BB25_9 Depth=1
	v_add_u32_e32 v2, v173, v169
	ds_write_b32 v2, v51 offset:1088
; %bb.42:                               ;   in Loop: Header=BB25_9 Depth=1
	s_andn2_saveexec_b64 s[4:5], s[4:5]
	s_cbranch_execz .LBB25_44
; %bb.43:                               ;   in Loop: Header=BB25_9 Depth=1
	v_mad_u64_u32 v[2:3], s[56:57], v243, s51, v[78:79]
	v_ashrrev_i32_e32 v3, 31, v2
	v_lshl_add_u64 v[2:3], v[2:3], 3, v[118:119]
	global_load_dwordx2 v[2:3], v[2:3], off
	s_waitcnt vmcnt(0)
	v_cvt_pk_f16_f32 v2, v2, v3
	v_pk_mul_f16 v2, v2, v208
	v_add_u32_e32 v3, v173, v169
	ds_write_b32 v3, v2 offset:1088
.LBB25_44:                              ;   in Loop: Header=BB25_9 Depth=1
	s_or_b64 exec, exec, s[4:5]
	v_add_u32_e32 v242, v226, v134
	v_cmp_le_i32_e32 vcc, s24, v242
	s_or_b64 s[4:5], vcc, s[6:7]
	s_and_saveexec_b64 s[56:57], s[4:5]
	s_xor_b64 s[4:5], exec, s[56:57]
; %bb.45:                               ;   in Loop: Header=BB25_9 Depth=1
	v_add_u32_e32 v2, v173, v169
	ds_write_b32 v2, v51 offset:2176
; %bb.46:                               ;   in Loop: Header=BB25_9 Depth=1
	s_andn2_saveexec_b64 s[4:5], s[4:5]
	s_cbranch_execz .LBB25_48
; %bb.47:                               ;   in Loop: Header=BB25_9 Depth=1
	v_mad_u64_u32 v[2:3], s[56:57], v242, s51, v[78:79]
	v_ashrrev_i32_e32 v3, 31, v2
	v_lshl_add_u64 v[2:3], v[2:3], 3, v[118:119]
	global_load_dwordx2 v[2:3], v[2:3], off
	s_waitcnt vmcnt(0)
	v_cvt_pk_f16_f32 v2, v2, v3
	v_pk_mul_f16 v2, v2, v208
	v_add_u32_e32 v3, v173, v169
	ds_write_b32 v3, v2 offset:2176
.LBB25_48:                              ;   in Loop: Header=BB25_9 Depth=1
	s_or_b64 exec, exec, s[4:5]
	v_add_u32_e32 v241, v227, v134
	v_cmp_le_i32_e32 vcc, s24, v241
	s_or_b64 s[4:5], vcc, s[6:7]
	;; [unrolled: 23-line block ×8, first 2 shown]
	s_and_saveexec_b64 s[6:7], s[4:5]
	s_xor_b64 s[4:5], exec, s[6:7]
; %bb.73:                               ;   in Loop: Header=BB25_9 Depth=1
	v_add_u32_e32 v2, v173, v169
	ds_write_b32 v2, v51 offset:9792
; %bb.74:                               ;   in Loop: Header=BB25_9 Depth=1
	s_andn2_saveexec_b64 s[4:5], s[4:5]
	s_cbranch_execz .LBB25_76
; %bb.75:                               ;   in Loop: Header=BB25_9 Depth=1
	v_mad_u64_u32 v[2:3], s[6:7], v79, s51, v[78:79]
	v_ashrrev_i32_e32 v3, 31, v2
	v_lshl_add_u64 v[2:3], v[2:3], 3, v[118:119]
	global_load_dwordx2 v[2:3], v[2:3], off
	s_waitcnt vmcnt(0)
	v_cvt_pk_f16_f32 v2, v2, v3
	v_pk_mul_f16 v2, v2, v208
	v_add_u32_e32 v3, v173, v169
	ds_write_b32 v3, v2 offset:9792
.LBB25_76:                              ;   in Loop: Header=BB25_9 Depth=1
	s_or_b64 exec, exec, s[4:5]
	s_waitcnt lgkmcnt(0)
	s_barrier
	ds_read2_b64 v[14:17], v49 offset1:4
	ds_read2_b64 v[10:13], v49 offset0:8 offset1:12
	ds_read2_b64 v[6:9], v49 offset0:16 offset1:20
	ds_read2_b64 v[2:5], v49 offset0:24 offset1:28
	s_add_i32 s35, s58, -1
	v_add_u32_e32 v20, v134, v53
	v_add_u32_e32 v18, v134, v210
	s_mov_b64 s[4:5], -1
	s_cmp_lt_i32 s34, s35
	v_mul_hi_u32 v21, s38, v20
	v_mul_hi_u32 v19, s38, v18
	s_waitcnt lgkmcnt(0)
	s_barrier
                                        ; implicit-def: $vgpr120_vgpr121
                                        ; implicit-def: $vgpr122_vgpr123
	s_cbranch_scc1 .LBB25_78
; %bb.77:                               ;   in Loop: Header=BB25_9 Depth=1
	v_add_u32_e32 v22, v20, v21
	v_lshrrev_b32_e32 v22, s39, v22
	v_mul_lo_u32 v22, v22, s24
	v_sub_u32_e32 v22, v20, v22
	v_mad_i64_i32 v[120:121], s[4:5], v22, s40, 0
	v_add_u32_e32 v22, v18, v19
	v_lshrrev_b32_e32 v22, s39, v22
	v_mul_lo_u32 v22, v22, s24
	v_sub_u32_e32 v22, v18, v22
	v_mad_i64_i32 v[122:123], s[4:5], v22, s40, 0
	s_mov_b64 s[4:5], 0
.LBB25_78:                              ;   in Loop: Header=BB25_9 Depth=1
	s_andn2_b64 vcc, exec, s[4:5]
	s_cbranch_vccnz .LBB25_147
; %bb.79:                               ;   in Loop: Header=BB25_9 Depth=1
	v_add_u32_e32 v19, v18, v19
	v_lshrrev_b32_e32 v19, s39, v19
	v_mul_lo_u32 v19, v19, s24
	v_sub_u32_e32 v18, v18, v19
	v_mad_i64_i32 v[122:123], s[4:5], v18, s40, 0
	v_and_b32_e32 v18, 64, v235
	v_add_u32_e32 v18, 64, v18
	v_xor_b32_e32 v19, 32, v235
	v_add_u32_e32 v21, v20, v21
	v_cmp_lt_i32_e32 vcc, v19, v18
	v_lshrrev_b32_e32 v21, s39, v21
	v_mul_lo_u32 v21, v21, s24
	v_cndmask_b32_e32 v19, v235, v19, vcc
	v_lshlrev_b32_e32 v251, 2, v19
	v_xor_b32_e32 v19, 16, v235
	v_sub_u32_e32 v20, v20, v21
	v_cmp_lt_i32_e32 vcc, v19, v18
	v_lshlrev_b32_e32 v50, 1, v74
	v_mad_i64_i32 v[120:121], s[4:5], v20, s40, 0
	v_cndmask_b32_e32 v18, v235, v19, vcc
	v_lshl_add_u64 v[124:125], v[106:107], 0, v[50:51]
	v_lshlrev_b32_e32 v252, 2, v18
	s_lshl_b32 s4, s34, 6
	v_mov_b32_e32 v126, 0
	v_mov_b32_e32 v131, 0xfeffffff
	;; [unrolled: 1-line block ×18, first 2 shown]
.LBB25_80:                              ;   Parent Loop BB25_9 Depth=1
                                        ; =>  This Inner Loop Header: Depth=2
	s_ashr_i32 s5, s4, 31
	v_lshl_add_u64 v[18:19], s[4:5], 1, v[124:125]
	v_lshl_add_u64 v[20:21], v[120:121], 1, v[18:19]
	;; [unrolled: 1-line block ×3, first 2 shown]
	global_load_dword v20, v[20:21], off
	s_mul_hi_i32 s7, s4, s36
	global_load_dword v18, v[18:19], off
	s_mul_i32 s6, s4, s36
	v_add_u32_e32 v21, v211, v209
	s_lshl_b64 s[6:7], s[6:7], 2
	v_lshlrev_b32_e32 v50, 2, v52
	v_add_u32_e32 v30, 0x1000, v203
	v_add_u32_e32 v132, 0x2000, v203
	s_waitcnt vmcnt(1)
	ds_write_b32 v21, v20 offset:17408
	s_waitcnt vmcnt(0)
	ds_write_b32 v21, v18 offset:18560
	v_lshl_add_u64 v[18:19], v[104:105], 0, s[6:7]
	v_lshl_add_u64 v[20:21], v[54:55], 2, v[18:19]
	;; [unrolled: 1-line block ×7, first 2 shown]
	global_load_dwordx4 v[18:21], v[20:21], off
	v_lshl_add_u64 v[22:23], v[22:23], 0, v[50:51]
	v_lshl_add_u64 v[24:25], v[24:25], 0, v[50:51]
	s_waitcnt vmcnt(0)
	ds_write_b128 v75, v[18:21]
	global_load_dwordx4 v[18:21], v[22:23], off
	s_waitcnt vmcnt(0)
	ds_write_b128 v212, v[18:21]
	global_load_dwordx4 v[18:21], v[24:25], off
	;; [unrolled: 3-line block ×3, first 2 shown]
	s_waitcnt vmcnt(0)
	ds_write_b128 v214, v[18:21]
	s_waitcnt lgkmcnt(0)
	s_barrier
	ds_read2_b64 v[18:21], v203 offset1:4
	s_waitcnt lgkmcnt(0)
	v_mfma_f32_16x16x16_f16 v[22:25], v[18:19], v[14:15], 0
	v_mfma_f32_16x16x16_f16 v[18:21], v[20:21], v[16:17], v[22:25]
	s_nop 6
	ds_read2_b64 v[22:25], v203 offset0:8 offset1:12
	s_waitcnt lgkmcnt(0)
	v_mfma_f32_16x16x16_f16 v[18:21], v[22:23], v[10:11], v[18:21]
	v_mfma_f32_16x16x16_f16 v[18:21], v[24:25], v[12:13], v[18:21]
	ds_read2_b64 v[22:25], v203 offset0:16 offset1:20
	s_waitcnt lgkmcnt(0)
	v_mfma_f32_16x16x16_f16 v[18:21], v[22:23], v[6:7], v[18:21]
	v_mfma_f32_16x16x16_f16 v[18:21], v[24:25], v[8:9], v[18:21]
	;; [unrolled: 4-line block ×3, first 2 shown]
	ds_read2_b64 v[22:25], v30 offset0:32 offset1:36
	s_waitcnt lgkmcnt(0)
	v_mfma_f32_16x16x16_f16 v[26:29], v[22:23], v[14:15], 0
	s_nop 4
	v_cmp_nlt_f32_e64 s[6:7], |v18|, s41
	v_mfma_f32_16x16x16_f16 v[22:25], v[24:25], v[16:17], v[26:29]
	s_nop 2
	ds_read2_b64 v[26:29], v30 offset0:40 offset1:44
	s_waitcnt lgkmcnt(0)
	v_mfma_f32_16x16x16_f16 v[22:25], v[26:27], v[10:11], v[22:25]
	v_mfma_f32_16x16x16_f16 v[22:25], v[28:29], v[12:13], v[22:25]
	ds_read2_b64 v[26:29], v30 offset0:48 offset1:52
	s_waitcnt lgkmcnt(0)
	v_mfma_f32_16x16x16_f16 v[22:25], v[26:27], v[6:7], v[22:25]
	v_mfma_f32_16x16x16_f16 v[22:25], v[28:29], v[8:9], v[22:25]
	;; [unrolled: 4-line block ×4, first 2 shown]
	s_nop 6
	ds_read2_b64 v[30:33], v132 offset0:72 offset1:76
	s_waitcnt lgkmcnt(0)
	v_mfma_f32_16x16x16_f16 v[26:29], v[30:31], v[10:11], v[26:29]
	v_mfma_f32_16x16x16_f16 v[26:29], v[32:33], v[12:13], v[26:29]
	ds_read2_b64 v[30:33], v132 offset0:80 offset1:84
	s_waitcnt lgkmcnt(0)
	v_mfma_f32_16x16x16_f16 v[26:29], v[30:31], v[6:7], v[26:29]
	v_mfma_f32_16x16x16_f16 v[26:29], v[32:33], v[8:9], v[26:29]
	ds_read2_b64 v[30:33], v132 offset0:88 offset1:92
	v_add_u32_e32 v132, 0x3000, v203
	s_waitcnt lgkmcnt(0)
	v_mfma_f32_16x16x16_f16 v[26:29], v[30:31], v[2:3], v[26:29]
	v_mfma_f32_16x16x16_f16 v[26:29], v[32:33], v[4:5], v[26:29]
	ds_read2_b64 v[30:33], v132 offset0:96 offset1:100
	s_waitcnt lgkmcnt(0)
	v_mfma_f32_16x16x16_f16 v[194:197], v[30:31], v[14:15], 0
	v_mfma_f32_16x16x16_f16 v[30:33], v[32:33], v[16:17], v[194:197]
	s_nop 6
	ds_read2_b64 v[194:197], v132 offset0:104 offset1:108
	s_waitcnt lgkmcnt(0)
	v_mfma_f32_16x16x16_f16 v[30:33], v[194:195], v[10:11], v[30:33]
	v_mfma_f32_16x16x16_f16 v[30:33], v[196:197], v[12:13], v[30:33]
	ds_read2_b64 v[194:197], v132 offset0:112 offset1:116
	s_waitcnt lgkmcnt(0)
	v_mfma_f32_16x16x16_f16 v[30:33], v[194:195], v[6:7], v[30:33]
	v_mfma_f32_16x16x16_f16 v[30:33], v[196:197], v[8:9], v[30:33]
	ds_read2_b64 v[194:197], v132 offset0:120 offset1:124
	s_waitcnt lgkmcnt(0)
	s_barrier
	v_mfma_f32_16x16x16_f16 v[30:33], v[194:195], v[2:3], v[30:33]
                                        ; implicit-def: $vgpr132
	v_mfma_f32_16x16x16_f16 v[30:33], v[196:197], v[4:5], v[30:33]
	s_and_saveexec_b64 s[56:57], s[6:7]
	s_xor_b64 s[6:7], exec, s[56:57]
	s_cbranch_execz .LBB25_82
; %bb.81:                               ;   in Loop: Header=BB25_80 Depth=2
	v_add_f32_e64 v132, |v18|, |v18|
	v_mul_f32_e32 v133, 0x3fb8aa3b, v132
	v_rndne_f32_e32 v187, v133
	v_sub_f32_e32 v190, v133, v187
	v_fma_f32 v133, v132, s47, -v133
	v_fmac_f32_e32 v133, 0x32a5705f, v132
	v_add_f32_e32 v133, v190, v133
	v_cvt_i32_f32_e32 v187, v187
	v_exp_f32_e32 v133, v133
	v_cmp_ngt_f32_e32 vcc, s0, v132
	v_ldexp_f32 v133, v133, v187
	s_nop 0
	v_cndmask_b32_e32 v133, 0, v133, vcc
	v_cmp_nlt_f32_e32 vcc, s1, v132
	s_nop 1
	v_cndmask_b32_e32 v132, v236, v133, vcc
	v_add_f32_e32 v132, 1.0, v132
	v_rcp_f32_e32 v132, v132
	s_nop 0
	v_fma_f32 v132, v132, -2.0, 1.0
.LBB25_82:                              ;   in Loop: Header=BB25_80 Depth=2
	s_andn2_saveexec_b64 s[6:7], s[6:7]
; %bb.83:                               ;   in Loop: Header=BB25_80 Depth=2
	v_mul_f32_e32 v132, v18, v18
	v_fmamk_f32 v133, v132, 0xbbbac73d, v234
	v_fmaak_f32 v133, v132, v133, 0xbd5c1c4e
	v_fmaak_f32 v133, v132, v133, 0x3e088382
	;; [unrolled: 1-line block ×3, first 2 shown]
	v_mul_f32_e64 v133, |v18|, v133
	v_fma_f32 v132, v132, v133, |v18|
; %bb.84:                               ;   in Loop: Header=BB25_80 Depth=2
	s_or_b64 exec, exec, s[6:7]
	v_cmp_nlt_f32_e64 s[6:7], |v19|, s41
                                        ; implicit-def: $vgpr133
	s_and_saveexec_b64 s[56:57], s[6:7]
	s_xor_b64 s[6:7], exec, s[56:57]
	s_cbranch_execz .LBB25_86
; %bb.85:                               ;   in Loop: Header=BB25_80 Depth=2
	v_add_f32_e64 v133, |v19|, |v19|
	v_mul_f32_e32 v187, 0x3fb8aa3b, v133
	v_rndne_f32_e32 v190, v187
	v_sub_f32_e32 v191, v187, v190
	v_fma_f32 v187, v133, s47, -v187
	v_fmac_f32_e32 v187, 0x32a5705f, v133
	v_add_f32_e32 v187, v191, v187
	v_cvt_i32_f32_e32 v190, v190
	v_exp_f32_e32 v187, v187
	v_cmp_ngt_f32_e32 vcc, s0, v133
	v_ldexp_f32 v187, v187, v190
	s_nop 0
	v_cndmask_b32_e32 v187, 0, v187, vcc
	v_cmp_nlt_f32_e32 vcc, s1, v133
	s_nop 1
	v_cndmask_b32_e32 v133, v236, v187, vcc
	v_add_f32_e32 v133, 1.0, v133
	v_rcp_f32_e32 v133, v133
	s_nop 0
	v_fma_f32 v133, v133, -2.0, 1.0
.LBB25_86:                              ;   in Loop: Header=BB25_80 Depth=2
	s_andn2_saveexec_b64 s[6:7], s[6:7]
; %bb.87:                               ;   in Loop: Header=BB25_80 Depth=2
	v_mul_f32_e32 v133, v19, v19
	v_fmamk_f32 v187, v133, 0xbbbac73d, v234
	v_fmaak_f32 v187, v133, v187, 0xbd5c1c4e
	v_fmaak_f32 v187, v133, v187, 0x3e088382
	;; [unrolled: 1-line block ×3, first 2 shown]
	v_mul_f32_e64 v187, |v19|, v187
	v_fma_f32 v133, v133, v187, |v19|
; %bb.88:                               ;   in Loop: Header=BB25_80 Depth=2
	s_or_b64 exec, exec, s[6:7]
	v_cmp_nlt_f32_e64 s[6:7], |v20|, s41
                                        ; implicit-def: $vgpr192
	s_and_saveexec_b64 s[56:57], s[6:7]
	s_xor_b64 s[6:7], exec, s[56:57]
	s_cbranch_execz .LBB25_90
; %bb.89:                               ;   in Loop: Header=BB25_80 Depth=2
	v_add_f32_e64 v187, |v20|, |v20|
	v_mul_f32_e32 v190, 0x3fb8aa3b, v187
	v_rndne_f32_e32 v191, v190
	v_sub_f32_e32 v192, v190, v191
	v_fma_f32 v190, v187, s47, -v190
	v_fmac_f32_e32 v190, 0x32a5705f, v187
	v_add_f32_e32 v190, v192, v190
	v_cvt_i32_f32_e32 v191, v191
	v_exp_f32_e32 v190, v190
	v_cmp_ngt_f32_e32 vcc, s0, v187
	v_ldexp_f32 v190, v190, v191
	s_nop 0
	v_cndmask_b32_e32 v190, 0, v190, vcc
	v_cmp_nlt_f32_e32 vcc, s1, v187
	s_nop 1
	v_cndmask_b32_e32 v187, v236, v190, vcc
	v_add_f32_e32 v187, 1.0, v187
	v_rcp_f32_e32 v187, v187
	s_nop 0
	v_fma_f32 v192, v187, -2.0, 1.0
.LBB25_90:                              ;   in Loop: Header=BB25_80 Depth=2
	s_andn2_saveexec_b64 s[6:7], s[6:7]
; %bb.91:                               ;   in Loop: Header=BB25_80 Depth=2
	v_mul_f32_e32 v187, v20, v20
	v_fmamk_f32 v190, v187, 0xbbbac73d, v234
	v_fmaak_f32 v190, v187, v190, 0xbd5c1c4e
	v_fmaak_f32 v190, v187, v190, 0x3e088382
	;; [unrolled: 1-line block ×3, first 2 shown]
	v_mul_f32_e64 v190, |v20|, v190
	v_fma_f32 v192, v187, v190, |v20|
; %bb.92:                               ;   in Loop: Header=BB25_80 Depth=2
	s_or_b64 exec, exec, s[6:7]
	v_cmp_nlt_f32_e64 s[6:7], |v21|, s41
                                        ; implicit-def: $vgpr194
	s_and_saveexec_b64 s[56:57], s[6:7]
	s_xor_b64 s[6:7], exec, s[56:57]
	s_cbranch_execz .LBB25_94
; %bb.93:                               ;   in Loop: Header=BB25_80 Depth=2
	v_add_f32_e64 v187, |v21|, |v21|
	v_mul_f32_e32 v190, 0x3fb8aa3b, v187
	v_rndne_f32_e32 v191, v190
	v_sub_f32_e32 v193, v190, v191
	v_fma_f32 v190, v187, s47, -v190
	v_fmac_f32_e32 v190, 0x32a5705f, v187
	v_add_f32_e32 v190, v193, v190
	v_cvt_i32_f32_e32 v191, v191
	v_exp_f32_e32 v190, v190
	v_cmp_ngt_f32_e32 vcc, s0, v187
	v_ldexp_f32 v190, v190, v191
	s_nop 0
	v_cndmask_b32_e32 v190, 0, v190, vcc
	v_cmp_nlt_f32_e32 vcc, s1, v187
	s_nop 1
	v_cndmask_b32_e32 v187, v236, v190, vcc
	v_add_f32_e32 v187, 1.0, v187
	v_rcp_f32_e32 v187, v187
	s_nop 0
	v_fma_f32 v194, v187, -2.0, 1.0
.LBB25_94:                              ;   in Loop: Header=BB25_80 Depth=2
	s_andn2_saveexec_b64 s[6:7], s[6:7]
; %bb.95:                               ;   in Loop: Header=BB25_80 Depth=2
	v_mul_f32_e32 v187, v21, v21
	v_fmamk_f32 v190, v187, 0xbbbac73d, v234
	v_fmaak_f32 v190, v187, v190, 0xbd5c1c4e
	v_fmaak_f32 v190, v187, v190, 0x3e088382
	;; [unrolled: 1-line block ×3, first 2 shown]
	v_mul_f32_e64 v190, |v21|, v190
	v_fma_f32 v194, v187, v190, |v21|
; %bb.96:                               ;   in Loop: Header=BB25_80 Depth=2
	s_or_b64 exec, exec, s[6:7]
	v_cmp_nlt_f32_e64 s[6:7], |v22|, s41
                                        ; implicit-def: $vgpr195
	s_and_saveexec_b64 s[56:57], s[6:7]
	s_xor_b64 s[6:7], exec, s[56:57]
	s_cbranch_execz .LBB25_98
; %bb.97:                               ;   in Loop: Header=BB25_80 Depth=2
	v_add_f32_e64 v187, |v22|, |v22|
	v_mul_f32_e32 v190, 0x3fb8aa3b, v187
	v_rndne_f32_e32 v191, v190
	v_sub_f32_e32 v193, v190, v191
	v_fma_f32 v190, v187, s47, -v190
	v_fmac_f32_e32 v190, 0x32a5705f, v187
	v_add_f32_e32 v190, v193, v190
	v_cvt_i32_f32_e32 v191, v191
	v_exp_f32_e32 v190, v190
	v_cmp_ngt_f32_e32 vcc, s0, v187
	v_ldexp_f32 v190, v190, v191
	s_nop 0
	v_cndmask_b32_e32 v190, 0, v190, vcc
	v_cmp_nlt_f32_e32 vcc, s1, v187
	s_nop 1
	v_cndmask_b32_e32 v187, v236, v190, vcc
	v_add_f32_e32 v187, 1.0, v187
	v_rcp_f32_e32 v187, v187
	s_nop 0
	v_fma_f32 v195, v187, -2.0, 1.0
.LBB25_98:                              ;   in Loop: Header=BB25_80 Depth=2
	s_andn2_saveexec_b64 s[6:7], s[6:7]
; %bb.99:                               ;   in Loop: Header=BB25_80 Depth=2
	v_mul_f32_e32 v187, v22, v22
	v_fmamk_f32 v190, v187, 0xbbbac73d, v234
	v_fmaak_f32 v190, v187, v190, 0xbd5c1c4e
	v_fmaak_f32 v190, v187, v190, 0x3e088382
	;; [unrolled: 1-line block ×3, first 2 shown]
	v_mul_f32_e64 v190, |v22|, v190
	v_fma_f32 v195, v187, v190, |v22|
; %bb.100:                              ;   in Loop: Header=BB25_80 Depth=2
	s_or_b64 exec, exec, s[6:7]
	v_cmp_nlt_f32_e64 s[6:7], |v23|, s41
                                        ; implicit-def: $vgpr196
	s_and_saveexec_b64 s[56:57], s[6:7]
	s_xor_b64 s[6:7], exec, s[56:57]
	s_cbranch_execz .LBB25_102
; %bb.101:                              ;   in Loop: Header=BB25_80 Depth=2
	v_add_f32_e64 v187, |v23|, |v23|
	v_mul_f32_e32 v190, 0x3fb8aa3b, v187
	v_rndne_f32_e32 v191, v190
	v_sub_f32_e32 v193, v190, v191
	v_fma_f32 v190, v187, s47, -v190
	v_fmac_f32_e32 v190, 0x32a5705f, v187
	v_add_f32_e32 v190, v193, v190
	v_cvt_i32_f32_e32 v191, v191
	v_exp_f32_e32 v190, v190
	v_cmp_ngt_f32_e32 vcc, s0, v187
	v_ldexp_f32 v190, v190, v191
	s_nop 0
	v_cndmask_b32_e32 v190, 0, v190, vcc
	v_cmp_nlt_f32_e32 vcc, s1, v187
	s_nop 1
	v_cndmask_b32_e32 v187, v236, v190, vcc
	v_add_f32_e32 v187, 1.0, v187
	v_rcp_f32_e32 v187, v187
	s_nop 0
	v_fma_f32 v196, v187, -2.0, 1.0
.LBB25_102:                             ;   in Loop: Header=BB25_80 Depth=2
	s_andn2_saveexec_b64 s[6:7], s[6:7]
; %bb.103:                              ;   in Loop: Header=BB25_80 Depth=2
	v_mul_f32_e32 v187, v23, v23
	v_fmamk_f32 v190, v187, 0xbbbac73d, v234
	v_fmaak_f32 v190, v187, v190, 0xbd5c1c4e
	v_fmaak_f32 v190, v187, v190, 0x3e088382
	;; [unrolled: 1-line block ×3, first 2 shown]
	v_mul_f32_e64 v190, |v23|, v190
	v_fma_f32 v196, v187, v190, |v23|
; %bb.104:                              ;   in Loop: Header=BB25_80 Depth=2
	s_or_b64 exec, exec, s[6:7]
	v_cmp_nlt_f32_e64 s[6:7], |v24|, s41
                                        ; implicit-def: $vgpr197
	s_and_saveexec_b64 s[56:57], s[6:7]
	s_xor_b64 s[6:7], exec, s[56:57]
	s_cbranch_execz .LBB25_106
; %bb.105:                              ;   in Loop: Header=BB25_80 Depth=2
	v_add_f32_e64 v187, |v24|, |v24|
	v_mul_f32_e32 v190, 0x3fb8aa3b, v187
	v_rndne_f32_e32 v191, v190
	v_sub_f32_e32 v193, v190, v191
	v_fma_f32 v190, v187, s47, -v190
	v_fmac_f32_e32 v190, 0x32a5705f, v187
	v_add_f32_e32 v190, v193, v190
	v_cvt_i32_f32_e32 v191, v191
	v_exp_f32_e32 v190, v190
	v_cmp_ngt_f32_e32 vcc, s0, v187
	v_ldexp_f32 v190, v190, v191
	s_nop 0
	v_cndmask_b32_e32 v190, 0, v190, vcc
	v_cmp_nlt_f32_e32 vcc, s1, v187
	s_nop 1
	v_cndmask_b32_e32 v187, v236, v190, vcc
	v_add_f32_e32 v187, 1.0, v187
	v_rcp_f32_e32 v187, v187
	s_nop 0
	v_fma_f32 v197, v187, -2.0, 1.0
.LBB25_106:                             ;   in Loop: Header=BB25_80 Depth=2
	s_andn2_saveexec_b64 s[6:7], s[6:7]
; %bb.107:                              ;   in Loop: Header=BB25_80 Depth=2
	v_mul_f32_e32 v187, v24, v24
	v_fmamk_f32 v190, v187, 0xbbbac73d, v234
	v_fmaak_f32 v190, v187, v190, 0xbd5c1c4e
	v_fmaak_f32 v190, v187, v190, 0x3e088382
	;; [unrolled: 1-line block ×3, first 2 shown]
	v_mul_f32_e64 v190, |v24|, v190
	v_fma_f32 v197, v187, v190, |v24|
; %bb.108:                              ;   in Loop: Header=BB25_80 Depth=2
	s_or_b64 exec, exec, s[6:7]
	v_cmp_nlt_f32_e64 s[6:7], |v25|, s41
                                        ; implicit-def: $vgpr198
	s_and_saveexec_b64 s[56:57], s[6:7]
	s_xor_b64 s[6:7], exec, s[56:57]
	s_cbranch_execz .LBB25_110
; %bb.109:                              ;   in Loop: Header=BB25_80 Depth=2
	v_add_f32_e64 v187, |v25|, |v25|
	v_mul_f32_e32 v190, 0x3fb8aa3b, v187
	v_rndne_f32_e32 v191, v190
	v_sub_f32_e32 v193, v190, v191
	v_fma_f32 v190, v187, s47, -v190
	v_fmac_f32_e32 v190, 0x32a5705f, v187
	v_add_f32_e32 v190, v193, v190
	v_cvt_i32_f32_e32 v191, v191
	v_exp_f32_e32 v190, v190
	v_cmp_ngt_f32_e32 vcc, s0, v187
	v_ldexp_f32 v190, v190, v191
	s_nop 0
	v_cndmask_b32_e32 v190, 0, v190, vcc
	v_cmp_nlt_f32_e32 vcc, s1, v187
	s_nop 1
	v_cndmask_b32_e32 v187, v236, v190, vcc
	v_add_f32_e32 v187, 1.0, v187
	v_rcp_f32_e32 v187, v187
	s_nop 0
	v_fma_f32 v198, v187, -2.0, 1.0
.LBB25_110:                             ;   in Loop: Header=BB25_80 Depth=2
	s_andn2_saveexec_b64 s[6:7], s[6:7]
; %bb.111:                              ;   in Loop: Header=BB25_80 Depth=2
	v_mul_f32_e32 v187, v25, v25
	v_fmamk_f32 v190, v187, 0xbbbac73d, v234
	v_fmaak_f32 v190, v187, v190, 0xbd5c1c4e
	v_fmaak_f32 v190, v187, v190, 0x3e088382
	;; [unrolled: 1-line block ×3, first 2 shown]
	v_mul_f32_e64 v190, |v25|, v190
	v_fma_f32 v198, v187, v190, |v25|
; %bb.112:                              ;   in Loop: Header=BB25_80 Depth=2
	s_or_b64 exec, exec, s[6:7]
	v_cmp_nlt_f32_e64 s[6:7], |v26|, s41
                                        ; implicit-def: $vgpr199
	s_and_saveexec_b64 s[56:57], s[6:7]
	s_xor_b64 s[6:7], exec, s[56:57]
	s_cbranch_execz .LBB25_114
; %bb.113:                              ;   in Loop: Header=BB25_80 Depth=2
	v_add_f32_e64 v187, |v26|, |v26|
	v_mul_f32_e32 v190, 0x3fb8aa3b, v187
	v_rndne_f32_e32 v191, v190
	v_sub_f32_e32 v193, v190, v191
	v_fma_f32 v190, v187, s47, -v190
	v_fmac_f32_e32 v190, 0x32a5705f, v187
	v_add_f32_e32 v190, v193, v190
	v_cvt_i32_f32_e32 v191, v191
	v_exp_f32_e32 v190, v190
	v_cmp_ngt_f32_e32 vcc, s0, v187
	v_ldexp_f32 v190, v190, v191
	s_nop 0
	v_cndmask_b32_e32 v190, 0, v190, vcc
	v_cmp_nlt_f32_e32 vcc, s1, v187
	s_nop 1
	v_cndmask_b32_e32 v187, v236, v190, vcc
	v_add_f32_e32 v187, 1.0, v187
	v_rcp_f32_e32 v187, v187
	s_nop 0
	v_fma_f32 v199, v187, -2.0, 1.0
.LBB25_114:                             ;   in Loop: Header=BB25_80 Depth=2
	s_andn2_saveexec_b64 s[6:7], s[6:7]
; %bb.115:                              ;   in Loop: Header=BB25_80 Depth=2
	v_mul_f32_e32 v187, v26, v26
	v_fmamk_f32 v190, v187, 0xbbbac73d, v234
	v_fmaak_f32 v190, v187, v190, 0xbd5c1c4e
	v_fmaak_f32 v190, v187, v190, 0x3e088382
	;; [unrolled: 1-line block ×3, first 2 shown]
	v_mul_f32_e64 v190, |v26|, v190
	v_fma_f32 v199, v187, v190, |v26|
; %bb.116:                              ;   in Loop: Header=BB25_80 Depth=2
	s_or_b64 exec, exec, s[6:7]
	v_cmp_nlt_f32_e64 s[6:7], |v27|, s41
                                        ; implicit-def: $vgpr200
	s_and_saveexec_b64 s[56:57], s[6:7]
	s_xor_b64 s[6:7], exec, s[56:57]
	s_cbranch_execz .LBB25_118
; %bb.117:                              ;   in Loop: Header=BB25_80 Depth=2
	v_add_f32_e64 v187, |v27|, |v27|
	v_mul_f32_e32 v190, 0x3fb8aa3b, v187
	v_rndne_f32_e32 v191, v190
	v_sub_f32_e32 v193, v190, v191
	v_fma_f32 v190, v187, s47, -v190
	v_fmac_f32_e32 v190, 0x32a5705f, v187
	v_add_f32_e32 v190, v193, v190
	v_cvt_i32_f32_e32 v191, v191
	v_exp_f32_e32 v190, v190
	v_cmp_ngt_f32_e32 vcc, s0, v187
	v_ldexp_f32 v190, v190, v191
	s_nop 0
	v_cndmask_b32_e32 v190, 0, v190, vcc
	v_cmp_nlt_f32_e32 vcc, s1, v187
	s_nop 1
	v_cndmask_b32_e32 v187, v236, v190, vcc
	v_add_f32_e32 v187, 1.0, v187
	v_rcp_f32_e32 v187, v187
	s_nop 0
	v_fma_f32 v200, v187, -2.0, 1.0
.LBB25_118:                             ;   in Loop: Header=BB25_80 Depth=2
	s_andn2_saveexec_b64 s[6:7], s[6:7]
; %bb.119:                              ;   in Loop: Header=BB25_80 Depth=2
	v_mul_f32_e32 v187, v27, v27
	v_fmamk_f32 v190, v187, 0xbbbac73d, v234
	v_fmaak_f32 v190, v187, v190, 0xbd5c1c4e
	v_fmaak_f32 v190, v187, v190, 0x3e088382
	;; [unrolled: 1-line block ×3, first 2 shown]
	v_mul_f32_e64 v190, |v27|, v190
	v_fma_f32 v200, v187, v190, |v27|
; %bb.120:                              ;   in Loop: Header=BB25_80 Depth=2
	s_or_b64 exec, exec, s[6:7]
	v_cmp_nlt_f32_e64 s[6:7], |v28|, s41
                                        ; implicit-def: $vgpr201
	s_and_saveexec_b64 s[56:57], s[6:7]
	s_xor_b64 s[6:7], exec, s[56:57]
	s_cbranch_execz .LBB25_122
; %bb.121:                              ;   in Loop: Header=BB25_80 Depth=2
	v_add_f32_e64 v187, |v28|, |v28|
	v_mul_f32_e32 v190, 0x3fb8aa3b, v187
	v_rndne_f32_e32 v191, v190
	v_sub_f32_e32 v193, v190, v191
	v_fma_f32 v190, v187, s47, -v190
	v_fmac_f32_e32 v190, 0x32a5705f, v187
	v_add_f32_e32 v190, v193, v190
	v_cvt_i32_f32_e32 v191, v191
	v_exp_f32_e32 v190, v190
	v_cmp_ngt_f32_e32 vcc, s0, v187
	v_ldexp_f32 v190, v190, v191
	s_nop 0
	v_cndmask_b32_e32 v190, 0, v190, vcc
	v_cmp_nlt_f32_e32 vcc, s1, v187
	s_nop 1
	v_cndmask_b32_e32 v187, v236, v190, vcc
	v_add_f32_e32 v187, 1.0, v187
	v_rcp_f32_e32 v187, v187
	s_nop 0
	v_fma_f32 v201, v187, -2.0, 1.0
.LBB25_122:                             ;   in Loop: Header=BB25_80 Depth=2
	s_andn2_saveexec_b64 s[6:7], s[6:7]
; %bb.123:                              ;   in Loop: Header=BB25_80 Depth=2
	v_mul_f32_e32 v187, v28, v28
	v_fmamk_f32 v190, v187, 0xbbbac73d, v234
	v_fmaak_f32 v190, v187, v190, 0xbd5c1c4e
	v_fmaak_f32 v190, v187, v190, 0x3e088382
	;; [unrolled: 1-line block ×3, first 2 shown]
	v_mul_f32_e64 v190, |v28|, v190
	v_fma_f32 v201, v187, v190, |v28|
; %bb.124:                              ;   in Loop: Header=BB25_80 Depth=2
	s_or_b64 exec, exec, s[6:7]
	v_cmp_nlt_f32_e64 s[6:7], |v29|, s41
                                        ; implicit-def: $vgpr202
	s_and_saveexec_b64 s[56:57], s[6:7]
	s_xor_b64 s[6:7], exec, s[56:57]
	s_cbranch_execz .LBB25_126
; %bb.125:                              ;   in Loop: Header=BB25_80 Depth=2
	v_add_f32_e64 v187, |v29|, |v29|
	v_mul_f32_e32 v190, 0x3fb8aa3b, v187
	v_rndne_f32_e32 v191, v190
	v_sub_f32_e32 v193, v190, v191
	v_fma_f32 v190, v187, s47, -v190
	v_fmac_f32_e32 v190, 0x32a5705f, v187
	v_add_f32_e32 v190, v193, v190
	v_cvt_i32_f32_e32 v191, v191
	v_exp_f32_e32 v190, v190
	v_cmp_ngt_f32_e32 vcc, s0, v187
	v_ldexp_f32 v190, v190, v191
	s_nop 0
	v_cndmask_b32_e32 v190, 0, v190, vcc
	v_cmp_nlt_f32_e32 vcc, s1, v187
	s_nop 1
	v_cndmask_b32_e32 v187, v236, v190, vcc
	v_add_f32_e32 v187, 1.0, v187
	v_rcp_f32_e32 v187, v187
	s_nop 0
	v_fma_f32 v202, v187, -2.0, 1.0
.LBB25_126:                             ;   in Loop: Header=BB25_80 Depth=2
	s_andn2_saveexec_b64 s[6:7], s[6:7]
; %bb.127:                              ;   in Loop: Header=BB25_80 Depth=2
	v_mul_f32_e32 v187, v29, v29
	v_fmamk_f32 v190, v187, 0xbbbac73d, v234
	v_fmaak_f32 v190, v187, v190, 0xbd5c1c4e
	v_fmaak_f32 v190, v187, v190, 0x3e088382
	;; [unrolled: 1-line block ×3, first 2 shown]
	v_mul_f32_e64 v190, |v29|, v190
	v_fma_f32 v202, v187, v190, |v29|
; %bb.128:                              ;   in Loop: Header=BB25_80 Depth=2
	s_or_b64 exec, exec, s[6:7]
	v_cmp_nlt_f32_e64 s[6:7], |v30|, s41
                                        ; implicit-def: $vgpr206
	s_and_saveexec_b64 s[56:57], s[6:7]
	s_xor_b64 s[6:7], exec, s[56:57]
	s_cbranch_execz .LBB25_130
; %bb.129:                              ;   in Loop: Header=BB25_80 Depth=2
	v_add_f32_e64 v187, |v30|, |v30|
	v_mul_f32_e32 v190, 0x3fb8aa3b, v187
	v_rndne_f32_e32 v191, v190
	v_sub_f32_e32 v193, v190, v191
	v_fma_f32 v190, v187, s47, -v190
	v_fmac_f32_e32 v190, 0x32a5705f, v187
	v_add_f32_e32 v190, v193, v190
	v_cvt_i32_f32_e32 v191, v191
	v_exp_f32_e32 v190, v190
	v_cmp_ngt_f32_e32 vcc, s0, v187
	v_ldexp_f32 v190, v190, v191
	s_nop 0
	v_cndmask_b32_e32 v190, 0, v190, vcc
	v_cmp_nlt_f32_e32 vcc, s1, v187
	s_nop 1
	v_cndmask_b32_e32 v187, v236, v190, vcc
	v_add_f32_e32 v187, 1.0, v187
	v_rcp_f32_e32 v187, v187
	s_nop 0
	v_fma_f32 v206, v187, -2.0, 1.0
.LBB25_130:                             ;   in Loop: Header=BB25_80 Depth=2
	s_andn2_saveexec_b64 s[6:7], s[6:7]
; %bb.131:                              ;   in Loop: Header=BB25_80 Depth=2
	v_mul_f32_e32 v187, v30, v30
	v_fmamk_f32 v190, v187, 0xbbbac73d, v234
	v_fmaak_f32 v190, v187, v190, 0xbd5c1c4e
	v_fmaak_f32 v190, v187, v190, 0x3e088382
	;; [unrolled: 1-line block ×3, first 2 shown]
	v_mul_f32_e64 v190, |v30|, v190
	v_fma_f32 v206, v187, v190, |v30|
; %bb.132:                              ;   in Loop: Header=BB25_80 Depth=2
	s_or_b64 exec, exec, s[6:7]
	v_cmp_nlt_f32_e64 s[6:7], |v31|, s41
                                        ; implicit-def: $vgpr250
	s_and_saveexec_b64 s[56:57], s[6:7]
	s_xor_b64 s[6:7], exec, s[56:57]
	s_cbranch_execz .LBB25_134
; %bb.133:                              ;   in Loop: Header=BB25_80 Depth=2
	v_add_f32_e64 v187, |v31|, |v31|
	v_mul_f32_e32 v190, 0x3fb8aa3b, v187
	v_rndne_f32_e32 v191, v190
	v_sub_f32_e32 v193, v190, v191
	v_fma_f32 v190, v187, s47, -v190
	v_fmac_f32_e32 v190, 0x32a5705f, v187
	v_add_f32_e32 v190, v193, v190
	v_cvt_i32_f32_e32 v191, v191
	v_exp_f32_e32 v190, v190
	v_cmp_ngt_f32_e32 vcc, s0, v187
	v_ldexp_f32 v190, v190, v191
	s_nop 0
	v_cndmask_b32_e32 v190, 0, v190, vcc
	v_cmp_nlt_f32_e32 vcc, s1, v187
	s_nop 1
	v_cndmask_b32_e32 v187, v236, v190, vcc
	v_add_f32_e32 v187, 1.0, v187
	v_rcp_f32_e32 v187, v187
	s_nop 0
	v_fma_f32 v250, v187, -2.0, 1.0
.LBB25_134:                             ;   in Loop: Header=BB25_80 Depth=2
	s_andn2_saveexec_b64 s[6:7], s[6:7]
; %bb.135:                              ;   in Loop: Header=BB25_80 Depth=2
	v_mul_f32_e32 v187, v31, v31
	v_fmamk_f32 v190, v187, 0xbbbac73d, v234
	v_fmaak_f32 v190, v187, v190, 0xbd5c1c4e
	v_fmaak_f32 v190, v187, v190, 0x3e088382
	;; [unrolled: 1-line block ×3, first 2 shown]
	v_mul_f32_e64 v190, |v31|, v190
	v_fma_f32 v250, v187, v190, |v31|
; %bb.136:                              ;   in Loop: Header=BB25_80 Depth=2
	s_or_b64 exec, exec, s[6:7]
	v_cmp_nlt_f32_e64 s[6:7], |v32|, s41
                                        ; implicit-def: $vgpr253
	s_and_saveexec_b64 s[56:57], s[6:7]
	s_xor_b64 s[6:7], exec, s[56:57]
	s_cbranch_execz .LBB25_138
; %bb.137:                              ;   in Loop: Header=BB25_80 Depth=2
	v_add_f32_e64 v187, |v32|, |v32|
	v_mul_f32_e32 v190, 0x3fb8aa3b, v187
	v_rndne_f32_e32 v191, v190
	v_sub_f32_e32 v193, v190, v191
	v_fma_f32 v190, v187, s47, -v190
	v_fmac_f32_e32 v190, 0x32a5705f, v187
	v_add_f32_e32 v190, v193, v190
	v_cvt_i32_f32_e32 v191, v191
	v_exp_f32_e32 v190, v190
	v_cmp_ngt_f32_e32 vcc, s0, v187
	v_ldexp_f32 v190, v190, v191
	s_nop 0
	v_cndmask_b32_e32 v190, 0, v190, vcc
	v_cmp_nlt_f32_e32 vcc, s1, v187
	s_nop 1
	v_cndmask_b32_e32 v187, v236, v190, vcc
	v_add_f32_e32 v187, 1.0, v187
	v_rcp_f32_e32 v187, v187
	s_nop 0
	v_fma_f32 v253, v187, -2.0, 1.0
.LBB25_138:                             ;   in Loop: Header=BB25_80 Depth=2
	s_andn2_saveexec_b64 s[6:7], s[6:7]
; %bb.139:                              ;   in Loop: Header=BB25_80 Depth=2
	v_mul_f32_e32 v187, v32, v32
	v_fmamk_f32 v190, v187, 0xbbbac73d, v234
	v_fmaak_f32 v190, v187, v190, 0xbd5c1c4e
	v_fmaak_f32 v190, v187, v190, 0x3e088382
	;; [unrolled: 1-line block ×3, first 2 shown]
	v_mul_f32_e64 v190, |v32|, v190
	v_fma_f32 v253, v187, v190, |v32|
; %bb.140:                              ;   in Loop: Header=BB25_80 Depth=2
	s_or_b64 exec, exec, s[6:7]
	v_cmp_nlt_f32_e64 s[6:7], |v33|, s41
                                        ; implicit-def: $vgpr190
	s_and_saveexec_b64 s[56:57], s[6:7]
	s_xor_b64 s[6:7], exec, s[56:57]
	s_cbranch_execz .LBB25_142
; %bb.141:                              ;   in Loop: Header=BB25_80 Depth=2
	v_add_f32_e64 v187, |v33|, |v33|
	v_mul_f32_e32 v190, 0x3fb8aa3b, v187
	v_rndne_f32_e32 v191, v190
	v_sub_f32_e32 v193, v190, v191
	v_fma_f32 v190, v187, s47, -v190
	v_fmac_f32_e32 v190, 0x32a5705f, v187
	v_add_f32_e32 v190, v193, v190
	v_cvt_i32_f32_e32 v191, v191
	v_exp_f32_e32 v190, v190
	v_cmp_ngt_f32_e32 vcc, s0, v187
	v_ldexp_f32 v190, v190, v191
	s_nop 0
	v_cndmask_b32_e32 v190, 0, v190, vcc
	v_cmp_nlt_f32_e32 vcc, s1, v187
	s_nop 1
	v_cndmask_b32_e32 v187, v236, v190, vcc
	v_add_f32_e32 v187, 1.0, v187
	v_rcp_f32_e32 v187, v187
	s_nop 0
	v_fma_f32 v190, v187, -2.0, 1.0
.LBB25_142:                             ;   in Loop: Header=BB25_80 Depth=2
	s_andn2_saveexec_b64 s[6:7], s[6:7]
; %bb.143:                              ;   in Loop: Header=BB25_80 Depth=2
	v_mul_f32_e32 v187, v33, v33
	v_fmamk_f32 v190, v187, 0xbbbac73d, v234
	v_fmaak_f32 v190, v187, v190, 0xbd5c1c4e
	v_fmaak_f32 v190, v187, v190, 0x3e088382
	;; [unrolled: 1-line block ×3, first 2 shown]
	v_mul_f32_e64 v190, |v33|, v190
	v_fma_f32 v190, v187, v190, |v33|
; %bb.144:                              ;   in Loop: Header=BB25_80 Depth=2
	s_or_b64 exec, exec, s[6:7]
	v_bfi_b32 v187, s62, v206, v30
	ds_read_b32 v30, v156 offset:17408
	v_bfi_b32 v18, s62, v132, v18
	v_bfi_b32 v21, s62, v194, v21
	;; [unrolled: 1-line block ×4, first 2 shown]
	s_waitcnt lgkmcnt(0)
	v_fma_mix_f32 v132, s33, v18, v30 op_sel_hi:[0,0,1]
	ds_read_b32 v18, v157 offset:17408
	v_bfi_b32 v33, s62, v190, v33
	v_fma_mix_f32 v133, s33, v19, v30 op_sel:[0,0,1] op_sel_hi:[0,0,1]
	v_bfi_b32 v22, s62, v195, v22
	v_bfi_b32 v23, s62, v196, v23
	s_waitcnt lgkmcnt(0)
	v_fma_mix_f32 v190, s33, v20, v18 op_sel_hi:[0,0,1]
	v_fma_mix_f32 v191, s33, v21, v18 op_sel:[0,0,1] op_sel_hi:[0,0,1]
	v_add_u32_e32 v18, 0x4400, v215
	ds_read2_b32 v[18:19], v18 offset1:1
	v_bfi_b32 v25, s62, v198, v25
	v_bfi_b32 v24, s62, v197, v24
	;; [unrolled: 1-line block ×4, first 2 shown]
	s_waitcnt lgkmcnt(0)
	v_fma_mix_f32 v192, s33, v22, v18 op_sel_hi:[0,0,1]
	v_fma_mix_f32 v193, s33, v23, v18 op_sel:[0,0,1] op_sel_hi:[0,0,1]
	v_add_u32_e32 v18, 0x4400, v216
	v_fma_mix_f32 v194, s33, v24, v19 op_sel_hi:[0,0,1]
	v_fma_mix_f32 v195, s33, v25, v19 op_sel:[0,0,1] op_sel_hi:[0,0,1]
	ds_read2_b32 v[18:19], v18 offset1:1
	v_bfi_b32 v31, s62, v250, v31
	v_bfi_b32 v32, s62, v253, v32
	v_add_f32_e32 v24, 0x40051340, v191
	v_bfi_b32 v29, s62, v202, v29
	s_waitcnt lgkmcnt(0)
	v_fma_mix_f32 v196, s33, v26, v18 op_sel_hi:[0,0,1]
	v_fma_mix_f32 v30, s33, v27, v18 op_sel:[0,0,1] op_sel_hi:[0,0,1]
	v_add_u32_e32 v18, 0x4400, v217
	ds_read2_b32 v[22:23], v18 offset1:1
	v_bfi_b32 v28, s62, v201, v28
	v_fma_mix_f32 v27, s33, v28, v19 op_sel_hi:[0,0,1]
	v_fma_mix_f32 v19, s33, v29, v19 op_sel:[0,0,1] op_sel_hi:[0,0,1]
	s_mul_hi_i32 s7, s4, s26
	s_waitcnt lgkmcnt(0)
	v_fma_mix_f32 v26, s33, v187, v22 op_sel_hi:[0,0,1]
	v_fma_mix_f32 v21, s33, v31, v22 op_sel:[0,0,1] op_sel_hi:[0,0,1]
	v_fma_mix_f32 v20, s33, v32, v23 op_sel_hi:[0,0,1]
	v_fma_mix_f32 v18, s33, v33, v23 op_sel:[0,0,1] op_sel_hi:[0,0,1]
	v_add_f32_e32 v22, 0x40051340, v132
	v_add_f32_e32 v23, 0x40051340, v133
	v_max3_f32 v22, v131, v22, v23
	v_add_f32_e32 v23, 0x40051340, v190
	v_max3_f32 v22, v22, v23, v24
	v_add_f32_e32 v23, 0x40051340, v192
	v_add_f32_e32 v24, 0x40051340, v193
	v_max3_f32 v22, v22, v23, v24
	v_add_f32_e32 v23, 0x40051340, v194
	;; [unrolled: 3-line block ×6, first 2 shown]
	v_add_f32_e32 v24, 0x40051340, v18
	v_max3_f32 v22, v22, v23, v24
	ds_bpermute_b32 v23, v251, v22
	s_mul_i32 s6, s4, s26
	s_lshl_b64 s[6:7], s[6:7], 2
	s_add_i32 s34, s34, 1
	s_add_i32 s4, s4, 64
	s_waitcnt lgkmcnt(0)
	v_max_f32_e32 v23, v23, v23
	v_max_f32_e32 v22, v22, v23
	ds_bpermute_b32 v23, v252, v22
	s_cmp_lt_i32 s34, s35
	s_waitcnt lgkmcnt(0)
	v_max_f32_e32 v23, v23, v23
	v_max_f32_e32 v250, v22, v23
	v_sub_f32_e32 v22, v132, v250
	v_mul_f32_e32 v23, 0x3fb8aa3b, v22
	v_fma_f32 v24, v22, s47, -v23
	v_rndne_f32_e32 v25, v23
	v_fmac_f32_e32 v24, 0x32a5705f, v22
	v_sub_f32_e32 v23, v23, v25
	v_add_f32_e32 v23, v23, v24
	v_exp_f32_e32 v23, v23
	v_cvt_i32_f32_e32 v24, v25
	v_cmp_ngt_f32_e32 vcc, s0, v22
	v_sub_f32_e32 v30, v30, v250
	v_sub_f32_e32 v27, v27, v250
	v_ldexp_f32 v23, v23, v24
	v_cndmask_b32_e32 v23, 0, v23, vcc
	v_cmp_nlt_f32_e32 vcc, s1, v22
	v_sub_f32_e32 v19, v19, v250
	v_sub_f32_e32 v26, v26, v250
	v_cndmask_b32_e32 v22, v236, v23, vcc
	v_sub_f32_e32 v23, v133, v250
	v_mul_f32_e32 v24, 0x3fb8aa3b, v23
	v_fma_f32 v25, v23, s47, -v24
	v_rndne_f32_e32 v28, v24
	v_fmac_f32_e32 v25, 0x32a5705f, v23
	v_sub_f32_e32 v24, v24, v28
	v_add_f32_e32 v24, v24, v25
	v_exp_f32_e32 v24, v24
	v_cvt_i32_f32_e32 v25, v28
	v_cmp_ngt_f32_e32 vcc, s0, v23
	v_sub_f32_e32 v21, v21, v250
	v_sub_f32_e32 v20, v20, v250
	v_ldexp_f32 v24, v24, v25
	v_cndmask_b32_e32 v24, 0, v24, vcc
	v_cmp_nlt_f32_e32 vcc, s1, v23
	v_sub_f32_e32 v18, v18, v250
	s_nop 0
	v_cndmask_b32_e32 v23, v236, v24, vcc
	v_sub_f32_e32 v24, v190, v250
	v_mul_f32_e32 v28, 0x3fb8aa3b, v24
	v_fma_f32 v29, v24, s47, -v28
	v_rndne_f32_e32 v31, v28
	v_fmac_f32_e32 v29, 0x32a5705f, v24
	v_sub_f32_e32 v28, v28, v31
	v_add_f32_e32 v28, v28, v29
	v_exp_f32_e32 v28, v28
	v_cvt_i32_f32_e32 v29, v31
	v_cmp_ngt_f32_e32 vcc, s0, v24
	v_add_f32_e32 v25, v22, v23
	v_ldexp_f32 v28, v28, v29
	v_cndmask_b32_e32 v28, 0, v28, vcc
	v_cmp_nlt_f32_e32 vcc, s1, v24
	s_nop 1
	v_cndmask_b32_e32 v24, v236, v28, vcc
	v_add_f32_e32 v28, v24, v25
	v_sub_f32_e32 v25, v191, v250
	v_mul_f32_e32 v29, 0x3fb8aa3b, v25
	v_fma_f32 v31, v25, s47, -v29
	v_rndne_f32_e32 v32, v29
	v_fmac_f32_e32 v31, 0x32a5705f, v25
	v_sub_f32_e32 v29, v29, v32
	v_add_f32_e32 v29, v29, v31
	v_exp_f32_e32 v29, v29
	v_cvt_i32_f32_e32 v31, v32
	v_cmp_ngt_f32_e32 vcc, s0, v25
	v_ldexp_f32 v29, v29, v31
	s_nop 0
	v_cndmask_b32_e32 v29, 0, v29, vcc
	v_cmp_nlt_f32_e32 vcc, s1, v25
	s_nop 1
	v_cndmask_b32_e32 v25, v236, v29, vcc
	v_add_f32_e32 v29, v25, v28
	v_sub_f32_e32 v28, v192, v250
	v_mul_f32_e32 v31, 0x3fb8aa3b, v28
	v_fma_f32 v32, v28, s47, -v31
	v_rndne_f32_e32 v33, v31
	v_fmac_f32_e32 v32, 0x32a5705f, v28
	v_sub_f32_e32 v31, v31, v33
	v_add_f32_e32 v31, v31, v32
	v_exp_f32_e32 v31, v31
	v_cvt_i32_f32_e32 v32, v33
	v_cmp_ngt_f32_e32 vcc, s0, v28
	v_ldexp_f32 v31, v31, v32
	s_nop 0
	;; [unrolled: 17-line block ×3, first 2 shown]
	v_cndmask_b32_e32 v32, 0, v32, vcc
	v_cmp_nlt_f32_e32 vcc, s1, v29
	s_nop 1
	v_cndmask_b32_e32 v29, v236, v32, vcc
	v_sub_f32_e32 v32, v194, v250
	v_mul_f32_e32 v33, 0x3fb8aa3b, v32
	v_fma_f32 v132, v32, s47, -v33
	v_rndne_f32_e32 v133, v33
	v_fmac_f32_e32 v132, 0x32a5705f, v32
	v_sub_f32_e32 v33, v33, v133
	v_add_f32_e32 v33, v33, v132
	v_exp_f32_e32 v33, v33
	v_cvt_i32_f32_e32 v132, v133
	v_cmp_ngt_f32_e32 vcc, s0, v32
	v_add_f32_e32 v31, v29, v31
	v_ldexp_f32 v33, v33, v132
	v_cndmask_b32_e32 v33, 0, v33, vcc
	v_cmp_nlt_f32_e32 vcc, s1, v32
	s_nop 1
	v_cndmask_b32_e32 v32, v236, v33, vcc
	v_sub_f32_e32 v33, v195, v250
	v_mul_f32_e32 v132, 0x3fb8aa3b, v33
	v_fma_f32 v133, v33, s47, -v132
	v_rndne_f32_e32 v187, v132
	v_fmac_f32_e32 v133, 0x32a5705f, v33
	v_sub_f32_e32 v132, v132, v187
	v_add_f32_e32 v132, v132, v133
	v_exp_f32_e32 v132, v132
	v_cvt_i32_f32_e32 v133, v187
	v_cmp_ngt_f32_e32 vcc, s0, v33
	v_add_f32_e32 v31, v32, v31
	v_ldexp_f32 v132, v132, v133
	v_cndmask_b32_e32 v132, 0, v132, vcc
	v_cmp_nlt_f32_e32 vcc, s1, v33
	v_sub_f32_e32 v33, v196, v250
	s_nop 0
	v_cndmask_b32_e32 v199, v236, v132, vcc
	v_mul_f32_e32 v132, 0x3fb8aa3b, v33
	v_fma_f32 v133, v33, s47, -v132
	v_rndne_f32_e32 v187, v132
	v_fmac_f32_e32 v133, 0x32a5705f, v33
	v_sub_f32_e32 v132, v132, v187
	v_add_f32_e32 v132, v132, v133
	v_exp_f32_e32 v132, v132
	v_cvt_i32_f32_e32 v133, v187
	v_cmp_ngt_f32_e32 vcc, s0, v33
	v_add_f32_e32 v31, v199, v31
	v_ldexp_f32 v132, v132, v133
	v_cndmask_b32_e32 v132, 0, v132, vcc
	v_cmp_nlt_f32_e32 vcc, s1, v33
	v_mul_f32_e32 v33, 0x3fb8aa3b, v30
	v_rndne_f32_e32 v133, v33
	v_cndmask_b32_e32 v202, v236, v132, vcc
	v_fma_f32 v132, v30, s47, -v33
	v_fmac_f32_e32 v132, 0x32a5705f, v30
	v_sub_f32_e32 v33, v33, v133
	v_add_f32_e32 v33, v33, v132
	v_exp_f32_e32 v33, v33
	v_cvt_i32_f32_e32 v132, v133
	v_cmp_ngt_f32_e32 vcc, s0, v30
	v_add_f32_e32 v31, v202, v31
	v_cvt_pk_f16_f32 v133, v24, v25
	v_ldexp_f32 v33, v33, v132
	v_cndmask_b32_e32 v33, 0, v33, vcc
	v_cmp_nlt_f32_e32 vcc, s1, v30
	s_nop 1
	v_cndmask_b32_e32 v197, v236, v33, vcc
	v_add_f32_e32 v30, v197, v31
	v_mul_f32_e32 v31, 0x3fb8aa3b, v27
	v_fma_f32 v33, v27, s47, -v31
	v_rndne_f32_e32 v132, v31
	v_fmac_f32_e32 v33, 0x32a5705f, v27
	v_sub_f32_e32 v31, v31, v132
	v_add_f32_e32 v31, v31, v33
	v_exp_f32_e32 v31, v31
	v_cvt_i32_f32_e32 v33, v132
	v_cmp_ngt_f32_e32 vcc, s0, v27
	v_cvt_pk_f16_f32 v132, v22, v23
	v_ldexp_f32 v31, v31, v33
	v_cndmask_b32_e32 v31, 0, v31, vcc
	v_cmp_nlt_f32_e32 vcc, s1, v27
	s_nop 1
	v_cndmask_b32_e32 v200, v236, v31, vcc
	v_add_f32_e32 v27, v200, v30
	v_mul_f32_e32 v30, 0x3fb8aa3b, v19
	v_fma_f32 v31, v19, s47, -v30
	v_rndne_f32_e32 v33, v30
	v_fmac_f32_e32 v31, 0x32a5705f, v19
	v_sub_f32_e32 v30, v30, v33
	v_add_f32_e32 v30, v30, v31
	v_exp_f32_e32 v30, v30
	v_cvt_i32_f32_e32 v31, v33
	v_cmp_ngt_f32_e32 vcc, s0, v19
	v_ldexp_f32 v30, v30, v31
	s_nop 0
	v_cndmask_b32_e32 v30, 0, v30, vcc
	v_cmp_nlt_f32_e32 vcc, s1, v19
	s_nop 1
	v_cndmask_b32_e32 v194, v236, v30, vcc
	v_add_f32_e32 v19, v194, v27
	v_mul_f32_e32 v27, 0x3fb8aa3b, v26
	v_fma_f32 v30, v26, s47, -v27
	v_rndne_f32_e32 v31, v27
	v_fmac_f32_e32 v30, 0x32a5705f, v26
	v_sub_f32_e32 v27, v27, v31
	v_add_f32_e32 v27, v27, v30
	v_exp_f32_e32 v27, v27
	v_cvt_i32_f32_e32 v30, v31
	v_cmp_ngt_f32_e32 vcc, s0, v26
	v_ldexp_f32 v27, v27, v30
	s_nop 0
	v_cndmask_b32_e32 v27, 0, v27, vcc
	v_cmp_nlt_f32_e32 vcc, s1, v26
	v_mul_f32_e32 v26, 0x3fb8aa3b, v21
	v_rndne_f32_e32 v30, v26
	v_cndmask_b32_e32 v198, v236, v27, vcc
	v_fma_f32 v27, v21, s47, -v26
	v_fmac_f32_e32 v27, 0x32a5705f, v21
	v_sub_f32_e32 v26, v26, v30
	v_add_f32_e32 v26, v26, v27
	v_exp_f32_e32 v26, v26
	v_cvt_i32_f32_e32 v27, v30
	v_cmp_ngt_f32_e32 vcc, s0, v21
	v_add_f32_e32 v19, v198, v19
	v_ldexp_f32 v26, v26, v27
	v_cndmask_b32_e32 v26, 0, v26, vcc
	v_cmp_nlt_f32_e32 vcc, s1, v21
	v_mul_f32_e32 v21, 0x3fb8aa3b, v20
	v_rndne_f32_e32 v27, v21
	v_cndmask_b32_e32 v196, v236, v26, vcc
	v_fma_f32 v26, v20, s47, -v21
	v_fmac_f32_e32 v26, 0x32a5705f, v20
	v_sub_f32_e32 v21, v21, v27
	v_add_f32_e32 v21, v21, v26
	v_exp_f32_e32 v21, v21
	v_cvt_i32_f32_e32 v26, v27
	v_cmp_ngt_f32_e32 vcc, s0, v20
	v_add_f32_e32 v19, v196, v19
	v_ldexp_f32 v21, v21, v26
	;; [unrolled: 14-line block ×3, first 2 shown]
	v_cndmask_b32_e32 v20, 0, v20, vcc
	v_cmp_nlt_f32_e32 vcc, s1, v18
	v_sub_f32_e32 v18, v131, v250
	v_cvt_pk_f16_f32 v131, v32, v199
	v_cndmask_b32_e32 v195, v236, v20, vcc
	v_add_f32_e32 v253, v195, v19
	v_mul_f32_e32 v19, 0x3fb8aa3b, v18
	v_fma_f32 v20, v18, s47, -v19
	v_rndne_f32_e32 v21, v19
	v_fmac_f32_e32 v20, 0x32a5705f, v18
	v_sub_f32_e32 v19, v19, v21
	v_add_f32_e32 v19, v19, v20
	v_exp_f32_e32 v19, v19
	v_cvt_i32_f32_e32 v20, v21
	v_cmp_ngt_f32_e32 vcc, s0, v18
	v_ldexp_f32 v19, v19, v20
	s_nop 0
	v_cndmask_b32_e32 v19, 0, v19, vcc
	v_cmp_nlt_f32_e32 vcc, s1, v18
	s_nop 1
	v_cndmask_b32_e32 v19, v236, v19, vcc
	v_cmp_le_f32_e32 vcc, s63, v18
	s_nop 1
	v_cndmask_b32_e32 v18, 0, v19, vcc
	v_fmac_f32_e32 v253, v130, v18
	v_cvt_f16_f32_e32 v18, v18
	v_cvt_pk_f16_f32 v130, v28, v29
	v_mul_u32_u24_e32 v18, 0x10001, v18
	v_pk_mul_f16 v129, v129, v18
	v_pk_mul_f16 v128, v128, v18
	;; [unrolled: 1-line block ×16, first 2 shown]
	v_lshl_add_u64 v[18:19], v[102:103], 0, s[6:7]
	v_lshl_add_u64 v[20:21], v[62:63], 2, v[18:19]
	;; [unrolled: 1-line block ×7, first 2 shown]
	global_load_dwordx4 v[18:21], v[20:21], off
	v_lshl_add_u64 v[36:37], v[36:37], 0, v[50:51]
	v_lshl_add_u64 v[40:41], v[40:41], 0, v[50:51]
	s_waitcnt vmcnt(0)
	ds_write_b128 v75, v[18:21]
	global_load_dwordx4 v[18:21], v[36:37], off
	s_waitcnt vmcnt(0)
	ds_write_b128 v212, v[18:21]
	global_load_dwordx4 v[18:21], v[40:41], off
	s_waitcnt vmcnt(0)
	ds_write_b128 v213, v[18:21]
	global_load_dwordx4 v[18:21], v[126:127], off
	v_cvt_pk_f16_f32 v127, v192, v195
	v_cvt_pk_f16_f32 v126, v198, v196
	v_cvt_f32_f16_sdwa v195, v27 dst_sel:DWORD dst_unused:UNUSED_PAD src0_sel:WORD_1
	v_cvt_f32_f16_e32 v196, v26
	s_waitcnt vmcnt(0)
	ds_write_b128 v214, v[18:21]
	s_waitcnt lgkmcnt(0)
	s_barrier
	ds_read_u16 v36, v158 offset:272
	ds_read_u16 v37, v158 offset:544
	ds_read_u16 v40, v159
	ds_read_u16 v41, v159 offset:32
	v_cvt_f32_f16_e32 v18, v129
	v_cvt_f32_f16_sdwa v19, v129 dst_sel:DWORD dst_unused:UNUSED_PAD src0_sel:WORD_1
	v_cvt_f32_f16_e32 v20, v128
	s_waitcnt lgkmcnt(1)
	v_perm_b32 v37, v40, v37, s2
	ds_read_u16 v40, v158
	ds_read_u16 v44, v158 offset:32
	v_cvt_f32_f16_sdwa v21, v128 dst_sel:DWORD dst_unused:UNUSED_PAD src0_sel:WORD_1
	ds_read_u16 v22, v158 offset:4352
	ds_read_u16 v24, v158 offset:4624
	;; [unrolled: 1-line block ×4, first 2 shown]
	v_cvt_pk_f16_f32 v129, v200, v194
	s_waitcnt lgkmcnt(5)
	v_perm_b32 v36, v36, v40, s2
	s_waitcnt lgkmcnt(2)
	v_perm_b32 v22, v24, v22, s2
	v_cvt_pk_f16_f32 v128, v202, v197
	v_mfma_f32_16x16x16_f16 v[18:21], v[36:37], v[132:133], v[18:21]
	s_waitcnt lgkmcnt(0)
	v_perm_b32 v23, v25, v23, s2
	v_cvt_f32_f16_e32 v194, v27
	v_cvt_f32_f16_sdwa v197, v26 dst_sel:DWORD dst_unused:UNUSED_PAD src0_sel:WORD_1
	s_nop 3
	v_cvt_f16_f32_e32 v18, v18
	v_cvt_f16_f32_e32 v19, v19
	v_cvt_f16_f32_e32 v20, v20
	v_cvt_f16_f32_e32 v21, v21
	v_cvt_f32_f16_e32 v18, v18
	v_cvt_f32_f16_e32 v19, v19
	;; [unrolled: 1-line block ×4, first 2 shown]
	s_nop 1
	v_mfma_f32_16x16x16_f16 v[18:21], v[22:23], v[130:131], v[18:21]
	ds_read_u16 v22, v158 offset:8704
	ds_read_u16 v24, v158 offset:8976
	;; [unrolled: 1-line block ×4, first 2 shown]
	s_nop 3
	v_cvt_f16_f32_e32 v18, v18
	v_cvt_f16_f32_e32 v19, v19
	;; [unrolled: 1-line block ×4, first 2 shown]
	s_waitcnt lgkmcnt(0)
	v_perm_b32 v23, v25, v23, s2
	v_perm_b32 v22, v24, v22, s2
	v_cvt_f32_f16_e32 v18, v18
	v_cvt_f32_f16_e32 v19, v19
	;; [unrolled: 1-line block ×4, first 2 shown]
	s_nop 1
	v_mfma_f32_16x16x16_f16 v[18:21], v[22:23], v[128:129], v[18:21]
	ds_read_u16 v22, v158 offset:13056
	ds_read_u16 v24, v158 offset:13328
	;; [unrolled: 1-line block ×6, first 2 shown]
	s_nop 1
	v_cvt_f16_f32_e32 v18, v18
	v_cvt_f16_f32_e32 v19, v19
	;; [unrolled: 1-line block ×4, first 2 shown]
	s_waitcnt lgkmcnt(2)
	v_perm_b32 v23, v25, v23, s2
	v_perm_b32 v22, v24, v22, s2
	v_cvt_f32_f16_e32 v18, v18
	v_cvt_f32_f16_e32 v19, v19
	;; [unrolled: 1-line block ×4, first 2 shown]
	s_waitcnt lgkmcnt(0)
	v_perm_b32 v29, v41, v29, s2
	v_perm_b32 v28, v28, v44, s2
	v_mfma_f32_16x16x16_f16 v[18:21], v[22:23], v[126:127], v[18:21]
	v_cvt_f32_f16_e32 v22, v45
	v_cvt_f32_f16_sdwa v23, v45 dst_sel:DWORD dst_unused:UNUSED_PAD src0_sel:WORD_1
	v_cvt_f32_f16_e32 v24, v33
	v_cvt_f32_f16_sdwa v25, v33 dst_sel:DWORD dst_unused:UNUSED_PAD src0_sel:WORD_1
	s_nop 1
	v_mfma_f32_16x16x16_f16 v[22:25], v[28:29], v[132:133], v[22:25]
	ds_read_u16 v28, v158 offset:4384
	ds_read_u16 v32, v158 offset:4656
	ds_read_u16 v29, v158 offset:4928
	ds_read_u16 v33, v159 offset:4384
	s_nop 3
	v_cvt_f16_f32_e32 v22, v22
	v_cvt_f16_f32_e32 v23, v23
	v_cvt_f16_f32_e32 v24, v24
	v_cvt_f16_f32_e32 v25, v25
	s_waitcnt lgkmcnt(0)
	v_perm_b32 v29, v33, v29, s2
	v_perm_b32 v28, v32, v28, s2
	v_cvt_f32_f16_e32 v22, v22
	v_cvt_f32_f16_e32 v23, v23
	v_cvt_f32_f16_e32 v24, v24
	v_cvt_f32_f16_e32 v25, v25
	s_nop 1
	v_mfma_f32_16x16x16_f16 v[22:25], v[28:29], v[130:131], v[22:25]
	ds_read_u16 v28, v158 offset:8736
	ds_read_u16 v32, v158 offset:9008
	ds_read_u16 v29, v158 offset:9280
	ds_read_u16 v33, v159 offset:8736
	s_nop 3
	v_cvt_f16_f32_e32 v22, v22
	v_cvt_f16_f32_e32 v23, v23
	v_cvt_f16_f32_e32 v24, v24
	v_cvt_f16_f32_e32 v25, v25
	s_waitcnt lgkmcnt(0)
	v_perm_b32 v29, v33, v29, s2
	v_perm_b32 v28, v32, v28, s2
	v_cvt_f32_f16_e32 v22, v22
	v_cvt_f32_f16_e32 v23, v23
	v_cvt_f32_f16_e32 v24, v24
	v_cvt_f32_f16_e32 v25, v25
	;; [unrolled: 18-line block ×3, first 2 shown]
	s_nop 1
	v_mfma_f32_16x16x16_f16 v[22:25], v[28:29], v[126:127], v[22:25]
	ds_read_u16 v28, v158 offset:64
	ds_read_u16 v29, v158 offset:336
	;; [unrolled: 1-line block ×4, first 2 shown]
	s_waitcnt lgkmcnt(2)
	v_perm_b32 v26, v29, v28, s2
	s_waitcnt lgkmcnt(0)
	v_perm_b32 v27, v33, v32, s2
	ds_read_u16 v32, v158 offset:4416
	ds_read_u16 v36, v158 offset:4688
	;; [unrolled: 1-line block ×4, first 2 shown]
	v_mfma_f32_16x16x16_f16 v[26:29], v[26:27], v[132:133], v[194:197]
	s_waitcnt lgkmcnt(0)
	v_perm_b32 v33, v37, v33, s2
	v_perm_b32 v32, v36, v32, s2
	v_cvt_f32_f16_e32 v194, v31
	s_nop 3
	v_cvt_f16_f32_e32 v26, v26
	v_cvt_f16_f32_e32 v27, v27
	;; [unrolled: 1-line block ×4, first 2 shown]
	v_cvt_f32_f16_e32 v26, v26
	v_cvt_f32_f16_e32 v27, v27
	;; [unrolled: 1-line block ×4, first 2 shown]
	v_cvt_f32_f16_sdwa v195, v31 dst_sel:DWORD dst_unused:UNUSED_PAD src0_sel:WORD_1
	v_cvt_f32_f16_e32 v196, v30
	v_mfma_f32_16x16x16_f16 v[26:29], v[32:33], v[130:131], v[26:29]
	ds_read_u16 v32, v158 offset:8768
	ds_read_u16 v36, v158 offset:9040
	;; [unrolled: 1-line block ×4, first 2 shown]
	v_cvt_f32_f16_sdwa v197, v30 dst_sel:DWORD dst_unused:UNUSED_PAD src0_sel:WORD_1
	s_nop 2
	v_cvt_f16_f32_e32 v26, v26
	v_cvt_f16_f32_e32 v27, v27
	;; [unrolled: 1-line block ×4, first 2 shown]
	s_waitcnt lgkmcnt(0)
	v_perm_b32 v33, v37, v33, s2
	v_perm_b32 v32, v36, v32, s2
	v_cvt_f32_f16_e32 v26, v26
	v_cvt_f32_f16_e32 v27, v27
	;; [unrolled: 1-line block ×4, first 2 shown]
	s_nop 1
	v_mfma_f32_16x16x16_f16 v[26:29], v[32:33], v[128:129], v[26:29]
	ds_read_u16 v32, v158 offset:13120
	ds_read_u16 v36, v158 offset:13392
	;; [unrolled: 1-line block ×4, first 2 shown]
	s_nop 3
	v_cvt_f16_f32_e32 v26, v26
	v_cvt_f16_f32_e32 v27, v27
	;; [unrolled: 1-line block ×4, first 2 shown]
	s_waitcnt lgkmcnt(0)
	v_perm_b32 v33, v37, v33, s2
	v_perm_b32 v32, v36, v32, s2
	v_cvt_f32_f16_e32 v26, v26
	v_cvt_f32_f16_e32 v27, v27
	;; [unrolled: 1-line block ×4, first 2 shown]
	s_nop 1
	v_mfma_f32_16x16x16_f16 v[26:29], v[32:33], v[126:127], v[26:29]
	ds_read_u16 v32, v158 offset:96
	ds_read_u16 v33, v158 offset:368
	;; [unrolled: 1-line block ×4, first 2 shown]
	s_waitcnt lgkmcnt(2)
	v_perm_b32 v30, v33, v32, s2
	s_waitcnt lgkmcnt(0)
	v_perm_b32 v31, v37, v36, s2
	ds_read_u16 v36, v158 offset:4448
	ds_read_u16 v40, v158 offset:4720
	;; [unrolled: 1-line block ×4, first 2 shown]
	v_mfma_f32_16x16x16_f16 v[30:33], v[30:31], v[132:133], v[194:197]
	s_waitcnt lgkmcnt(0)
	v_perm_b32 v37, v41, v37, s2
	v_perm_b32 v36, v40, v36, s2
	v_cvt_f32_f16_e32 v194, v35
	s_nop 3
	v_cvt_f16_f32_e32 v30, v30
	v_cvt_f16_f32_e32 v31, v31
	;; [unrolled: 1-line block ×4, first 2 shown]
	v_cvt_f32_f16_e32 v30, v30
	v_cvt_f32_f16_e32 v31, v31
	v_cvt_f32_f16_e32 v32, v32
	v_cvt_f32_f16_e32 v33, v33
	v_cvt_f32_f16_sdwa v195, v35 dst_sel:DWORD dst_unused:UNUSED_PAD src0_sel:WORD_1
	v_cvt_f32_f16_e32 v196, v34
	v_mfma_f32_16x16x16_f16 v[30:33], v[36:37], v[130:131], v[30:33]
	ds_read_u16 v36, v158 offset:8800
	ds_read_u16 v40, v158 offset:9072
	;; [unrolled: 1-line block ×4, first 2 shown]
	v_cvt_f32_f16_sdwa v197, v34 dst_sel:DWORD dst_unused:UNUSED_PAD src0_sel:WORD_1
	s_nop 2
	v_cvt_f16_f32_e32 v30, v30
	v_cvt_f16_f32_e32 v31, v31
	;; [unrolled: 1-line block ×4, first 2 shown]
	s_waitcnt lgkmcnt(0)
	v_perm_b32 v37, v41, v37, s2
	v_perm_b32 v36, v40, v36, s2
	v_cvt_f32_f16_e32 v30, v30
	v_cvt_f32_f16_e32 v31, v31
	;; [unrolled: 1-line block ×4, first 2 shown]
	s_nop 1
	v_mfma_f32_16x16x16_f16 v[30:33], v[36:37], v[128:129], v[30:33]
	ds_read_u16 v36, v158 offset:13152
	ds_read_u16 v40, v158 offset:13424
	;; [unrolled: 1-line block ×4, first 2 shown]
	s_nop 3
	v_cvt_f16_f32_e32 v30, v30
	v_cvt_f16_f32_e32 v31, v31
	;; [unrolled: 1-line block ×4, first 2 shown]
	s_waitcnt lgkmcnt(0)
	v_perm_b32 v37, v41, v37, s2
	v_perm_b32 v36, v40, v36, s2
	v_cvt_f32_f16_e32 v30, v30
	v_cvt_f32_f16_e32 v31, v31
	;; [unrolled: 1-line block ×4, first 2 shown]
	s_nop 1
	v_mfma_f32_16x16x16_f16 v[30:33], v[36:37], v[126:127], v[30:33]
	ds_read_u16 v36, v158 offset:128
	ds_read_u16 v37, v158 offset:400
	;; [unrolled: 1-line block ×4, first 2 shown]
	s_waitcnt lgkmcnt(2)
	v_perm_b32 v34, v37, v36, s2
	s_waitcnt lgkmcnt(0)
	v_perm_b32 v35, v41, v40, s2
	ds_read_u16 v40, v158 offset:4480
	ds_read_u16 v44, v158 offset:4752
	;; [unrolled: 1-line block ×4, first 2 shown]
	v_mfma_f32_16x16x16_f16 v[34:37], v[34:35], v[132:133], v[194:197]
	s_waitcnt lgkmcnt(0)
	v_perm_b32 v41, v45, v41, s2
	v_perm_b32 v40, v44, v40, s2
	v_cvt_f32_f16_e32 v194, v39
	s_nop 3
	v_cvt_f16_f32_e32 v34, v34
	v_cvt_f16_f32_e32 v35, v35
	;; [unrolled: 1-line block ×4, first 2 shown]
	v_cvt_f32_f16_e32 v34, v34
	v_cvt_f32_f16_e32 v35, v35
	;; [unrolled: 1-line block ×4, first 2 shown]
	v_cvt_f32_f16_sdwa v195, v39 dst_sel:DWORD dst_unused:UNUSED_PAD src0_sel:WORD_1
	v_cvt_f32_f16_e32 v196, v38
	v_mfma_f32_16x16x16_f16 v[34:37], v[40:41], v[130:131], v[34:37]
	ds_read_u16 v40, v158 offset:8832
	ds_read_u16 v44, v158 offset:9104
	;; [unrolled: 1-line block ×4, first 2 shown]
	v_cvt_f32_f16_sdwa v197, v38 dst_sel:DWORD dst_unused:UNUSED_PAD src0_sel:WORD_1
	s_nop 2
	v_cvt_f16_f32_e32 v34, v34
	v_cvt_f16_f32_e32 v35, v35
	;; [unrolled: 1-line block ×4, first 2 shown]
	s_waitcnt lgkmcnt(0)
	v_perm_b32 v41, v45, v41, s2
	v_perm_b32 v40, v44, v40, s2
	v_cvt_f32_f16_e32 v34, v34
	v_cvt_f32_f16_e32 v35, v35
	;; [unrolled: 1-line block ×4, first 2 shown]
	s_nop 1
	v_mfma_f32_16x16x16_f16 v[34:37], v[40:41], v[128:129], v[34:37]
	ds_read_u16 v40, v158 offset:13184
	ds_read_u16 v44, v158 offset:13456
	;; [unrolled: 1-line block ×4, first 2 shown]
	s_nop 3
	v_cvt_f16_f32_e32 v34, v34
	v_cvt_f16_f32_e32 v35, v35
	;; [unrolled: 1-line block ×4, first 2 shown]
	s_waitcnt lgkmcnt(0)
	v_perm_b32 v41, v45, v41, s2
	v_perm_b32 v40, v44, v40, s2
	v_cvt_f32_f16_e32 v34, v34
	v_cvt_f32_f16_e32 v35, v35
	;; [unrolled: 1-line block ×4, first 2 shown]
	s_nop 1
	v_mfma_f32_16x16x16_f16 v[34:37], v[40:41], v[126:127], v[34:37]
	ds_read_u16 v40, v158 offset:160
	ds_read_u16 v41, v158 offset:432
	;; [unrolled: 1-line block ×4, first 2 shown]
	s_waitcnt lgkmcnt(2)
	v_perm_b32 v38, v41, v40, s2
	s_nop 1
	v_cvt_pk_f16_f32 v35, v34, v35
	s_waitcnt lgkmcnt(0)
	v_perm_b32 v39, v45, v44, s2
	ds_read_u16 v44, v158 offset:4512
	ds_read_u16 v50, v158 offset:4784
	;; [unrolled: 1-line block ×4, first 2 shown]
	v_mfma_f32_16x16x16_f16 v[38:41], v[38:39], v[132:133], v[194:197]
	s_waitcnt lgkmcnt(0)
	v_perm_b32 v45, v187, v45, s2
	v_perm_b32 v44, v50, v44, s2
	v_cvt_f32_f16_e32 v194, v43
	s_nop 3
	v_cvt_f16_f32_e32 v38, v38
	v_cvt_f16_f32_e32 v39, v39
	;; [unrolled: 1-line block ×4, first 2 shown]
	v_cvt_f32_f16_e32 v38, v38
	v_cvt_f32_f16_e32 v39, v39
	;; [unrolled: 1-line block ×4, first 2 shown]
	v_cvt_f32_f16_sdwa v195, v43 dst_sel:DWORD dst_unused:UNUSED_PAD src0_sel:WORD_1
	v_cvt_f32_f16_e32 v196, v42
	v_mfma_f32_16x16x16_f16 v[38:41], v[44:45], v[130:131], v[38:41]
	ds_read_u16 v44, v158 offset:8864
	ds_read_u16 v50, v158 offset:9136
	;; [unrolled: 1-line block ×4, first 2 shown]
	v_cvt_f32_f16_sdwa v197, v42 dst_sel:DWORD dst_unused:UNUSED_PAD src0_sel:WORD_1
	v_cvt_pk_f16_f32 v34, v36, v37
	s_nop 1
	v_cvt_f16_f32_e32 v38, v38
	v_cvt_f16_f32_e32 v39, v39
	;; [unrolled: 1-line block ×4, first 2 shown]
	s_waitcnt lgkmcnt(0)
	v_perm_b32 v45, v187, v45, s2
	v_perm_b32 v44, v50, v44, s2
	v_cvt_f32_f16_e32 v38, v38
	v_cvt_f32_f16_e32 v39, v39
	;; [unrolled: 1-line block ×4, first 2 shown]
	v_cvt_pk_f16_f32 v37, v30, v31
	v_cvt_pk_f16_f32 v36, v32, v33
	v_mfma_f32_16x16x16_f16 v[38:41], v[44:45], v[128:129], v[38:41]
	ds_read_u16 v44, v158 offset:13216
	ds_read_u16 v50, v158 offset:13488
	;; [unrolled: 1-line block ×4, first 2 shown]
	s_nop 3
	v_cvt_f16_f32_e32 v38, v38
	v_cvt_f16_f32_e32 v39, v39
	;; [unrolled: 1-line block ×4, first 2 shown]
	s_waitcnt lgkmcnt(0)
	v_perm_b32 v45, v187, v45, s2
	v_perm_b32 v44, v50, v44, s2
	v_cvt_f32_f16_e32 v38, v38
	v_cvt_f32_f16_e32 v39, v39
	;; [unrolled: 1-line block ×4, first 2 shown]
	s_nop 1
	v_mfma_f32_16x16x16_f16 v[38:41], v[44:45], v[126:127], v[38:41]
	ds_read_u16 v44, v158 offset:192
	ds_read_u16 v45, v158 offset:464
	;; [unrolled: 1-line block ×4, first 2 shown]
	s_waitcnt lgkmcnt(2)
	v_perm_b32 v42, v45, v44, s2
	s_nop 1
	v_cvt_pk_f16_f32 v39, v38, v39
	s_waitcnt lgkmcnt(0)
	v_perm_b32 v43, v187, v50, s2
	ds_read_u16 v50, v158 offset:4544
	ds_read_u16 v187, v158 offset:4816
	;; [unrolled: 1-line block ×4, first 2 shown]
	v_mfma_f32_16x16x16_f16 v[42:45], v[42:43], v[132:133], v[194:197]
	s_waitcnt lgkmcnt(0)
	s_nop 1
	v_perm_b32 v195, v191, v190, s2
	v_perm_b32 v194, v187, v50, s2
	ds_read_u16 v50, v158 offset:8896
	ds_read_u16 v187, v158 offset:9168
	;; [unrolled: 1-line block ×4, first 2 shown]
	v_cvt_f16_f32_e32 v42, v42
	v_cvt_f16_f32_e32 v43, v43
	;; [unrolled: 1-line block ×4, first 2 shown]
	v_cvt_f32_f16_e32 v42, v42
	v_cvt_f32_f16_e32 v43, v43
	;; [unrolled: 1-line block ×5, first 2 shown]
	v_cvt_f32_f16_sdwa v197, v254 dst_sel:DWORD dst_unused:UNUSED_PAD src0_sel:WORD_1
	v_mfma_f32_16x16x16_f16 v[42:45], v[194:195], v[130:131], v[42:45]
	s_waitcnt lgkmcnt(0)
	v_perm_b32 v195, v191, v190, s2
	v_perm_b32 v194, v187, v50, s2
	ds_read_u16 v50, v158 offset:13248
	ds_read_u16 v187, v158 offset:13520
	ds_read_u16 v190, v158 offset:13792
	ds_read_u16 v191, v159 offset:13248
	s_nop 0
	v_cvt_f16_f32_e32 v42, v42
	v_cvt_f16_f32_e32 v43, v43
	;; [unrolled: 1-line block ×4, first 2 shown]
	v_cvt_f32_f16_e32 v42, v42
	v_cvt_f32_f16_e32 v43, v43
	;; [unrolled: 1-line block ×4, first 2 shown]
	v_cvt_pk_f16_f32 v38, v40, v41
	v_cvt_pk_f16_f32 v41, v26, v27
	v_mfma_f32_16x16x16_f16 v[42:45], v[194:195], v[128:129], v[42:45]
	s_waitcnt lgkmcnt(0)
	v_perm_b32 v195, v191, v190, s2
	v_perm_b32 v194, v187, v50, s2
	ds_read_u16 v50, v158 offset:224
	ds_read_u16 v187, v158 offset:496
	;; [unrolled: 1-line block ×4, first 2 shown]
	s_nop 0
	v_cvt_f16_f32_e32 v42, v42
	v_cvt_f16_f32_e32 v43, v43
	;; [unrolled: 1-line block ×4, first 2 shown]
	v_cvt_f32_f16_e32 v42, v42
	v_cvt_f32_f16_e32 v43, v43
	;; [unrolled: 1-line block ×4, first 2 shown]
	s_waitcnt lgkmcnt(0)
	v_perm_b32 v199, v191, v190, s2
	v_perm_b32 v198, v187, v50, s2
	v_mfma_f32_16x16x16_f16 v[42:45], v[194:195], v[126:127], v[42:45]
	v_cvt_f32_f16_e32 v194, v201
	v_cvt_f32_f16_sdwa v195, v201 dst_sel:DWORD dst_unused:UNUSED_PAD src0_sel:WORD_1
	ds_read_u16 v190, v158 offset:4576
	ds_read_u16 v191, v158 offset:4848
	;; [unrolled: 1-line block ×4, first 2 shown]
	v_mfma_f32_16x16x16_f16 v[194:197], v[198:199], v[132:133], v[194:197]
	s_nop 0
	v_cvt_pk_f16_f32 v43, v42, v43
	v_cvt_pk_f16_f32 v42, v44, v45
	;; [unrolled: 1-line block ×3, first 2 shown]
	s_nop 3
	v_cvt_f16_f32_e32 v132, v195
	v_cvt_f16_f32_e32 v133, v196
	;; [unrolled: 1-line block ×4, first 2 shown]
	v_cvt_f32_f16_e32 v195, v132
	v_cvt_f32_f16_e32 v196, v133
	s_waitcnt lgkmcnt(0)
	v_perm_b32 v133, v193, v192, s2
	v_perm_b32 v132, v191, v190, s2
	v_cvt_f32_f16_e32 v194, v50
	v_cvt_f32_f16_e32 v197, v187
	ds_read_u16 v187, v158 offset:8928
	ds_read_u16 v190, v158 offset:9200
	;; [unrolled: 1-line block ×4, first 2 shown]
	v_mfma_f32_16x16x16_f16 v[130:133], v[132:133], v[130:131], v[194:197]
	v_cvt_pk_f16_f32 v45, v22, v23
	s_waitcnt lgkmcnt(0)
	s_nop 0
	v_perm_b32 v195, v192, v191, s2
	v_perm_b32 v194, v190, v187, s2
	s_nop 2
	v_cvt_f16_f32_e32 v50, v130
	v_cvt_f16_f32_e32 v131, v131
	;; [unrolled: 1-line block ×4, first 2 shown]
	v_cvt_f32_f16_e32 v130, v50
	v_cvt_f32_f16_e32 v131, v131
	;; [unrolled: 1-line block ×4, first 2 shown]
	v_cvt_pk_f16_f32 v44, v24, v25
	s_nop 0
	v_mfma_f32_16x16x16_f16 v[130:133], v[194:195], v[128:129], v[130:133]
	s_nop 7
	v_cvt_f16_f32_e32 v129, v130
	v_cvt_f16_f32_e32 v130, v131
	v_cvt_f16_f32_e32 v131, v132
	v_cvt_f16_f32_e32 v132, v133
	ds_read_u16 v50, v158 offset:13280
	ds_read_u16 v128, v158 offset:13552
	;; [unrolled: 1-line block ×4, first 2 shown]
	v_cvt_f32_f16_e32 v198, v129
	v_cvt_f32_f16_e32 v199, v130
	s_waitcnt lgkmcnt(2)
	v_perm_b32 v128, v128, v50, s2
	v_cvt_f32_f16_e32 v200, v131
	s_waitcnt lgkmcnt(0)
	v_perm_b32 v129, v197, v133, s2
	v_cvt_f32_f16_e32 v201, v132
	s_barrier
	s_nop 0
	v_mfma_f32_16x16x16_f16 v[126:129], v[128:129], v[126:127], v[198:201]
	s_nop 7
	v_cvt_pk_f16_f32 v126, v126, v127
	v_cvt_pk_f16_f32 v127, v128, v129
	v_cvt_pk_f16_f32 v129, v18, v19
	v_cvt_pk_f16_f32 v128, v20, v21
	s_cbranch_scc0 .LBB25_148
; %bb.145:                              ;   in Loop: Header=BB25_80 Depth=2
	v_mov_b32_e32 v130, v253
	v_mov_b32_e32 v131, v250
	s_branch .LBB25_80
.LBB25_146:                             ;   in Loop: Header=BB25_9 Depth=1
	s_mov_b64 s[6:7], 0
                                        ; implicit-def: $vgpr2_vgpr3
                                        ; implicit-def: $vgpr79
	s_cbranch_execnz .LBB25_310
	s_branch .LBB25_608
.LBB25_147:                             ;   in Loop: Header=BB25_9 Depth=1
	v_mov_b32_e32 v250, 0xfeffffff
	v_mov_b32_e32 v253, 0
	;; [unrolled: 1-line block ×18, first 2 shown]
.LBB25_148:                             ;   in Loop: Header=BB25_9 Depth=1
	s_lshl_b32 s4, s34, 6
	s_ashr_i32 s5, s4, 31
	s_lshl_b64 s[6:7], s[4:5], 1
	v_lshl_add_u64 v[18:19], v[106:107], 0, s[6:7]
	v_lshlrev_b32_e32 v50, 1, v74
	v_lshl_add_u64 v[18:19], v[18:19], 0, v[50:51]
	s_mul_hi_i32 s7, s36, s4
	s_mul_i32 s6, s36, s4
	v_lshl_add_u64 v[20:21], v[120:121], 1, v[18:19]
	v_lshl_add_u64 v[18:19], v[122:123], 1, v[18:19]
	s_lshl_b64 s[6:7], s[6:7], 2
	global_load_dword v120, v[20:21], off
	global_load_dword v121, v[18:19], off
	v_lshl_add_u64 v[18:19], v[104:105], 0, s[6:7]
	v_lshl_add_u64 v[20:21], v[54:55], 2, v[18:19]
	v_lshlrev_b32_e32 v50, 2, v52
	v_lshl_add_u64 v[22:23], v[56:57], 2, v[18:19]
	v_lshl_add_u64 v[24:25], v[58:59], 2, v[18:19]
	;; [unrolled: 1-line block ×7, first 2 shown]
	global_load_dwordx4 v[18:21], v[20:21], off
	s_nop 0
	global_load_dwordx4 v[22:25], v[22:23], off
	s_nop 0
	;; [unrolled: 2-line block ×3, first 2 shown]
	global_load_dwordx4 v[30:33], v[30:31], off
	v_add_u32_e32 v122, v211, v209
	v_add_u32_e32 v124, 0x1000, v203
	;; [unrolled: 1-line block ×4, first 2 shown]
	s_waitcnt vmcnt(5)
	ds_write_b32 v122, v120 offset:17408
	s_waitcnt vmcnt(4)
	ds_write_b32 v122, v121 offset:18560
	s_waitcnt vmcnt(3)
	ds_write_b128 v75, v[18:21]
	s_waitcnt vmcnt(2)
	ds_write_b128 v212, v[22:25]
	;; [unrolled: 2-line block ×4, first 2 shown]
	s_waitcnt lgkmcnt(0)
	s_barrier
	ds_read2_b64 v[18:21], v203 offset1:4
	ds_read2_b64 v[26:29], v124 offset0:32 offset1:36
	ds_read2_b64 v[120:123], v125 offset0:64 offset1:68
	;; [unrolled: 1-line block ×3, first 2 shown]
	s_waitcnt lgkmcnt(3)
	v_mfma_f32_16x16x16_f16 v[22:25], v[18:19], v[14:15], 0
	s_waitcnt lgkmcnt(2)
	v_mfma_f32_16x16x16_f16 v[30:33], v[26:27], v[14:15], 0
	;; [unrolled: 2-line block ×4, first 2 shown]
	v_mfma_f32_16x16x16_f16 v[18:21], v[20:21], v[16:17], v[22:25]
	v_mfma_f32_16x16x16_f16 v[22:25], v[28:29], v[16:17], v[30:33]
	;; [unrolled: 1-line block ×3, first 2 shown]
	s_nop 1
	ds_read2_b64 v[30:33], v203 offset0:8 offset1:12
	ds_read2_b64 v[120:123], v124 offset0:40 offset1:44
	v_mfma_f32_16x16x16_f16 v[14:17], v[196:197], v[16:17], v[198:201]
	ds_read2_b64 v[130:133], v125 offset0:72 offset1:76
	ds_read2_b64 v[194:197], v187 offset0:104 offset1:108
	s_waitcnt lgkmcnt(3)
	v_mfma_f32_16x16x16_f16 v[18:21], v[30:31], v[10:11], v[18:21]
	s_waitcnt lgkmcnt(2)
	v_mfma_f32_16x16x16_f16 v[22:25], v[120:121], v[10:11], v[22:25]
	s_waitcnt lgkmcnt(1)
	v_mfma_f32_16x16x16_f16 v[26:29], v[130:131], v[10:11], v[26:29]
	s_waitcnt lgkmcnt(0)
	v_mfma_f32_16x16x16_f16 v[14:17], v[194:195], v[10:11], v[14:17]
	v_mfma_f32_16x16x16_f16 v[18:21], v[32:33], v[12:13], v[18:21]
	ds_read2_b64 v[30:33], v124 offset0:48 offset1:52
	v_mfma_f32_16x16x16_f16 v[22:25], v[122:123], v[12:13], v[22:25]
	ds_read2_b64 v[120:123], v125 offset0:80 offset1:84
	;; [unrolled: 2-line block ×3, first 2 shown]
	v_mfma_f32_16x16x16_f16 v[10:13], v[196:197], v[12:13], v[14:17]
	s_nop 2
	ds_read2_b64 v[14:17], v203 offset0:16 offset1:20
	s_waitcnt lgkmcnt(0)
	v_mfma_f32_16x16x16_f16 v[18:21], v[14:15], v[6:7], v[18:21]
	v_mfma_f32_16x16x16_f16 v[22:25], v[30:31], v[6:7], v[22:25]
	;; [unrolled: 1-line block ×6, first 2 shown]
	ds_read2_b64 v[30:33], v125 offset0:88 offset1:92
	v_mfma_f32_16x16x16_f16 v[22:25], v[122:123], v[8:9], v[26:29]
	ds_read2_b64 v[120:123], v187 offset0:120 offset1:124
	v_mfma_f32_16x16x16_f16 v[6:9], v[132:133], v[8:9], v[10:13]
	s_nop 0
	ds_read2_b64 v[26:29], v124 offset0:56 offset1:60
	s_nop 0
	ds_read2_b64 v[10:13], v203 offset0:24 offset1:28
	s_waitcnt lgkmcnt(0)
	v_mfma_f32_16x16x16_f16 v[14:17], v[10:11], v[2:3], v[14:17]
	s_barrier
	v_mfma_f32_16x16x16_f16 v[18:21], v[26:27], v[2:3], v[18:21]
	v_mfma_f32_16x16x16_f16 v[22:25], v[30:31], v[2:3], v[22:25]
	;; [unrolled: 1-line block ×5, first 2 shown]
                                        ; implicit-def: $vgpr18
	v_mfma_f32_16x16x16_f16 v[14:17], v[32:33], v[4:5], v[22:25]
	s_nop 5
	v_cmp_nlt_f32_e64 s[6:7], |v6|, s41
	v_mfma_f32_16x16x16_f16 v[2:5], v[122:123], v[4:5], v[130:133]
	s_and_saveexec_b64 s[34:35], s[6:7]
	s_xor_b64 s[6:7], exec, s[34:35]
	s_cbranch_execz .LBB25_150
; %bb.149:                              ;   in Loop: Header=BB25_9 Depth=1
	v_add_f32_e64 v18, |v6|, |v6|
	v_mul_f32_e32 v19, 0x3fb8aa3b, v18
	v_rndne_f32_e32 v20, v19
	v_sub_f32_e32 v21, v19, v20
	v_fma_f32 v19, v18, s47, -v19
	v_fmac_f32_e32 v19, 0x32a5705f, v18
	v_add_f32_e32 v19, v21, v19
	v_cvt_i32_f32_e32 v20, v20
	v_exp_f32_e32 v19, v19
	v_cmp_ngt_f32_e32 vcc, s0, v18
	v_ldexp_f32 v19, v19, v20
	s_nop 0
	v_cndmask_b32_e32 v19, 0, v19, vcc
	v_cmp_nlt_f32_e32 vcc, s1, v18
	s_nop 1
	v_cndmask_b32_e32 v18, v236, v19, vcc
	v_add_f32_e32 v18, 1.0, v18
	v_rcp_f32_e32 v18, v18
	s_nop 0
	v_fma_f32 v18, v18, -2.0, 1.0
.LBB25_150:                             ;   in Loop: Header=BB25_9 Depth=1
	s_andn2_saveexec_b64 s[6:7], s[6:7]
; %bb.151:                              ;   in Loop: Header=BB25_9 Depth=1
	v_mul_f32_e32 v18, v6, v6
	v_fmamk_f32 v19, v18, 0xbbbac73d, v234
	v_fmaak_f32 v19, v18, v19, 0xbd5c1c4e
	v_fmaak_f32 v19, v18, v19, 0x3e088382
	v_fmaak_f32 v19, v18, v19, 0xbeaaaa99
	v_mul_f32_e64 v19, |v6|, v19
	v_fma_f32 v18, v18, v19, |v6|
; %bb.152:                              ;   in Loop: Header=BB25_9 Depth=1
	s_or_b64 exec, exec, s[6:7]
	v_cmp_nlt_f32_e64 s[6:7], |v7|, s41
                                        ; implicit-def: $vgpr19
	s_and_saveexec_b64 s[34:35], s[6:7]
	s_xor_b64 s[6:7], exec, s[34:35]
	s_cbranch_execz .LBB25_154
; %bb.153:                              ;   in Loop: Header=BB25_9 Depth=1
	v_add_f32_e64 v19, |v7|, |v7|
	v_mul_f32_e32 v20, 0x3fb8aa3b, v19
	v_rndne_f32_e32 v21, v20
	v_sub_f32_e32 v22, v20, v21
	v_fma_f32 v20, v19, s47, -v20
	v_fmac_f32_e32 v20, 0x32a5705f, v19
	v_add_f32_e32 v20, v22, v20
	v_cvt_i32_f32_e32 v21, v21
	v_exp_f32_e32 v20, v20
	v_cmp_ngt_f32_e32 vcc, s0, v19
	v_ldexp_f32 v20, v20, v21
	s_nop 0
	v_cndmask_b32_e32 v20, 0, v20, vcc
	v_cmp_nlt_f32_e32 vcc, s1, v19
	s_nop 1
	v_cndmask_b32_e32 v19, v236, v20, vcc
	v_add_f32_e32 v19, 1.0, v19
	v_rcp_f32_e32 v19, v19
	s_nop 0
	v_fma_f32 v19, v19, -2.0, 1.0
.LBB25_154:                             ;   in Loop: Header=BB25_9 Depth=1
	s_andn2_saveexec_b64 s[6:7], s[6:7]
; %bb.155:                              ;   in Loop: Header=BB25_9 Depth=1
	v_mul_f32_e32 v19, v7, v7
	v_fmamk_f32 v20, v19, 0xbbbac73d, v234
	v_fmaak_f32 v20, v19, v20, 0xbd5c1c4e
	v_fmaak_f32 v20, v19, v20, 0x3e088382
	;; [unrolled: 1-line block ×3, first 2 shown]
	v_mul_f32_e64 v20, |v7|, v20
	v_fma_f32 v19, v19, v20, |v7|
; %bb.156:                              ;   in Loop: Header=BB25_9 Depth=1
	s_or_b64 exec, exec, s[6:7]
	v_cmp_nlt_f32_e64 s[6:7], |v8|, s41
                                        ; implicit-def: $vgpr20
	s_and_saveexec_b64 s[34:35], s[6:7]
	s_xor_b64 s[6:7], exec, s[34:35]
	s_cbranch_execz .LBB25_158
; %bb.157:                              ;   in Loop: Header=BB25_9 Depth=1
	v_add_f32_e64 v20, |v8|, |v8|
	v_mul_f32_e32 v21, 0x3fb8aa3b, v20
	v_rndne_f32_e32 v22, v21
	v_sub_f32_e32 v23, v21, v22
	v_fma_f32 v21, v20, s47, -v21
	v_fmac_f32_e32 v21, 0x32a5705f, v20
	v_add_f32_e32 v21, v23, v21
	v_cvt_i32_f32_e32 v22, v22
	v_exp_f32_e32 v21, v21
	v_cmp_ngt_f32_e32 vcc, s0, v20
	v_ldexp_f32 v21, v21, v22
	s_nop 0
	v_cndmask_b32_e32 v21, 0, v21, vcc
	v_cmp_nlt_f32_e32 vcc, s1, v20
	s_nop 1
	v_cndmask_b32_e32 v20, v236, v21, vcc
	v_add_f32_e32 v20, 1.0, v20
	v_rcp_f32_e32 v20, v20
	s_nop 0
	v_fma_f32 v20, v20, -2.0, 1.0
.LBB25_158:                             ;   in Loop: Header=BB25_9 Depth=1
	s_andn2_saveexec_b64 s[6:7], s[6:7]
; %bb.159:                              ;   in Loop: Header=BB25_9 Depth=1
	v_mul_f32_e32 v20, v8, v8
	v_fmamk_f32 v21, v20, 0xbbbac73d, v234
	v_fmaak_f32 v21, v20, v21, 0xbd5c1c4e
	v_fmaak_f32 v21, v20, v21, 0x3e088382
	v_fmaak_f32 v21, v20, v21, 0xbeaaaa99
	v_mul_f32_e64 v21, |v8|, v21
	v_fma_f32 v20, v20, v21, |v8|
; %bb.160:                              ;   in Loop: Header=BB25_9 Depth=1
	s_or_b64 exec, exec, s[6:7]
	v_cmp_nlt_f32_e64 s[6:7], |v9|, s41
                                        ; implicit-def: $vgpr21
	s_and_saveexec_b64 s[34:35], s[6:7]
	s_xor_b64 s[6:7], exec, s[34:35]
	s_cbranch_execz .LBB25_162
; %bb.161:                              ;   in Loop: Header=BB25_9 Depth=1
	v_add_f32_e64 v21, |v9|, |v9|
	v_mul_f32_e32 v22, 0x3fb8aa3b, v21
	v_rndne_f32_e32 v23, v22
	v_sub_f32_e32 v24, v22, v23
	v_fma_f32 v22, v21, s47, -v22
	v_fmac_f32_e32 v22, 0x32a5705f, v21
	v_add_f32_e32 v22, v24, v22
	v_cvt_i32_f32_e32 v23, v23
	v_exp_f32_e32 v22, v22
	v_cmp_ngt_f32_e32 vcc, s0, v21
	v_ldexp_f32 v22, v22, v23
	s_nop 0
	v_cndmask_b32_e32 v22, 0, v22, vcc
	v_cmp_nlt_f32_e32 vcc, s1, v21
	s_nop 1
	v_cndmask_b32_e32 v21, v236, v22, vcc
	v_add_f32_e32 v21, 1.0, v21
	v_rcp_f32_e32 v21, v21
	s_nop 0
	v_fma_f32 v21, v21, -2.0, 1.0
.LBB25_162:                             ;   in Loop: Header=BB25_9 Depth=1
	s_andn2_saveexec_b64 s[6:7], s[6:7]
; %bb.163:                              ;   in Loop: Header=BB25_9 Depth=1
	v_mul_f32_e32 v21, v9, v9
	v_fmamk_f32 v22, v21, 0xbbbac73d, v234
	v_fmaak_f32 v22, v21, v22, 0xbd5c1c4e
	v_fmaak_f32 v22, v21, v22, 0x3e088382
	;; [unrolled: 1-line block ×3, first 2 shown]
	v_mul_f32_e64 v22, |v9|, v22
	v_fma_f32 v21, v21, v22, |v9|
; %bb.164:                              ;   in Loop: Header=BB25_9 Depth=1
	s_or_b64 exec, exec, s[6:7]
	v_cmp_nlt_f32_e64 s[6:7], |v10|, s41
                                        ; implicit-def: $vgpr22
	s_and_saveexec_b64 s[34:35], s[6:7]
	s_xor_b64 s[6:7], exec, s[34:35]
	s_cbranch_execz .LBB25_166
; %bb.165:                              ;   in Loop: Header=BB25_9 Depth=1
	v_add_f32_e64 v22, |v10|, |v10|
	v_mul_f32_e32 v23, 0x3fb8aa3b, v22
	v_rndne_f32_e32 v24, v23
	v_sub_f32_e32 v25, v23, v24
	v_fma_f32 v23, v22, s47, -v23
	v_fmac_f32_e32 v23, 0x32a5705f, v22
	v_add_f32_e32 v23, v25, v23
	v_cvt_i32_f32_e32 v24, v24
	v_exp_f32_e32 v23, v23
	v_cmp_ngt_f32_e32 vcc, s0, v22
	v_ldexp_f32 v23, v23, v24
	s_nop 0
	v_cndmask_b32_e32 v23, 0, v23, vcc
	v_cmp_nlt_f32_e32 vcc, s1, v22
	s_nop 1
	v_cndmask_b32_e32 v22, v236, v23, vcc
	v_add_f32_e32 v22, 1.0, v22
	v_rcp_f32_e32 v22, v22
	s_nop 0
	v_fma_f32 v22, v22, -2.0, 1.0
.LBB25_166:                             ;   in Loop: Header=BB25_9 Depth=1
	s_andn2_saveexec_b64 s[6:7], s[6:7]
; %bb.167:                              ;   in Loop: Header=BB25_9 Depth=1
	v_mul_f32_e32 v22, v10, v10
	v_fmamk_f32 v23, v22, 0xbbbac73d, v234
	v_fmaak_f32 v23, v22, v23, 0xbd5c1c4e
	v_fmaak_f32 v23, v22, v23, 0x3e088382
	;; [unrolled: 1-line block ×3, first 2 shown]
	v_mul_f32_e64 v23, |v10|, v23
	v_fma_f32 v22, v22, v23, |v10|
; %bb.168:                              ;   in Loop: Header=BB25_9 Depth=1
	s_or_b64 exec, exec, s[6:7]
	v_cmp_nlt_f32_e64 s[6:7], |v11|, s41
                                        ; implicit-def: $vgpr23
	s_and_saveexec_b64 s[34:35], s[6:7]
	s_xor_b64 s[6:7], exec, s[34:35]
	s_cbranch_execz .LBB25_170
; %bb.169:                              ;   in Loop: Header=BB25_9 Depth=1
	v_add_f32_e64 v23, |v11|, |v11|
	v_mul_f32_e32 v24, 0x3fb8aa3b, v23
	v_rndne_f32_e32 v25, v24
	v_sub_f32_e32 v26, v24, v25
	v_fma_f32 v24, v23, s47, -v24
	v_fmac_f32_e32 v24, 0x32a5705f, v23
	v_add_f32_e32 v24, v26, v24
	v_cvt_i32_f32_e32 v25, v25
	v_exp_f32_e32 v24, v24
	v_cmp_ngt_f32_e32 vcc, s0, v23
	v_ldexp_f32 v24, v24, v25
	s_nop 0
	v_cndmask_b32_e32 v24, 0, v24, vcc
	v_cmp_nlt_f32_e32 vcc, s1, v23
	s_nop 1
	v_cndmask_b32_e32 v23, v236, v24, vcc
	v_add_f32_e32 v23, 1.0, v23
	v_rcp_f32_e32 v23, v23
	s_nop 0
	v_fma_f32 v23, v23, -2.0, 1.0
.LBB25_170:                             ;   in Loop: Header=BB25_9 Depth=1
	s_andn2_saveexec_b64 s[6:7], s[6:7]
; %bb.171:                              ;   in Loop: Header=BB25_9 Depth=1
	v_mul_f32_e32 v23, v11, v11
	v_fmamk_f32 v24, v23, 0xbbbac73d, v234
	v_fmaak_f32 v24, v23, v24, 0xbd5c1c4e
	v_fmaak_f32 v24, v23, v24, 0x3e088382
	;; [unrolled: 1-line block ×3, first 2 shown]
	v_mul_f32_e64 v24, |v11|, v24
	v_fma_f32 v23, v23, v24, |v11|
; %bb.172:                              ;   in Loop: Header=BB25_9 Depth=1
	s_or_b64 exec, exec, s[6:7]
	v_cmp_nlt_f32_e64 s[6:7], |v12|, s41
                                        ; implicit-def: $vgpr24
	s_and_saveexec_b64 s[34:35], s[6:7]
	s_xor_b64 s[6:7], exec, s[34:35]
	s_cbranch_execz .LBB25_174
; %bb.173:                              ;   in Loop: Header=BB25_9 Depth=1
	v_add_f32_e64 v24, |v12|, |v12|
	v_mul_f32_e32 v25, 0x3fb8aa3b, v24
	v_rndne_f32_e32 v26, v25
	v_sub_f32_e32 v27, v25, v26
	v_fma_f32 v25, v24, s47, -v25
	v_fmac_f32_e32 v25, 0x32a5705f, v24
	v_add_f32_e32 v25, v27, v25
	v_cvt_i32_f32_e32 v26, v26
	v_exp_f32_e32 v25, v25
	v_cmp_ngt_f32_e32 vcc, s0, v24
	v_ldexp_f32 v25, v25, v26
	s_nop 0
	v_cndmask_b32_e32 v25, 0, v25, vcc
	v_cmp_nlt_f32_e32 vcc, s1, v24
	s_nop 1
	v_cndmask_b32_e32 v24, v236, v25, vcc
	v_add_f32_e32 v24, 1.0, v24
	v_rcp_f32_e32 v24, v24
	s_nop 0
	v_fma_f32 v24, v24, -2.0, 1.0
.LBB25_174:                             ;   in Loop: Header=BB25_9 Depth=1
	s_andn2_saveexec_b64 s[6:7], s[6:7]
; %bb.175:                              ;   in Loop: Header=BB25_9 Depth=1
	v_mul_f32_e32 v24, v12, v12
	v_fmamk_f32 v25, v24, 0xbbbac73d, v234
	v_fmaak_f32 v25, v24, v25, 0xbd5c1c4e
	v_fmaak_f32 v25, v24, v25, 0x3e088382
	;; [unrolled: 1-line block ×3, first 2 shown]
	v_mul_f32_e64 v25, |v12|, v25
	v_fma_f32 v24, v24, v25, |v12|
; %bb.176:                              ;   in Loop: Header=BB25_9 Depth=1
	s_or_b64 exec, exec, s[6:7]
	v_cmp_nlt_f32_e64 s[6:7], |v13|, s41
                                        ; implicit-def: $vgpr25
	s_and_saveexec_b64 s[34:35], s[6:7]
	s_xor_b64 s[6:7], exec, s[34:35]
	s_cbranch_execz .LBB25_178
; %bb.177:                              ;   in Loop: Header=BB25_9 Depth=1
	v_add_f32_e64 v25, |v13|, |v13|
	v_mul_f32_e32 v26, 0x3fb8aa3b, v25
	v_rndne_f32_e32 v27, v26
	v_sub_f32_e32 v28, v26, v27
	v_fma_f32 v26, v25, s47, -v26
	v_fmac_f32_e32 v26, 0x32a5705f, v25
	v_add_f32_e32 v26, v28, v26
	v_cvt_i32_f32_e32 v27, v27
	v_exp_f32_e32 v26, v26
	v_cmp_ngt_f32_e32 vcc, s0, v25
	v_ldexp_f32 v26, v26, v27
	s_nop 0
	v_cndmask_b32_e32 v26, 0, v26, vcc
	v_cmp_nlt_f32_e32 vcc, s1, v25
	s_nop 1
	v_cndmask_b32_e32 v25, v236, v26, vcc
	v_add_f32_e32 v25, 1.0, v25
	v_rcp_f32_e32 v25, v25
	s_nop 0
	v_fma_f32 v25, v25, -2.0, 1.0
.LBB25_178:                             ;   in Loop: Header=BB25_9 Depth=1
	s_andn2_saveexec_b64 s[6:7], s[6:7]
; %bb.179:                              ;   in Loop: Header=BB25_9 Depth=1
	v_mul_f32_e32 v25, v13, v13
	v_fmamk_f32 v26, v25, 0xbbbac73d, v234
	v_fmaak_f32 v26, v25, v26, 0xbd5c1c4e
	v_fmaak_f32 v26, v25, v26, 0x3e088382
	;; [unrolled: 1-line block ×3, first 2 shown]
	v_mul_f32_e64 v26, |v13|, v26
	v_fma_f32 v25, v25, v26, |v13|
; %bb.180:                              ;   in Loop: Header=BB25_9 Depth=1
	s_or_b64 exec, exec, s[6:7]
	v_cmp_nlt_f32_e64 s[6:7], |v14|, s41
                                        ; implicit-def: $vgpr26
	s_and_saveexec_b64 s[34:35], s[6:7]
	s_xor_b64 s[6:7], exec, s[34:35]
	s_cbranch_execz .LBB25_182
; %bb.181:                              ;   in Loop: Header=BB25_9 Depth=1
	v_add_f32_e64 v26, |v14|, |v14|
	v_mul_f32_e32 v27, 0x3fb8aa3b, v26
	v_rndne_f32_e32 v28, v27
	v_sub_f32_e32 v29, v27, v28
	v_fma_f32 v27, v26, s47, -v27
	v_fmac_f32_e32 v27, 0x32a5705f, v26
	v_add_f32_e32 v27, v29, v27
	v_cvt_i32_f32_e32 v28, v28
	v_exp_f32_e32 v27, v27
	v_cmp_ngt_f32_e32 vcc, s0, v26
	v_ldexp_f32 v27, v27, v28
	s_nop 0
	v_cndmask_b32_e32 v27, 0, v27, vcc
	v_cmp_nlt_f32_e32 vcc, s1, v26
	s_nop 1
	v_cndmask_b32_e32 v26, v236, v27, vcc
	v_add_f32_e32 v26, 1.0, v26
	v_rcp_f32_e32 v26, v26
	s_nop 0
	v_fma_f32 v26, v26, -2.0, 1.0
.LBB25_182:                             ;   in Loop: Header=BB25_9 Depth=1
	s_andn2_saveexec_b64 s[6:7], s[6:7]
; %bb.183:                              ;   in Loop: Header=BB25_9 Depth=1
	v_mul_f32_e32 v26, v14, v14
	v_fmamk_f32 v27, v26, 0xbbbac73d, v234
	v_fmaak_f32 v27, v26, v27, 0xbd5c1c4e
	v_fmaak_f32 v27, v26, v27, 0x3e088382
	;; [unrolled: 1-line block ×3, first 2 shown]
	v_mul_f32_e64 v27, |v14|, v27
	v_fma_f32 v26, v26, v27, |v14|
; %bb.184:                              ;   in Loop: Header=BB25_9 Depth=1
	s_or_b64 exec, exec, s[6:7]
	v_cmp_nlt_f32_e64 s[6:7], |v15|, s41
                                        ; implicit-def: $vgpr27
	s_and_saveexec_b64 s[34:35], s[6:7]
	s_xor_b64 s[6:7], exec, s[34:35]
	s_cbranch_execz .LBB25_186
; %bb.185:                              ;   in Loop: Header=BB25_9 Depth=1
	v_add_f32_e64 v27, |v15|, |v15|
	v_mul_f32_e32 v28, 0x3fb8aa3b, v27
	v_rndne_f32_e32 v29, v28
	v_sub_f32_e32 v30, v28, v29
	v_fma_f32 v28, v27, s47, -v28
	v_fmac_f32_e32 v28, 0x32a5705f, v27
	v_add_f32_e32 v28, v30, v28
	v_cvt_i32_f32_e32 v29, v29
	v_exp_f32_e32 v28, v28
	v_cmp_ngt_f32_e32 vcc, s0, v27
	v_ldexp_f32 v28, v28, v29
	s_nop 0
	v_cndmask_b32_e32 v28, 0, v28, vcc
	v_cmp_nlt_f32_e32 vcc, s1, v27
	s_nop 1
	v_cndmask_b32_e32 v27, v236, v28, vcc
	v_add_f32_e32 v27, 1.0, v27
	v_rcp_f32_e32 v27, v27
	s_nop 0
	v_fma_f32 v27, v27, -2.0, 1.0
.LBB25_186:                             ;   in Loop: Header=BB25_9 Depth=1
	s_andn2_saveexec_b64 s[6:7], s[6:7]
; %bb.187:                              ;   in Loop: Header=BB25_9 Depth=1
	v_mul_f32_e32 v27, v15, v15
	v_fmamk_f32 v28, v27, 0xbbbac73d, v234
	v_fmaak_f32 v28, v27, v28, 0xbd5c1c4e
	v_fmaak_f32 v28, v27, v28, 0x3e088382
	;; [unrolled: 1-line block ×3, first 2 shown]
	v_mul_f32_e64 v28, |v15|, v28
	v_fma_f32 v27, v27, v28, |v15|
; %bb.188:                              ;   in Loop: Header=BB25_9 Depth=1
	s_or_b64 exec, exec, s[6:7]
	v_cmp_nlt_f32_e64 s[6:7], |v16|, s41
                                        ; implicit-def: $vgpr28
	s_and_saveexec_b64 s[34:35], s[6:7]
	s_xor_b64 s[6:7], exec, s[34:35]
	s_cbranch_execz .LBB25_190
; %bb.189:                              ;   in Loop: Header=BB25_9 Depth=1
	v_add_f32_e64 v28, |v16|, |v16|
	v_mul_f32_e32 v29, 0x3fb8aa3b, v28
	v_rndne_f32_e32 v30, v29
	v_sub_f32_e32 v31, v29, v30
	v_fma_f32 v29, v28, s47, -v29
	v_fmac_f32_e32 v29, 0x32a5705f, v28
	v_add_f32_e32 v29, v31, v29
	v_cvt_i32_f32_e32 v30, v30
	v_exp_f32_e32 v29, v29
	v_cmp_ngt_f32_e32 vcc, s0, v28
	v_ldexp_f32 v29, v29, v30
	s_nop 0
	v_cndmask_b32_e32 v29, 0, v29, vcc
	v_cmp_nlt_f32_e32 vcc, s1, v28
	s_nop 1
	v_cndmask_b32_e32 v28, v236, v29, vcc
	v_add_f32_e32 v28, 1.0, v28
	v_rcp_f32_e32 v28, v28
	s_nop 0
	v_fma_f32 v28, v28, -2.0, 1.0
.LBB25_190:                             ;   in Loop: Header=BB25_9 Depth=1
	s_andn2_saveexec_b64 s[6:7], s[6:7]
; %bb.191:                              ;   in Loop: Header=BB25_9 Depth=1
	v_mul_f32_e32 v28, v16, v16
	v_fmamk_f32 v29, v28, 0xbbbac73d, v234
	v_fmaak_f32 v29, v28, v29, 0xbd5c1c4e
	v_fmaak_f32 v29, v28, v29, 0x3e088382
	v_fmaak_f32 v29, v28, v29, 0xbeaaaa99
	v_mul_f32_e64 v29, |v16|, v29
	v_fma_f32 v28, v28, v29, |v16|
; %bb.192:                              ;   in Loop: Header=BB25_9 Depth=1
	s_or_b64 exec, exec, s[6:7]
	v_cmp_nlt_f32_e64 s[6:7], |v17|, s41
                                        ; implicit-def: $vgpr29
	s_and_saveexec_b64 s[34:35], s[6:7]
	s_xor_b64 s[6:7], exec, s[34:35]
	s_cbranch_execz .LBB25_194
; %bb.193:                              ;   in Loop: Header=BB25_9 Depth=1
	v_add_f32_e64 v29, |v17|, |v17|
	v_mul_f32_e32 v30, 0x3fb8aa3b, v29
	v_rndne_f32_e32 v31, v30
	v_sub_f32_e32 v32, v30, v31
	v_fma_f32 v30, v29, s47, -v30
	v_fmac_f32_e32 v30, 0x32a5705f, v29
	v_add_f32_e32 v30, v32, v30
	v_cvt_i32_f32_e32 v31, v31
	v_exp_f32_e32 v30, v30
	v_cmp_ngt_f32_e32 vcc, s0, v29
	v_ldexp_f32 v30, v30, v31
	s_nop 0
	v_cndmask_b32_e32 v30, 0, v30, vcc
	v_cmp_nlt_f32_e32 vcc, s1, v29
	s_nop 1
	v_cndmask_b32_e32 v29, v236, v30, vcc
	v_add_f32_e32 v29, 1.0, v29
	v_rcp_f32_e32 v29, v29
	s_nop 0
	v_fma_f32 v29, v29, -2.0, 1.0
.LBB25_194:                             ;   in Loop: Header=BB25_9 Depth=1
	s_andn2_saveexec_b64 s[6:7], s[6:7]
; %bb.195:                              ;   in Loop: Header=BB25_9 Depth=1
	v_mul_f32_e32 v29, v17, v17
	v_fmamk_f32 v30, v29, 0xbbbac73d, v234
	v_fmaak_f32 v30, v29, v30, 0xbd5c1c4e
	v_fmaak_f32 v30, v29, v30, 0x3e088382
	;; [unrolled: 1-line block ×3, first 2 shown]
	v_mul_f32_e64 v30, |v17|, v30
	v_fma_f32 v29, v29, v30, |v17|
; %bb.196:                              ;   in Loop: Header=BB25_9 Depth=1
	s_or_b64 exec, exec, s[6:7]
	v_cmp_nlt_f32_e64 s[6:7], |v2|, s41
                                        ; implicit-def: $vgpr30
	s_and_saveexec_b64 s[34:35], s[6:7]
	s_xor_b64 s[6:7], exec, s[34:35]
	s_cbranch_execz .LBB25_198
; %bb.197:                              ;   in Loop: Header=BB25_9 Depth=1
	v_add_f32_e64 v30, |v2|, |v2|
	v_mul_f32_e32 v31, 0x3fb8aa3b, v30
	v_rndne_f32_e32 v32, v31
	v_sub_f32_e32 v33, v31, v32
	v_fma_f32 v31, v30, s47, -v31
	v_fmac_f32_e32 v31, 0x32a5705f, v30
	v_add_f32_e32 v31, v33, v31
	v_cvt_i32_f32_e32 v32, v32
	v_exp_f32_e32 v31, v31
	v_cmp_ngt_f32_e32 vcc, s0, v30
	v_ldexp_f32 v31, v31, v32
	s_nop 0
	v_cndmask_b32_e32 v31, 0, v31, vcc
	v_cmp_nlt_f32_e32 vcc, s1, v30
	s_nop 1
	v_cndmask_b32_e32 v30, v236, v31, vcc
	v_add_f32_e32 v30, 1.0, v30
	v_rcp_f32_e32 v30, v30
	s_nop 0
	v_fma_f32 v30, v30, -2.0, 1.0
.LBB25_198:                             ;   in Loop: Header=BB25_9 Depth=1
	s_andn2_saveexec_b64 s[6:7], s[6:7]
; %bb.199:                              ;   in Loop: Header=BB25_9 Depth=1
	v_mul_f32_e32 v30, v2, v2
	v_fmamk_f32 v31, v30, 0xbbbac73d, v234
	v_fmaak_f32 v31, v30, v31, 0xbd5c1c4e
	v_fmaak_f32 v31, v30, v31, 0x3e088382
	;; [unrolled: 1-line block ×3, first 2 shown]
	v_mul_f32_e64 v31, |v2|, v31
	v_fma_f32 v30, v30, v31, |v2|
; %bb.200:                              ;   in Loop: Header=BB25_9 Depth=1
	s_or_b64 exec, exec, s[6:7]
	v_cmp_nlt_f32_e64 s[6:7], |v3|, s41
                                        ; implicit-def: $vgpr31
	s_and_saveexec_b64 s[34:35], s[6:7]
	s_xor_b64 s[6:7], exec, s[34:35]
	s_cbranch_execz .LBB25_202
; %bb.201:                              ;   in Loop: Header=BB25_9 Depth=1
	v_add_f32_e64 v31, |v3|, |v3|
	v_mul_f32_e32 v32, 0x3fb8aa3b, v31
	v_rndne_f32_e32 v33, v32
	v_sub_f32_e32 v120, v32, v33
	v_fma_f32 v32, v31, s47, -v32
	v_fmac_f32_e32 v32, 0x32a5705f, v31
	v_add_f32_e32 v32, v120, v32
	v_cvt_i32_f32_e32 v33, v33
	v_exp_f32_e32 v32, v32
	v_cmp_ngt_f32_e32 vcc, s0, v31
	v_ldexp_f32 v32, v32, v33
	s_nop 0
	v_cndmask_b32_e32 v32, 0, v32, vcc
	v_cmp_nlt_f32_e32 vcc, s1, v31
	s_nop 1
	v_cndmask_b32_e32 v31, v236, v32, vcc
	v_add_f32_e32 v31, 1.0, v31
	v_rcp_f32_e32 v31, v31
	s_nop 0
	v_fma_f32 v31, v31, -2.0, 1.0
.LBB25_202:                             ;   in Loop: Header=BB25_9 Depth=1
	s_andn2_saveexec_b64 s[6:7], s[6:7]
; %bb.203:                              ;   in Loop: Header=BB25_9 Depth=1
	v_mul_f32_e32 v31, v3, v3
	v_fmamk_f32 v32, v31, 0xbbbac73d, v234
	v_fmaak_f32 v32, v31, v32, 0xbd5c1c4e
	v_fmaak_f32 v32, v31, v32, 0x3e088382
	v_fmaak_f32 v32, v31, v32, 0xbeaaaa99
	v_mul_f32_e64 v32, |v3|, v32
	v_fma_f32 v31, v31, v32, |v3|
; %bb.204:                              ;   in Loop: Header=BB25_9 Depth=1
	s_or_b64 exec, exec, s[6:7]
	v_cmp_nlt_f32_e64 s[6:7], |v4|, s41
                                        ; implicit-def: $vgpr32
	s_and_saveexec_b64 s[34:35], s[6:7]
	s_xor_b64 s[6:7], exec, s[34:35]
	s_cbranch_execz .LBB25_206
; %bb.205:                              ;   in Loop: Header=BB25_9 Depth=1
	v_add_f32_e64 v32, |v4|, |v4|
	v_mul_f32_e32 v33, 0x3fb8aa3b, v32
	v_rndne_f32_e32 v120, v33
	v_sub_f32_e32 v121, v33, v120
	v_fma_f32 v33, v32, s47, -v33
	v_fmac_f32_e32 v33, 0x32a5705f, v32
	v_add_f32_e32 v33, v121, v33
	v_cvt_i32_f32_e32 v120, v120
	v_exp_f32_e32 v33, v33
	v_cmp_ngt_f32_e32 vcc, s0, v32
	v_ldexp_f32 v33, v33, v120
	s_nop 0
	v_cndmask_b32_e32 v33, 0, v33, vcc
	v_cmp_nlt_f32_e32 vcc, s1, v32
	s_nop 1
	v_cndmask_b32_e32 v32, v236, v33, vcc
	v_add_f32_e32 v32, 1.0, v32
	v_rcp_f32_e32 v32, v32
	s_nop 0
	v_fma_f32 v32, v32, -2.0, 1.0
.LBB25_206:                             ;   in Loop: Header=BB25_9 Depth=1
	s_andn2_saveexec_b64 s[6:7], s[6:7]
; %bb.207:                              ;   in Loop: Header=BB25_9 Depth=1
	v_mul_f32_e32 v32, v4, v4
	v_fmamk_f32 v33, v32, 0xbbbac73d, v234
	v_fmaak_f32 v33, v32, v33, 0xbd5c1c4e
	v_fmaak_f32 v33, v32, v33, 0x3e088382
	;; [unrolled: 1-line block ×3, first 2 shown]
	v_mul_f32_e64 v33, |v4|, v33
	v_fma_f32 v32, v32, v33, |v4|
; %bb.208:                              ;   in Loop: Header=BB25_9 Depth=1
	s_or_b64 exec, exec, s[6:7]
	v_cmp_nlt_f32_e64 s[6:7], |v5|, s41
                                        ; implicit-def: $vgpr33
	s_and_saveexec_b64 s[34:35], s[6:7]
	s_xor_b64 s[6:7], exec, s[34:35]
	s_cbranch_execz .LBB25_210
; %bb.209:                              ;   in Loop: Header=BB25_9 Depth=1
	v_add_f32_e64 v33, |v5|, |v5|
	v_mul_f32_e32 v120, 0x3fb8aa3b, v33
	v_rndne_f32_e32 v121, v120
	v_sub_f32_e32 v122, v120, v121
	v_fma_f32 v120, v33, s47, -v120
	v_fmac_f32_e32 v120, 0x32a5705f, v33
	v_add_f32_e32 v120, v122, v120
	v_cvt_i32_f32_e32 v121, v121
	v_exp_f32_e32 v120, v120
	v_cmp_ngt_f32_e32 vcc, s0, v33
	v_ldexp_f32 v120, v120, v121
	s_nop 0
	v_cndmask_b32_e32 v120, 0, v120, vcc
	v_cmp_nlt_f32_e32 vcc, s1, v33
	s_nop 1
	v_cndmask_b32_e32 v33, v236, v120, vcc
	v_add_f32_e32 v33, 1.0, v33
	v_rcp_f32_e32 v33, v33
	s_nop 0
	v_fma_f32 v33, v33, -2.0, 1.0
.LBB25_210:                             ;   in Loop: Header=BB25_9 Depth=1
	s_andn2_saveexec_b64 s[6:7], s[6:7]
; %bb.211:                              ;   in Loop: Header=BB25_9 Depth=1
	v_mul_f32_e32 v33, v5, v5
	v_fmamk_f32 v120, v33, 0xbbbac73d, v234
	v_fmaak_f32 v120, v33, v120, 0xbd5c1c4e
	v_fmaak_f32 v120, v33, v120, 0x3e088382
	;; [unrolled: 1-line block ×3, first 2 shown]
	v_mul_f32_e64 v120, |v5|, v120
	v_fma_f32 v33, v33, v120, |v5|
; %bb.212:                              ;   in Loop: Header=BB25_9 Depth=1
	s_or_b64 exec, exec, s[6:7]
	v_bfi_b32 v31, s62, v31, v3
	v_bfi_b32 v3, s62, v18, v6
	;; [unrolled: 1-line block ×3, first 2 shown]
	ds_read_b32 v5, v156 offset:17408
	v_bfi_b32 v6, s62, v19, v7
	v_bfi_b32 v30, s62, v30, v2
	;; [unrolled: 1-line block ×4, first 2 shown]
	s_waitcnt lgkmcnt(0)
	v_fma_mix_f32 v19, s33, v3, v5 op_sel_hi:[0,0,1]
	ds_read_b32 v3, v157 offset:17408
	v_bfi_b32 v7, s62, v20, v8
	v_bfi_b32 v11, s62, v23, v11
	v_bfi_b32 v10, s62, v22, v10
	v_bfi_b32 v13, s62, v25, v13
	s_waitcnt lgkmcnt(0)
	v_fma_mix_f32 v24, s33, v2, v3 op_sel:[0,0,1] op_sel_hi:[0,0,1]
	v_add_u32_e32 v2, 0x4400, v215
	v_fma_mix_f32 v23, s33, v7, v3 op_sel_hi:[0,0,1]
	ds_read2_b32 v[2:3], v2 offset1:1
	v_bfi_b32 v14, s62, v26, v14
	v_bfi_b32 v15, s62, v27, v15
	v_fma_mix_f32 v22, s33, v6, v5 op_sel:[0,0,1] op_sel_hi:[0,0,1]
	v_bfi_b32 v4, s62, v32, v4
	s_waitcnt lgkmcnt(0)
	v_fma_mix_f32 v25, s33, v10, v2 op_sel_hi:[0,0,1]
	v_fma_mix_f32 v11, s33, v11, v2 op_sel:[0,0,1] op_sel_hi:[0,0,1]
	v_add_u32_e32 v2, 0x4400, v216
	v_fma_mix_f32 v12, s33, v12, v3 op_sel_hi:[0,0,1]
	v_fma_mix_f32 v13, s33, v13, v3 op_sel:[0,0,1] op_sel_hi:[0,0,1]
	ds_read2_b32 v[2:3], v2 offset1:1
	v_bfi_b32 v17, s62, v29, v17
	v_bfi_b32 v16, s62, v28, v16
	s_mul_hi_i32 s5, s4, s26
	s_mul_i32 s4, s4, s26
	s_waitcnt lgkmcnt(0)
	v_fma_mix_f32 v14, s33, v14, v2 op_sel_hi:[0,0,1]
	v_fma_mix_f32 v10, s33, v15, v2 op_sel:[0,0,1] op_sel_hi:[0,0,1]
	v_add_u32_e32 v2, 0x4400, v217
	ds_read2_b32 v[6:7], v2 offset1:1
	v_add_f32_e32 v15, 0x40051340, v24
	v_fma_mix_f32 v9, s33, v16, v3 op_sel_hi:[0,0,1]
	v_fma_mix_f32 v3, s33, v17, v3 op_sel:[0,0,1] op_sel_hi:[0,0,1]
	s_lshl_b64 s[4:5], s[4:5], 2
	s_waitcnt lgkmcnt(0)
	v_fma_mix_f32 v8, s33, v30, v6 op_sel_hi:[0,0,1]
	v_fma_mix_f32 v5, s33, v31, v6 op_sel:[0,0,1] op_sel_hi:[0,0,1]
	v_fma_mix_f32 v4, s33, v4, v7 op_sel_hi:[0,0,1]
	v_fma_mix_f32 v2, s33, v18, v7 op_sel:[0,0,1] op_sel_hi:[0,0,1]
	v_add_f32_e32 v6, 0x40051340, v19
	v_add_f32_e32 v7, 0x40051340, v22
	v_max3_f32 v6, v250, v6, v7
	v_add_f32_e32 v7, 0x40051340, v23
	v_max3_f32 v6, v6, v7, v15
	v_add_f32_e32 v7, 0x40051340, v25
	v_add_f32_e32 v15, 0x40051340, v11
	v_max3_f32 v6, v6, v7, v15
	v_add_f32_e32 v7, 0x40051340, v12
	;; [unrolled: 3-line block ×6, first 2 shown]
	v_add_f32_e32 v15, 0x40051340, v2
	v_max3_f32 v6, v6, v7, v15
	v_and_b32_e32 v7, 64, v235
	v_add_u32_e32 v7, 64, v7
	v_xor_b32_e32 v15, 32, v235
	v_cmp_lt_i32_e32 vcc, v15, v7
	s_nop 1
	v_cndmask_b32_e32 v15, v235, v15, vcc
	v_lshlrev_b32_e32 v28, 2, v15
	ds_bpermute_b32 v15, v28, v6
	s_waitcnt lgkmcnt(0)
	v_max_f32_e32 v15, v15, v15
	v_max_f32_e32 v6, v6, v15
	v_xor_b32_e32 v15, 16, v235
	v_cmp_lt_i32_e32 vcc, v15, v7
	s_nop 1
	v_cndmask_b32_e32 v7, v235, v15, vcc
	v_lshlrev_b32_e32 v21, 2, v7
	ds_bpermute_b32 v7, v21, v6
	s_waitcnt lgkmcnt(0)
	v_max_f32_e32 v7, v7, v7
	v_max_f32_e32 v20, v6, v7
	v_sub_f32_e32 v6, v19, v20
	v_mul_f32_e32 v7, 0x3fb8aa3b, v6
	v_fma_f32 v15, v6, s47, -v7
	v_rndne_f32_e32 v16, v7
	v_fmac_f32_e32 v15, 0x32a5705f, v6
	v_sub_f32_e32 v7, v7, v16
	v_add_f32_e32 v7, v7, v15
	v_exp_f32_e32 v7, v7
	v_cvt_i32_f32_e32 v15, v16
	v_cmp_ngt_f32_e32 vcc, s0, v6
	v_sub_f32_e32 v11, v11, v20
	v_sub_f32_e32 v12, v12, v20
	v_ldexp_f32 v7, v7, v15
	v_cndmask_b32_e32 v7, 0, v7, vcc
	v_cmp_nlt_f32_e32 vcc, s1, v6
	v_sub_f32_e32 v10, v10, v20
	v_sub_f32_e32 v9, v9, v20
	v_cndmask_b32_e32 v6, v236, v7, vcc
	v_sub_f32_e32 v7, v22, v20
	v_mul_f32_e32 v15, 0x3fb8aa3b, v7
	v_fma_f32 v16, v7, s47, -v15
	v_rndne_f32_e32 v17, v15
	v_fmac_f32_e32 v16, 0x32a5705f, v7
	v_sub_f32_e32 v15, v15, v17
	v_add_f32_e32 v15, v15, v16
	v_exp_f32_e32 v15, v15
	v_cvt_i32_f32_e32 v16, v17
	v_cmp_ngt_f32_e32 vcc, s0, v7
	v_sub_f32_e32 v3, v3, v20
	v_sub_f32_e32 v8, v8, v20
	v_ldexp_f32 v15, v15, v16
	v_sub_f32_e32 v16, v23, v20
	v_mul_f32_e32 v17, 0x3fb8aa3b, v16
	v_fma_f32 v18, v16, s47, -v17
	v_rndne_f32_e32 v19, v17
	v_fmac_f32_e32 v18, 0x32a5705f, v16
	v_sub_f32_e32 v17, v17, v19
	v_add_f32_e32 v17, v17, v18
	v_exp_f32_e32 v17, v17
	v_cvt_i32_f32_e32 v18, v19
	v_cndmask_b32_e32 v15, 0, v15, vcc
	v_cmp_nlt_f32_e32 vcc, s1, v7
	v_sub_f32_e32 v5, v5, v20
	v_ldexp_f32 v17, v17, v18
	v_cndmask_b32_e32 v7, v236, v15, vcc
	v_cmp_ngt_f32_e32 vcc, s0, v16
	v_add_f32_e32 v15, v6, v7
	v_sub_f32_e32 v4, v4, v20
	v_cndmask_b32_e32 v17, 0, v17, vcc
	v_cmp_nlt_f32_e32 vcc, s1, v16
	v_sub_f32_e32 v16, v24, v20
	v_sub_f32_e32 v2, v2, v20
	v_cndmask_b32_e32 v18, v236, v17, vcc
	v_mul_f32_e32 v17, 0x3fb8aa3b, v16
	v_fma_f32 v19, v16, s47, -v17
	v_rndne_f32_e32 v22, v17
	v_fmac_f32_e32 v19, 0x32a5705f, v16
	v_sub_f32_e32 v17, v17, v22
	v_add_f32_e32 v17, v17, v19
	v_exp_f32_e32 v17, v17
	v_cvt_i32_f32_e32 v19, v22
	v_cmp_ngt_f32_e32 vcc, s0, v16
	v_add_f32_e32 v15, v18, v15
	v_ldexp_f32 v17, v17, v19
	v_cndmask_b32_e32 v17, 0, v17, vcc
	v_cmp_nlt_f32_e32 vcc, s1, v16
	v_sub_f32_e32 v16, v25, v20
	s_nop 0
	v_cndmask_b32_e32 v19, v236, v17, vcc
	v_mul_f32_e32 v17, 0x3fb8aa3b, v16
	v_fma_f32 v22, v16, s47, -v17
	v_rndne_f32_e32 v23, v17
	v_fmac_f32_e32 v22, 0x32a5705f, v16
	v_sub_f32_e32 v17, v17, v23
	v_add_f32_e32 v17, v17, v22
	v_exp_f32_e32 v17, v17
	v_cvt_i32_f32_e32 v22, v23
	v_cmp_ngt_f32_e32 vcc, s0, v16
	v_add_f32_e32 v15, v19, v15
	v_ldexp_f32 v17, v17, v22
	v_cndmask_b32_e32 v17, 0, v17, vcc
	v_cmp_nlt_f32_e32 vcc, s1, v16
	v_mul_f32_e32 v16, 0x3fb8aa3b, v11
	v_rndne_f32_e32 v23, v16
	v_cndmask_b32_e32 v22, v236, v17, vcc
	v_fma_f32 v17, v11, s47, -v16
	v_fmac_f32_e32 v17, 0x32a5705f, v11
	v_sub_f32_e32 v16, v16, v23
	v_add_f32_e32 v16, v16, v17
	v_exp_f32_e32 v16, v16
	v_cvt_i32_f32_e32 v17, v23
	v_cmp_ngt_f32_e32 vcc, s0, v11
	v_add_f32_e32 v15, v22, v15
	v_ldexp_f32 v16, v16, v17
	v_cndmask_b32_e32 v16, 0, v16, vcc
	v_cmp_nlt_f32_e32 vcc, s1, v11
	s_nop 1
	v_cndmask_b32_e32 v23, v236, v16, vcc
	v_add_f32_e32 v11, v23, v15
	v_mul_f32_e32 v15, 0x3fb8aa3b, v12
	v_fma_f32 v16, v12, s47, -v15
	v_rndne_f32_e32 v17, v15
	v_fmac_f32_e32 v16, 0x32a5705f, v12
	v_sub_f32_e32 v15, v15, v17
	v_add_f32_e32 v15, v15, v16
	v_exp_f32_e32 v15, v15
	v_cvt_i32_f32_e32 v16, v17
	v_cmp_ngt_f32_e32 vcc, s0, v12
	v_ldexp_f32 v15, v15, v16
	s_nop 0
	v_cndmask_b32_e32 v15, 0, v15, vcc
	v_cmp_nlt_f32_e32 vcc, s1, v12
	v_sub_f32_e32 v12, v13, v20
	v_mul_f32_e32 v13, 0x3fb8aa3b, v12
	v_cndmask_b32_e32 v24, v236, v15, vcc
	v_fma_f32 v15, v12, s47, -v13
	v_rndne_f32_e32 v16, v13
	v_fmac_f32_e32 v15, 0x32a5705f, v12
	v_sub_f32_e32 v13, v13, v16
	v_add_f32_e32 v13, v13, v15
	v_exp_f32_e32 v13, v13
	v_cvt_i32_f32_e32 v15, v16
	v_cmp_ngt_f32_e32 vcc, s0, v12
	v_add_f32_e32 v11, v24, v11
	v_ldexp_f32 v13, v13, v15
	v_cndmask_b32_e32 v13, 0, v13, vcc
	v_cmp_nlt_f32_e32 vcc, s1, v12
	v_sub_f32_e32 v12, v14, v20
	s_nop 0
	v_cndmask_b32_e32 v25, v236, v13, vcc
	v_mul_f32_e32 v13, 0x3fb8aa3b, v12
	v_fma_f32 v14, v12, s47, -v13
	v_rndne_f32_e32 v15, v13
	v_fmac_f32_e32 v14, 0x32a5705f, v12
	v_sub_f32_e32 v13, v13, v15
	v_add_f32_e32 v13, v13, v14
	v_exp_f32_e32 v13, v13
	v_cvt_i32_f32_e32 v14, v15
	v_cmp_ngt_f32_e32 vcc, s0, v12
	v_add_f32_e32 v11, v25, v11
	v_cvt_pk_f16_f32 v25, v24, v25
	v_ldexp_f32 v13, v13, v14
	v_cndmask_b32_e32 v13, 0, v13, vcc
	v_cmp_nlt_f32_e32 vcc, s1, v12
	v_mul_f32_e32 v12, 0x3fb8aa3b, v10
	v_rndne_f32_e32 v14, v12
	v_cndmask_b32_e32 v30, v236, v13, vcc
	v_fma_f32 v13, v10, s47, -v12
	v_fmac_f32_e32 v13, 0x32a5705f, v10
	v_sub_f32_e32 v12, v12, v14
	v_add_f32_e32 v12, v12, v13
	v_exp_f32_e32 v12, v12
	v_cvt_i32_f32_e32 v13, v14
	v_cmp_ngt_f32_e32 vcc, s0, v10
	v_add_f32_e32 v11, v30, v11
	v_cvt_pk_f16_f32 v24, v22, v23
	v_ldexp_f32 v12, v12, v13
	v_cndmask_b32_e32 v12, 0, v12, vcc
	v_cmp_nlt_f32_e32 vcc, s1, v10
	s_nop 1
	v_cndmask_b32_e32 v33, v236, v12, vcc
	v_add_f32_e32 v10, v33, v11
	v_mul_f32_e32 v11, 0x3fb8aa3b, v9
	v_fma_f32 v12, v9, s47, -v11
	v_rndne_f32_e32 v13, v11
	v_fmac_f32_e32 v12, 0x32a5705f, v9
	v_sub_f32_e32 v11, v11, v13
	v_add_f32_e32 v11, v11, v12
	v_exp_f32_e32 v11, v11
	v_cvt_i32_f32_e32 v12, v13
	v_cmp_ngt_f32_e32 vcc, s0, v9
	v_cvt_pk_f16_f32 v22, v30, v33
	v_ldexp_f32 v11, v11, v12
	v_cndmask_b32_e32 v11, 0, v11, vcc
	v_cmp_nlt_f32_e32 vcc, s1, v9
	s_nop 1
	v_cndmask_b32_e32 v120, v236, v11, vcc
	v_add_f32_e32 v9, v120, v10
	v_mul_f32_e32 v10, 0x3fb8aa3b, v3
	v_fma_f32 v11, v3, s47, -v10
	v_rndne_f32_e32 v12, v10
	v_fmac_f32_e32 v11, 0x32a5705f, v3
	v_sub_f32_e32 v10, v10, v12
	v_add_f32_e32 v10, v10, v11
	v_exp_f32_e32 v10, v10
	v_cvt_i32_f32_e32 v11, v12
	v_cmp_ngt_f32_e32 vcc, s0, v3
	v_ldexp_f32 v10, v10, v11
	s_nop 0
	v_cndmask_b32_e32 v10, 0, v10, vcc
	v_cmp_nlt_f32_e32 vcc, s1, v3
	s_nop 1
	v_cndmask_b32_e32 v122, v236, v10, vcc
	v_add_f32_e32 v3, v122, v9
	v_mul_f32_e32 v9, 0x3fb8aa3b, v8
	v_fma_f32 v10, v8, s47, -v9
	v_rndne_f32_e32 v11, v9
	v_fmac_f32_e32 v10, 0x32a5705f, v8
	v_sub_f32_e32 v9, v9, v11
	v_add_f32_e32 v9, v9, v10
	v_exp_f32_e32 v9, v9
	v_cvt_i32_f32_e32 v10, v11
	v_cmp_ngt_f32_e32 vcc, s0, v8
	v_cvt_pk_f16_f32 v23, v120, v122
	v_ldexp_f32 v9, v9, v10
	v_cndmask_b32_e32 v9, 0, v9, vcc
	v_cmp_nlt_f32_e32 vcc, s1, v8
	v_mul_f32_e32 v8, 0x3fb8aa3b, v5
	v_rndne_f32_e32 v10, v8
	v_cndmask_b32_e32 v121, v236, v9, vcc
	v_fma_f32 v9, v5, s47, -v8
	v_fmac_f32_e32 v9, 0x32a5705f, v5
	v_sub_f32_e32 v8, v8, v10
	v_add_f32_e32 v8, v8, v9
	v_exp_f32_e32 v8, v8
	v_cvt_i32_f32_e32 v9, v10
	v_cmp_ngt_f32_e32 vcc, s0, v5
	v_add_f32_e32 v3, v121, v3
	v_ldexp_f32 v8, v8, v9
	v_cndmask_b32_e32 v8, 0, v8, vcc
	v_cmp_nlt_f32_e32 vcc, s1, v5
	v_mul_f32_e32 v5, 0x3fb8aa3b, v4
	v_rndne_f32_e32 v9, v5
	v_cndmask_b32_e32 v123, v236, v8, vcc
	v_fma_f32 v8, v4, s47, -v5
	v_fmac_f32_e32 v8, 0x32a5705f, v4
	v_sub_f32_e32 v5, v5, v9
	v_add_f32_e32 v5, v5, v8
	v_exp_f32_e32 v5, v5
	v_cvt_i32_f32_e32 v8, v9
	v_cmp_ngt_f32_e32 vcc, s0, v4
	v_add_f32_e32 v3, v123, v3
	;; [unrolled: 14-line block ×3, first 2 shown]
	v_ldexp_f32 v4, v4, v5
	v_cndmask_b32_e32 v4, 0, v4, vcc
	v_cmp_nlt_f32_e32 vcc, s1, v2
	v_sub_f32_e32 v2, v250, v20
	s_nop 0
	v_cndmask_b32_e32 v125, v236, v4, vcc
	v_add_f32_e32 v29, v125, v3
	v_mul_f32_e32 v3, 0x3fb8aa3b, v2
	v_fma_f32 v4, v2, s47, -v3
	v_rndne_f32_e32 v5, v3
	v_fmac_f32_e32 v4, 0x32a5705f, v2
	v_sub_f32_e32 v3, v3, v5
	v_add_f32_e32 v3, v3, v4
	v_exp_f32_e32 v3, v3
	v_cvt_i32_f32_e32 v4, v5
	v_cmp_ngt_f32_e32 vcc, s0, v2
	v_ldexp_f32 v3, v3, v4
	s_nop 0
	v_cndmask_b32_e32 v3, 0, v3, vcc
	v_cmp_nlt_f32_e32 vcc, s1, v2
	s_nop 1
	v_cndmask_b32_e32 v3, v236, v3, vcc
	v_cmp_le_f32_e32 vcc, s63, v2
	s_nop 1
	v_cndmask_b32_e32 v2, 0, v3, vcc
	v_fmac_f32_e32 v29, v253, v2
	v_cvt_f16_f32_e32 v2, v2
	v_cmp_eq_u64_e32 vcc, 0, v[100:101]
	s_and_b64 vcc, exec, vcc
	v_mul_u32_u24_e32 v2, 0x10001, v2
	v_pk_mul_f16 v27, v129, v2
	v_pk_mul_f16 v26, v128, v2
	;; [unrolled: 1-line block ×16, first 2 shown]
	v_lshl_add_u64 v[2:3], v[102:103], 0, s[4:5]
	v_lshl_add_u64 v[4:5], v[62:63], 2, v[2:3]
	;; [unrolled: 1-line block ×7, first 2 shown]
	global_load_dwordx4 v[2:5], v[4:5], off
	v_lshl_add_u64 v[36:37], v[36:37], 0, v[50:51]
	v_lshl_add_u64 v[38:39], v[38:39], 0, v[50:51]
	s_waitcnt vmcnt(0)
	ds_write_b128 v75, v[2:5]
	global_load_dwordx4 v[2:5], v[36:37], off
	s_waitcnt vmcnt(0)
	ds_write_b128 v212, v[2:5]
	global_load_dwordx4 v[2:5], v[38:39], off
	;; [unrolled: 3-line block ×3, first 2 shown]
	s_waitcnt vmcnt(0)
	ds_write_b128 v214, v[2:5]
	s_waitcnt lgkmcnt(0)
	s_barrier
	ds_read_u16 v36, v158 offset:272
	ds_read_u16 v37, v158 offset:544
	v_cvt_f32_f16_e32 v4, v26
	v_cvt_f32_f16_sdwa v5, v26 dst_sel:DWORD dst_unused:UNUSED_PAD src0_sel:WORD_1
	ds_read_u16 v26, v159
	ds_read_u16 v38, v159 offset:32
	v_cvt_f32_f16_e32 v2, v27
	v_cvt_f32_f16_sdwa v3, v27 dst_sel:DWORD dst_unused:UNUSED_PAD src0_sel:WORD_1
	v_cvt_pk_f16_f32 v27, v18, v19
	s_waitcnt lgkmcnt(1)
	v_perm_b32 v37, v26, v37, s2
	ds_read_u16 v26, v158
	ds_read_u16 v39, v158 offset:32
	s_waitcnt lgkmcnt(1)
	v_perm_b32 v36, v36, v26, s2
	v_cvt_pk_f16_f32 v26, v6, v7
	ds_read_u16 v6, v158 offset:4352
	ds_read_u16 v18, v158 offset:4624
	;; [unrolled: 1-line block ×4, first 2 shown]
	v_mfma_f32_16x16x16_f16 v[2:5], v[36:37], v[26:27], v[2:5]
	s_waitcnt lgkmcnt(2)
	v_perm_b32 v6, v18, v6, s2
	s_waitcnt lgkmcnt(0)
	v_perm_b32 v7, v19, v7, s2
	v_cvt_f32_f16_sdwa v37, v9 dst_sel:DWORD dst_unused:UNUSED_PAD src0_sel:WORD_1
	s_nop 2
	v_cvt_f16_f32_e32 v2, v2
	v_cvt_f16_f32_e32 v3, v3
	v_cvt_f16_f32_e32 v4, v4
	v_cvt_f16_f32_e32 v5, v5
	v_cvt_f32_f16_e32 v2, v2
	v_cvt_f32_f16_e32 v3, v3
	;; [unrolled: 1-line block ×4, first 2 shown]
	s_nop 1
	v_mfma_f32_16x16x16_f16 v[2:5], v[6:7], v[24:25], v[2:5]
	ds_read_u16 v6, v158 offset:8704
	ds_read_u16 v18, v158 offset:8976
	ds_read_u16 v7, v158 offset:9248
	ds_read_u16 v19, v159 offset:8704
	s_nop 3
	v_cvt_f16_f32_e32 v2, v2
	v_cvt_f16_f32_e32 v3, v3
	;; [unrolled: 1-line block ×4, first 2 shown]
	s_waitcnt lgkmcnt(0)
	v_perm_b32 v7, v19, v7, s2
	v_perm_b32 v6, v18, v6, s2
	v_cvt_f32_f16_e32 v2, v2
	v_cvt_f32_f16_e32 v3, v3
	;; [unrolled: 1-line block ×4, first 2 shown]
	s_nop 1
	v_mfma_f32_16x16x16_f16 v[2:5], v[6:7], v[22:23], v[2:5]
	ds_read_u16 v6, v158 offset:13056
	ds_read_u16 v18, v158 offset:13328
	;; [unrolled: 1-line block ×6, first 2 shown]
	s_nop 1
	v_cvt_f16_f32_e32 v2, v2
	v_cvt_f16_f32_e32 v3, v3
	;; [unrolled: 1-line block ×4, first 2 shown]
	s_waitcnt lgkmcnt(2)
	v_perm_b32 v7, v19, v7, s2
	v_perm_b32 v6, v18, v6, s2
	v_cvt_f32_f16_e32 v2, v2
	v_cvt_f32_f16_e32 v3, v3
	;; [unrolled: 1-line block ×4, first 2 shown]
	v_cvt_pk_f16_f32 v19, v124, v125
	v_cvt_pk_f16_f32 v18, v121, v123
	s_waitcnt lgkmcnt(0)
	v_perm_b32 v33, v38, v33, s2
	v_cvt_f32_f16_e32 v38, v8
	v_mfma_f32_16x16x16_f16 v[2:5], v[6:7], v[18:19], v[2:5]
	v_cvt_f32_f16_e32 v6, v31
	v_cvt_f32_f16_sdwa v7, v31 dst_sel:DWORD dst_unused:UNUSED_PAD src0_sel:WORD_1
	s_nop 5
	v_cvt_f16_f32_e32 v4, v4
	v_cvt_f16_f32_e32 v5, v5
	v_perm_b32 v30, v5, v4, s2
	v_cvt_f32_f16_e32 v4, v32
	v_cvt_f32_f16_sdwa v5, v32 dst_sel:DWORD dst_unused:UNUSED_PAD src0_sel:WORD_1
	v_perm_b32 v32, v36, v39, s2
	v_cvt_f32_f16_sdwa v39, v8 dst_sel:DWORD dst_unused:UNUSED_PAD src0_sel:WORD_1
	s_nop 0
	v_mfma_f32_16x16x16_f16 v[4:7], v[32:33], v[26:27], v[4:7]
	ds_read_u16 v31, v158 offset:4384
	ds_read_u16 v32, v158 offset:4656
	ds_read_u16 v33, v158 offset:4928
	ds_read_u16 v36, v159 offset:4384
	s_nop 3
	v_cvt_f16_f32_e32 v4, v4
	v_cvt_f16_f32_e32 v5, v5
	v_cvt_f16_f32_e32 v6, v6
	v_cvt_f16_f32_e32 v7, v7
	s_waitcnt lgkmcnt(0)
	v_perm_b32 v33, v36, v33, s2
	v_perm_b32 v32, v32, v31, s2
	v_cvt_f32_f16_e32 v4, v4
	v_cvt_f32_f16_e32 v5, v5
	v_cvt_f32_f16_e32 v6, v6
	v_cvt_f32_f16_e32 v7, v7
	s_nop 1
	v_mfma_f32_16x16x16_f16 v[4:7], v[32:33], v[24:25], v[4:7]
	ds_read_u16 v31, v158 offset:8736
	ds_read_u16 v32, v158 offset:9008
	ds_read_u16 v33, v158 offset:9280
	ds_read_u16 v36, v159 offset:8736
	s_nop 3
	v_cvt_f16_f32_e32 v4, v4
	v_cvt_f16_f32_e32 v5, v5
	v_cvt_f16_f32_e32 v6, v6
	v_cvt_f16_f32_e32 v7, v7
	s_waitcnt lgkmcnt(0)
	v_perm_b32 v33, v36, v33, s2
	v_perm_b32 v32, v32, v31, s2
	v_cvt_f32_f16_e32 v4, v4
	v_cvt_f32_f16_e32 v5, v5
	v_cvt_f32_f16_e32 v6, v6
	v_cvt_f32_f16_e32 v7, v7
	;; [unrolled: 18-line block ×3, first 2 shown]
	v_cvt_f32_f16_e32 v36, v9
	s_nop 0
	v_mfma_f32_16x16x16_f16 v[4:7], v[32:33], v[18:19], v[4:7]
	s_nop 7
	v_cvt_f16_f32_e32 v6, v6
	v_cvt_f16_f32_e32 v7, v7
	v_perm_b32 v31, v7, v6, s2
	ds_read_u16 v6, v158 offset:64
	ds_read_u16 v32, v158 offset:336
	;; [unrolled: 1-line block ×4, first 2 shown]
	s_waitcnt lgkmcnt(2)
	v_perm_b32 v6, v32, v6, s2
	s_waitcnt lgkmcnt(0)
	v_perm_b32 v7, v33, v7, s2
	s_nop 1
	v_mfma_f32_16x16x16_f16 v[6:9], v[6:7], v[26:27], v[36:39]
	ds_read_u16 v32, v158 offset:4416
	s_nop 1
	ds_read_u16 v36, v158 offset:4688
	ds_read_u16 v33, v158 offset:4960
	;; [unrolled: 1-line block ×3, first 2 shown]
	v_cvt_f32_f16_e32 v38, v10
	v_cvt_f32_f16_sdwa v39, v10 dst_sel:DWORD dst_unused:UNUSED_PAD src0_sel:WORD_1
	v_cvt_f16_f32_e32 v6, v6
	v_cvt_f16_f32_e32 v7, v7
	;; [unrolled: 1-line block ×4, first 2 shown]
	s_waitcnt lgkmcnt(0)
	v_perm_b32 v33, v37, v33, s2
	v_perm_b32 v32, v36, v32, s2
	v_cvt_f32_f16_e32 v6, v6
	v_cvt_f32_f16_e32 v7, v7
	;; [unrolled: 1-line block ×4, first 2 shown]
	s_nop 1
	v_mfma_f32_16x16x16_f16 v[6:9], v[32:33], v[24:25], v[6:9]
	ds_read_u16 v32, v158 offset:8768
	ds_read_u16 v36, v158 offset:9040
	;; [unrolled: 1-line block ×4, first 2 shown]
	s_nop 3
	v_cvt_f16_f32_e32 v6, v6
	v_cvt_f16_f32_e32 v7, v7
	;; [unrolled: 1-line block ×4, first 2 shown]
	s_waitcnt lgkmcnt(0)
	v_perm_b32 v33, v37, v33, s2
	v_perm_b32 v32, v36, v32, s2
	v_cvt_f32_f16_e32 v6, v6
	v_cvt_f32_f16_e32 v7, v7
	;; [unrolled: 1-line block ×4, first 2 shown]
	s_nop 1
	v_mfma_f32_16x16x16_f16 v[6:9], v[32:33], v[22:23], v[6:9]
	ds_read_u16 v32, v158 offset:13120
	ds_read_u16 v36, v158 offset:13392
	;; [unrolled: 1-line block ×4, first 2 shown]
	s_nop 3
	v_cvt_f16_f32_e32 v6, v6
	v_cvt_f16_f32_e32 v7, v7
	;; [unrolled: 1-line block ×4, first 2 shown]
	s_waitcnt lgkmcnt(0)
	v_perm_b32 v33, v37, v33, s2
	v_perm_b32 v32, v36, v32, s2
	v_cvt_f32_f16_e32 v6, v6
	v_cvt_f32_f16_e32 v7, v7
	;; [unrolled: 1-line block ×5, first 2 shown]
	v_cvt_f32_f16_sdwa v37, v11 dst_sel:DWORD dst_unused:UNUSED_PAD src0_sel:WORD_1
	v_mfma_f32_16x16x16_f16 v[6:9], v[32:33], v[18:19], v[6:9]
	s_nop 7
	v_cvt_f16_f32_e32 v8, v8
	v_cvt_f16_f32_e32 v9, v9
	v_perm_b32 v32, v9, v8, s2
	ds_read_u16 v8, v158 offset:96
	ds_read_u16 v33, v158 offset:368
	;; [unrolled: 1-line block ×4, first 2 shown]
	s_waitcnt lgkmcnt(2)
	v_perm_b32 v8, v33, v8, s2
	s_waitcnt lgkmcnt(0)
	v_perm_b32 v9, v40, v9, s2
	s_nop 1
	v_mfma_f32_16x16x16_f16 v[8:11], v[8:9], v[26:27], v[36:39]
	ds_read_u16 v33, v158 offset:4448
	s_nop 1
	ds_read_u16 v36, v158 offset:4720
	ds_read_u16 v37, v158 offset:4992
	;; [unrolled: 1-line block ×3, first 2 shown]
	v_cvt_f32_f16_sdwa v39, v12 dst_sel:DWORD dst_unused:UNUSED_PAD src0_sel:WORD_1
	s_nop 0
	v_cvt_f16_f32_e32 v8, v8
	v_cvt_f16_f32_e32 v9, v9
	;; [unrolled: 1-line block ×4, first 2 shown]
	s_waitcnt lgkmcnt(0)
	v_perm_b32 v37, v38, v37, s2
	v_perm_b32 v36, v36, v33, s2
	v_cvt_f32_f16_e32 v8, v8
	v_cvt_f32_f16_e32 v9, v9
	v_cvt_f32_f16_e32 v10, v10
	v_cvt_f32_f16_e32 v11, v11
	s_nop 1
	v_mfma_f32_16x16x16_f16 v[8:11], v[36:37], v[24:25], v[8:11]
	ds_read_u16 v33, v158 offset:8800
	ds_read_u16 v36, v158 offset:9072
	;; [unrolled: 1-line block ×4, first 2 shown]
	s_nop 3
	v_cvt_f16_f32_e32 v8, v8
	v_cvt_f16_f32_e32 v9, v9
	;; [unrolled: 1-line block ×4, first 2 shown]
	s_waitcnt lgkmcnt(0)
	v_perm_b32 v37, v38, v37, s2
	v_perm_b32 v36, v36, v33, s2
	v_cvt_f32_f16_e32 v8, v8
	v_cvt_f32_f16_e32 v9, v9
	;; [unrolled: 1-line block ×4, first 2 shown]
	s_nop 1
	v_mfma_f32_16x16x16_f16 v[8:11], v[36:37], v[22:23], v[8:11]
	ds_read_u16 v33, v158 offset:13152
	ds_read_u16 v36, v158 offset:13424
	;; [unrolled: 1-line block ×4, first 2 shown]
	s_nop 3
	v_cvt_f16_f32_e32 v8, v8
	v_cvt_f16_f32_e32 v9, v9
	;; [unrolled: 1-line block ×4, first 2 shown]
	s_waitcnt lgkmcnt(0)
	v_perm_b32 v37, v38, v37, s2
	v_perm_b32 v36, v36, v33, s2
	v_cvt_f32_f16_e32 v8, v8
	v_cvt_f32_f16_e32 v9, v9
	;; [unrolled: 1-line block ×5, first 2 shown]
	s_nop 0
	v_mfma_f32_16x16x16_f16 v[8:11], v[36:37], v[18:19], v[8:11]
	v_cvt_f32_f16_e32 v36, v13
	v_cvt_f32_f16_sdwa v37, v13 dst_sel:DWORD dst_unused:UNUSED_PAD src0_sel:WORD_1
	s_nop 5
	v_cvt_f16_f32_e32 v10, v10
	v_cvt_f16_f32_e32 v11, v11
	v_perm_b32 v33, v11, v10, s2
	ds_read_u16 v10, v158 offset:128
	ds_read_u16 v40, v158 offset:400
	;; [unrolled: 1-line block ×4, first 2 shown]
	s_waitcnt lgkmcnt(2)
	v_perm_b32 v10, v40, v10, s2
	v_cvt_f32_f16_e32 v40, v14
	s_waitcnt lgkmcnt(0)
	v_perm_b32 v11, v41, v11, s2
	v_cvt_f32_f16_sdwa v41, v14 dst_sel:DWORD dst_unused:UNUSED_PAD src0_sel:WORD_1
	s_nop 0
	v_mfma_f32_16x16x16_f16 v[10:13], v[10:11], v[26:27], v[36:39]
	s_nop 2
	ds_read_u16 v36, v158 offset:4480
	ds_read_u16 v38, v158 offset:4752
	;; [unrolled: 1-line block ×4, first 2 shown]
	s_nop 0
	v_cvt_f16_f32_e32 v10, v10
	v_cvt_f16_f32_e32 v11, v11
	;; [unrolled: 1-line block ×4, first 2 shown]
	s_waitcnt lgkmcnt(0)
	v_perm_b32 v37, v39, v37, s2
	v_perm_b32 v36, v38, v36, s2
	v_cvt_f32_f16_e32 v10, v10
	v_cvt_f32_f16_e32 v11, v11
	;; [unrolled: 1-line block ×4, first 2 shown]
	s_nop 1
	v_mfma_f32_16x16x16_f16 v[10:13], v[36:37], v[24:25], v[10:13]
	ds_read_u16 v36, v158 offset:8832
	ds_read_u16 v38, v158 offset:9104
	;; [unrolled: 1-line block ×4, first 2 shown]
	s_nop 3
	v_cvt_f16_f32_e32 v10, v10
	v_cvt_f16_f32_e32 v11, v11
	;; [unrolled: 1-line block ×4, first 2 shown]
	s_waitcnt lgkmcnt(0)
	v_perm_b32 v37, v39, v37, s2
	v_perm_b32 v36, v38, v36, s2
	v_cvt_f32_f16_e32 v10, v10
	v_cvt_f32_f16_e32 v11, v11
	;; [unrolled: 1-line block ×4, first 2 shown]
	s_nop 1
	v_mfma_f32_16x16x16_f16 v[10:13], v[36:37], v[22:23], v[10:13]
	ds_read_u16 v36, v158 offset:13184
	ds_read_u16 v38, v158 offset:13456
	;; [unrolled: 1-line block ×4, first 2 shown]
	s_nop 3
	v_cvt_f16_f32_e32 v10, v10
	v_cvt_f16_f32_e32 v11, v11
	;; [unrolled: 1-line block ×4, first 2 shown]
	s_waitcnt lgkmcnt(0)
	v_perm_b32 v37, v39, v37, s2
	v_perm_b32 v36, v38, v36, s2
	v_cvt_f32_f16_e32 v10, v10
	v_cvt_f32_f16_e32 v11, v11
	;; [unrolled: 1-line block ×5, first 2 shown]
	v_cvt_f32_f16_sdwa v39, v15 dst_sel:DWORD dst_unused:UNUSED_PAD src0_sel:WORD_1
	v_mfma_f32_16x16x16_f16 v[10:13], v[36:37], v[18:19], v[10:13]
	s_nop 7
	v_cvt_f16_f32_e32 v12, v12
	v_cvt_f16_f32_e32 v13, v13
	v_perm_b32 v36, v13, v12, s2
	ds_read_u16 v12, v158 offset:160
	ds_read_u16 v37, v158 offset:432
	;; [unrolled: 1-line block ×4, first 2 shown]
	s_waitcnt lgkmcnt(2)
	v_perm_b32 v12, v37, v12, s2
	s_waitcnt lgkmcnt(0)
	v_perm_b32 v13, v42, v13, s2
	s_nop 1
	v_mfma_f32_16x16x16_f16 v[12:15], v[12:13], v[26:27], v[38:41]
	ds_read_u16 v37, v158 offset:4512
	s_nop 1
	ds_read_u16 v38, v158 offset:4784
	ds_read_u16 v39, v158 offset:5056
	;; [unrolled: 1-line block ×3, first 2 shown]
	v_cvt_f32_f16_sdwa v41, v16 dst_sel:DWORD dst_unused:UNUSED_PAD src0_sel:WORD_1
	s_nop 0
	v_cvt_f16_f32_e32 v12, v12
	v_cvt_f16_f32_e32 v13, v13
	;; [unrolled: 1-line block ×4, first 2 shown]
	s_waitcnt lgkmcnt(0)
	v_perm_b32 v39, v40, v39, s2
	v_perm_b32 v38, v38, v37, s2
	v_cvt_f32_f16_e32 v12, v12
	v_cvt_f32_f16_e32 v13, v13
	;; [unrolled: 1-line block ×4, first 2 shown]
	s_nop 1
	v_mfma_f32_16x16x16_f16 v[12:15], v[38:39], v[24:25], v[12:15]
	ds_read_u16 v37, v158 offset:8864
	ds_read_u16 v38, v158 offset:9136
	;; [unrolled: 1-line block ×4, first 2 shown]
	s_nop 3
	v_cvt_f16_f32_e32 v12, v12
	v_cvt_f16_f32_e32 v13, v13
	;; [unrolled: 1-line block ×4, first 2 shown]
	s_waitcnt lgkmcnt(0)
	v_perm_b32 v39, v40, v39, s2
	v_perm_b32 v38, v38, v37, s2
	v_cvt_f32_f16_e32 v12, v12
	v_cvt_f32_f16_e32 v13, v13
	;; [unrolled: 1-line block ×4, first 2 shown]
	s_nop 1
	v_mfma_f32_16x16x16_f16 v[12:15], v[38:39], v[22:23], v[12:15]
	ds_read_u16 v37, v158 offset:13216
	ds_read_u16 v38, v158 offset:13488
	;; [unrolled: 1-line block ×4, first 2 shown]
	s_nop 3
	v_cvt_f16_f32_e32 v12, v12
	v_cvt_f16_f32_e32 v13, v13
	;; [unrolled: 1-line block ×4, first 2 shown]
	s_waitcnt lgkmcnt(0)
	v_perm_b32 v39, v40, v39, s2
	v_perm_b32 v38, v38, v37, s2
	v_cvt_f32_f16_e32 v12, v12
	v_cvt_f32_f16_e32 v13, v13
	;; [unrolled: 1-line block ×5, first 2 shown]
	s_nop 0
	v_mfma_f32_16x16x16_f16 v[12:15], v[38:39], v[18:19], v[12:15]
	v_cvt_f32_f16_e32 v38, v17
	v_cvt_f32_f16_sdwa v39, v17 dst_sel:DWORD dst_unused:UNUSED_PAD src0_sel:WORD_1
	s_nop 5
	v_cvt_f16_f32_e32 v14, v14
	v_cvt_f16_f32_e32 v15, v15
	v_perm_b32 v37, v15, v14, s2
	ds_read_u16 v14, v158 offset:192
	ds_read_u16 v42, v158 offset:464
	;; [unrolled: 1-line block ×4, first 2 shown]
	s_waitcnt lgkmcnt(2)
	v_perm_b32 v14, v42, v14, s2
	v_cvt_f32_f16_e32 v42, v34
	s_waitcnt lgkmcnt(0)
	v_perm_b32 v15, v43, v15, s2
	v_cvt_f32_f16_sdwa v43, v34 dst_sel:DWORD dst_unused:UNUSED_PAD src0_sel:WORD_1
	s_nop 0
	v_mfma_f32_16x16x16_f16 v[14:17], v[14:15], v[26:27], v[38:41]
	s_nop 2
	ds_read_u16 v38, v158 offset:4544
	ds_read_u16 v40, v158 offset:4816
	;; [unrolled: 1-line block ×4, first 2 shown]
	s_nop 0
	v_cvt_f16_f32_e32 v14, v14
	v_cvt_f16_f32_e32 v15, v15
	v_cvt_f16_f32_e32 v16, v16
	v_cvt_f16_f32_e32 v17, v17
	s_waitcnt lgkmcnt(0)
	v_perm_b32 v39, v41, v39, s2
	v_perm_b32 v38, v40, v38, s2
	v_cvt_f32_f16_e32 v14, v14
	v_cvt_f32_f16_e32 v15, v15
	;; [unrolled: 1-line block ×4, first 2 shown]
	s_nop 1
	v_mfma_f32_16x16x16_f16 v[14:17], v[38:39], v[24:25], v[14:17]
	ds_read_u16 v38, v158 offset:8896
	ds_read_u16 v40, v158 offset:9168
	;; [unrolled: 1-line block ×4, first 2 shown]
	s_nop 3
	v_cvt_f16_f32_e32 v14, v14
	v_cvt_f16_f32_e32 v15, v15
	;; [unrolled: 1-line block ×4, first 2 shown]
	s_waitcnt lgkmcnt(0)
	v_perm_b32 v39, v41, v39, s2
	v_perm_b32 v38, v40, v38, s2
	v_cvt_f32_f16_e32 v14, v14
	v_cvt_f32_f16_e32 v15, v15
	;; [unrolled: 1-line block ×4, first 2 shown]
	s_nop 1
	v_mfma_f32_16x16x16_f16 v[14:17], v[38:39], v[22:23], v[14:17]
	ds_read_u16 v38, v158 offset:13248
	ds_read_u16 v40, v158 offset:13520
	;; [unrolled: 1-line block ×4, first 2 shown]
	s_nop 3
	v_cvt_f16_f32_e32 v14, v14
	v_cvt_f16_f32_e32 v15, v15
	;; [unrolled: 1-line block ×4, first 2 shown]
	s_waitcnt lgkmcnt(0)
	v_perm_b32 v39, v41, v39, s2
	v_perm_b32 v38, v40, v38, s2
	v_cvt_f32_f16_e32 v14, v14
	v_cvt_f32_f16_e32 v15, v15
	;; [unrolled: 1-line block ×5, first 2 shown]
	v_cvt_f32_f16_sdwa v41, v35 dst_sel:DWORD dst_unused:UNUSED_PAD src0_sel:WORD_1
	v_mfma_f32_16x16x16_f16 v[14:17], v[38:39], v[18:19], v[14:17]
	s_nop 7
	v_cvt_f16_f32_e32 v16, v16
	v_cvt_f16_f32_e32 v17, v17
	v_perm_b32 v38, v17, v16, s2
	ds_read_u16 v16, v158 offset:224
	ds_read_u16 v39, v158 offset:496
	;; [unrolled: 1-line block ×4, first 2 shown]
	s_waitcnt lgkmcnt(2)
	v_perm_b32 v16, v39, v16, s2
	s_waitcnt lgkmcnt(0)
	v_perm_b32 v17, v44, v17, s2
	ds_read_u16 v34, v158 offset:4576
	ds_read_u16 v35, v158 offset:4848
	;; [unrolled: 1-line block ×4, first 2 shown]
	v_mfma_f32_16x16x16_f16 v[40:43], v[16:17], v[26:27], v[40:43]
	s_nop 7
	v_cvt_f16_f32_e32 v16, v40
	v_cvt_f16_f32_e32 v17, v41
	;; [unrolled: 1-line block ×4, first 2 shown]
	v_cvt_f32_f16_e32 v40, v16
	v_cvt_f32_f16_e32 v41, v17
	s_waitcnt lgkmcnt(0)
	v_perm_b32 v17, v44, v39, s2
	v_perm_b32 v16, v35, v34, s2
	v_cvt_f32_f16_e32 v42, v26
	v_cvt_f32_f16_e32 v43, v27
	s_nop 1
	v_mfma_f32_16x16x16_f16 v[24:27], v[16:17], v[24:25], v[40:43]
	ds_read_u16 v34, v158 offset:8928
	ds_read_u16 v35, v158 offset:9200
	ds_read_u16 v39, v158 offset:9472
	ds_read_u16 v40, v159 offset:8928
	s_nop 3
	v_cvt_f16_f32_e32 v16, v24
	v_cvt_f16_f32_e32 v17, v25
	;; [unrolled: 1-line block ×4, first 2 shown]
	v_cvt_f32_f16_e32 v24, v16
	v_cvt_f32_f16_e32 v25, v17
	s_waitcnt lgkmcnt(0)
	v_perm_b32 v17, v40, v39, s2
	v_perm_b32 v16, v35, v34, s2
	v_cvt_f32_f16_e32 v26, v26
	v_cvt_f32_f16_e32 v27, v27
	s_nop 1
	v_mfma_f32_16x16x16_f16 v[22:25], v[16:17], v[22:23], v[24:27]
	ds_read_u16 v16, v158 offset:13280
	ds_read_u16 v17, v158 offset:13552
	s_nop 0
	ds_read_u16 v26, v158 offset:13824
	ds_read_u16 v27, v159 offset:13280
	s_waitcnt lgkmcnt(0)
	s_barrier
	s_nop 0
	v_cvt_f16_f32_e32 v22, v22
	v_cvt_f16_f32_e32 v23, v23
	;; [unrolled: 1-line block ×4, first 2 shown]
	v_perm_b32 v27, v27, v26, s2
	v_perm_b32 v26, v17, v16, s2
	v_cvt_f32_f16_e32 v22, v22
	v_cvt_f32_f16_e32 v23, v23
	;; [unrolled: 1-line block ×4, first 2 shown]
	s_nop 1
	v_mfma_f32_16x16x16_f16 v[16:19], v[26:27], v[18:19], v[22:25]
	s_nop 7
	v_cvt_f16_f32_e32 v18, v18
	v_cvt_f16_f32_e32 v19, v19
	v_perm_b32 v18, v19, v18, s2
	ds_bpermute_b32 v19, v28, v29
	s_waitcnt lgkmcnt(0)
	v_add_f32_e32 v19, v29, v19
	ds_bpermute_b32 v21, v21, v19
	s_waitcnt lgkmcnt(0)
	v_add_f32_e32 v21, v19, v21
	s_cbranch_vccnz .LBB25_214
; %bb.213:                              ;   in Loop: Header=BB25_9 Depth=1
	v_lshlrev_b32_e32 v19, 2, v76
	v_readfirstlane_b32 s4, v100
	v_readfirstlane_b32 s5, v101
	v_cvt_pk_f16_f32 v2, v2, v3
	v_cvt_pk_f16_f32 v3, v4, v5
	;; [unrolled: 1-line block ×3, first 2 shown]
	v_max_f32_e32 v6, v20, v20
	v_cvt_pk_f16_f32 v22, v10, v11
	global_load_dword v19, v19, s[4:5]
	v_cvt_pk_f16_f32 v5, v8, v9
	v_cvt_pk_f16_f32 v12, v12, v13
	;; [unrolled: 1-line block ×4, first 2 shown]
	s_waitcnt vmcnt(0)
	v_max_f32_e32 v7, v19, v19
	v_max_f32_e32 v10, v6, v7
	v_sub_f32_e32 v6, v20, v10
	v_sub_f32_e32 v7, v19, v10
	v_mul_f32_e32 v8, 0x3fb8aa3b, v6
	v_mul_f32_e32 v9, 0x3fb8aa3b, v7
	v_fma_f32 v11, v6, s47, -v8
	v_rndne_f32_e32 v13, v8
	v_fma_f32 v19, v7, s47, -v9
	v_rndne_f32_e32 v20, v9
	v_fmac_f32_e32 v11, 0x32a5705f, v6
	v_sub_f32_e32 v8, v8, v13
	v_fmac_f32_e32 v19, 0x32a5705f, v7
	v_sub_f32_e32 v9, v9, v20
	v_add_f32_e32 v8, v8, v11
	v_cvt_i32_f32_e32 v13, v13
	v_add_f32_e32 v9, v9, v19
	v_exp_f32_e32 v8, v8
	v_cvt_i32_f32_e32 v20, v20
	v_exp_f32_e32 v9, v9
	v_cmp_ngt_f32_e32 vcc, s0, v6
	v_ldexp_f32 v8, v8, v13
	v_ldexp_f32 v9, v9, v20
	v_cndmask_b32_e32 v8, 0, v8, vcc
	v_cmp_ngt_f32_e32 vcc, s0, v7
	s_nop 1
	v_cndmask_b32_e32 v9, 0, v9, vcc
	v_cmp_nlt_f32_e32 vcc, s1, v6
	s_nop 1
	v_cndmask_b32_e32 v8, v236, v8, vcc
	v_cmp_le_f32_e32 vcc, s63, v6
	s_nop 1
	v_cndmask_b32_e32 v6, 0, v8, vcc
	v_cvt_f16_f32_e32 v8, v6
	v_cmp_nlt_f32_e32 vcc, s1, v7
	v_mul_u32_u24_e32 v13, 0x10001, v8
	s_nop 0
	v_cndmask_b32_e32 v11, v236, v9, vcc
	v_fmac_f32_e32 v11, v21, v6
	v_pk_mul_f16 v9, v2, v13
	v_pk_mul_f16 v30, v30, v13
	;; [unrolled: 1-line block ×16, first 2 shown]
	v_mov_b64_e32 v[20:21], v[10:11]
	s_branch .LBB25_215
.LBB25_214:                             ;   in Loop: Header=BB25_9 Depth=1
	v_cvt_f16_f32_e32 v19, v2
	v_cvt_f16_f32_e32 v22, v3
	;; [unrolled: 1-line block ×16, first 2 shown]
	v_perm_b32 v2, v9, v2, s2
	v_perm_b32 v3, v10, v3, s2
	v_perm_b32 v4, v12, v4, s2
	v_perm_b32 v5, v11, v5, s2
	v_perm_b32 v6, v8, v6, s2
	v_perm_b32 v7, v7, v25, s2
	v_perm_b32 v8, v24, v23, s2
	v_perm_b32 v9, v22, v19, s2
.LBB25_215:                             ;   in Loop: Header=BB25_9 Depth=1
	s_barrier
	s_mov_b64 s[4:5], exec
	v_readlane_b32 s6, v255, 20
	v_readlane_b32 s7, v255, 21
	s_and_b64 s[6:7], s[4:5], s[6:7]
	s_mov_b64 exec, s[6:7]
	s_cbranch_execz .LBB25_217
; %bb.216:                              ;   in Loop: Header=BB25_9 Depth=1
	global_store_dwordx2 v[68:69], v[20:21], off
.LBB25_217:                             ;   in Loop: Header=BB25_9 Depth=1
	s_or_b64 exec, exec, s[4:5]
	v_add_u32_e32 v10, v77, v163
	v_cmp_gt_i32_e64 s[4:5], s24, v237
	v_cmp_gt_i32_e64 s[6:7], s3, v135
	ds_write2_b32 v10, v9, v30 offset1:1
	ds_write2_b32 v10, v8, v31 offset0:8 offset1:9
	ds_write2_b32 v10, v7, v32 offset0:16 offset1:17
	;; [unrolled: 1-line block ×7, first 2 shown]
	v_cmp_le_i32_e32 vcc, s3, v135
	s_and_b64 s[6:7], s[4:5], s[6:7]
	v_mov_b32_e32 v2, 50
	s_waitcnt lgkmcnt(0)
	s_barrier
	s_and_saveexec_b64 s[4:5], s[6:7]
	s_cbranch_execz .LBB25_219
; %bb.218:                              ;   in Loop: Header=BB25_9 Depth=1
	v_add_u32_e32 v2, v173, v218
	ds_read_b32 v5, v2
	v_mad_u64_u32 v[2:3], s[6:7], v237, s25, v[46:47]
	v_lshl_add_u32 v2, v2, 6, v48
	v_ashrrev_i32_e32 v3, 31, v2
	s_waitcnt lgkmcnt(0)
	v_cvt_f32_f16_e32 v4, v5
	v_cvt_f32_f16_sdwa v5, v5 dst_sel:DWORD dst_unused:UNUSED_PAD src0_sel:WORD_1
	v_lshl_add_u64 v[2:3], v[2:3], 3, v[98:99]
	v_pk_add_f32 v[4:5], v[4:5], 0 op_sel_hi:[1,0]
	global_store_dwordx2 v[2:3], v[4:5], off
	v_mov_b32_e32 v2, 0
.LBB25_219:                             ;   in Loop: Header=BB25_9 Depth=1
	s_or_b64 exec, exec, s[4:5]
	v_cmp_gt_i32_e64 s[4:5], 50, v2
	s_mov_b64 s[34:35], -1
	s_and_saveexec_b64 s[6:7], s[4:5]
; %bb.220:                              ;   in Loop: Header=BB25_9 Depth=1
	v_cmp_eq_u32_e64 s[4:5], 0, v2
	s_orn2_b64 s[34:35], s[4:5], exec
; %bb.221:                              ;   in Loop: Header=BB25_9 Depth=1
	s_or_b64 exec, exec, s[6:7]
	s_mov_b64 s[56:57], 0
	s_mov_b64 s[6:7], 0
                                        ; implicit-def: $vgpr2_vgpr3
	s_and_saveexec_b64 s[70:71], s[34:35]
	s_cbranch_execz .LBB25_309
; %bb.222:                              ;   in Loop: Header=BB25_9 Depth=1
	v_cmp_gt_i32_e64 s[4:5], s24, v249
	s_xor_b64 s[72:73], vcc, -1
	s_and_b64 s[6:7], s[4:5], s[72:73]
	v_mov_b32_e32 v2, 50
	s_and_saveexec_b64 s[4:5], s[6:7]
	s_cbranch_execz .LBB25_224
; %bb.223:                              ;   in Loop: Header=BB25_9 Depth=1
	v_add_u32_e32 v2, v173, v164
	ds_read_b32 v5, v2
	v_mad_u64_u32 v[2:3], s[6:7], v249, s25, v[46:47]
	v_lshl_add_u32 v2, v2, 6, v48
	v_ashrrev_i32_e32 v3, 31, v2
	s_waitcnt lgkmcnt(0)
	v_cvt_f32_f16_e32 v4, v5
	v_cvt_f32_f16_sdwa v5, v5 dst_sel:DWORD dst_unused:UNUSED_PAD src0_sel:WORD_1
	v_lshl_add_u64 v[2:3], v[2:3], 3, v[98:99]
	v_pk_add_f32 v[4:5], v[4:5], 0 op_sel_hi:[1,0]
	global_store_dwordx2 v[2:3], v[4:5], off
	v_mov_b32_e32 v2, 0
.LBB25_224:                             ;   in Loop: Header=BB25_9 Depth=1
	s_or_b64 exec, exec, s[4:5]
	v_cmp_gt_i32_e32 vcc, 50, v2
	s_mov_b64 s[34:35], -1
	s_and_saveexec_b64 s[4:5], vcc
; %bb.225:                              ;   in Loop: Header=BB25_9 Depth=1
	v_cmp_eq_u32_e32 vcc, 0, v2
	s_orn2_b64 s[34:35], vcc, exec
; %bb.226:                              ;   in Loop: Header=BB25_9 Depth=1
	s_or_b64 exec, exec, s[4:5]
	s_mov_b64 s[6:7], 0
                                        ; implicit-def: $vgpr2_vgpr3
	s_and_saveexec_b64 s[4:5], s[34:35]
	s_cbranch_execz .LBB25_308
; %bb.227:                              ;   in Loop: Header=BB25_9 Depth=1
	v_cmp_gt_i32_e32 vcc, s24, v248
	s_and_b64 s[34:35], vcc, s[72:73]
	v_mov_b32_e32 v2, 50
	s_and_saveexec_b64 s[6:7], s[34:35]
	s_cbranch_execz .LBB25_229
; %bb.228:                              ;   in Loop: Header=BB25_9 Depth=1
	v_add_u32_e32 v2, v173, v165
	ds_read_b32 v5, v2
	v_mad_u64_u32 v[2:3], s[34:35], v248, s25, v[46:47]
	v_lshl_add_u32 v2, v2, 6, v48
	v_ashrrev_i32_e32 v3, 31, v2
	s_waitcnt lgkmcnt(0)
	v_cvt_f32_f16_e32 v4, v5
	v_cvt_f32_f16_sdwa v5, v5 dst_sel:DWORD dst_unused:UNUSED_PAD src0_sel:WORD_1
	v_lshl_add_u64 v[2:3], v[2:3], 3, v[98:99]
	v_pk_add_f32 v[4:5], v[4:5], 0 op_sel_hi:[1,0]
	global_store_dwordx2 v[2:3], v[4:5], off
	v_mov_b32_e32 v2, 0
.LBB25_229:                             ;   in Loop: Header=BB25_9 Depth=1
	s_or_b64 exec, exec, s[6:7]
	v_cmp_gt_i32_e32 vcc, 50, v2
	s_mov_b64 s[74:75], -1
	s_and_saveexec_b64 s[6:7], vcc
; %bb.230:                              ;   in Loop: Header=BB25_9 Depth=1
	v_cmp_eq_u32_e32 vcc, 0, v2
	s_orn2_b64 s[74:75], vcc, exec
; %bb.231:                              ;   in Loop: Header=BB25_9 Depth=1
	s_or_b64 exec, exec, s[6:7]
	s_mov_b64 s[34:35], 0
                                        ; implicit-def: $vgpr2_vgpr3
	s_and_saveexec_b64 s[6:7], s[74:75]
	s_cbranch_execz .LBB25_307
; %bb.232:                              ;   in Loop: Header=BB25_9 Depth=1
	v_cmp_gt_i32_e32 vcc, s24, v247
	s_and_b64 s[34:35], vcc, s[72:73]
	;; [unrolled: 33-line block ×3, first 2 shown]
	v_mov_b32_e32 v2, 50
	s_and_saveexec_b64 s[76:77], s[34:35]
	s_cbranch_execz .LBB25_239
; %bb.238:                              ;   in Loop: Header=BB25_9 Depth=1
	ds_read_b32 v5, v204
	v_mad_u64_u32 v[2:3], s[34:35], v246, s25, v[46:47]
	v_lshl_add_u32 v2, v2, 6, v48
	v_ashrrev_i32_e32 v3, 31, v2
	s_waitcnt lgkmcnt(0)
	v_cvt_f32_f16_e32 v4, v5
	v_cvt_f32_f16_sdwa v5, v5 dst_sel:DWORD dst_unused:UNUSED_PAD src0_sel:WORD_1
	v_lshl_add_u64 v[2:3], v[2:3], 3, v[98:99]
	v_pk_add_f32 v[4:5], v[4:5], 0 op_sel_hi:[1,0]
	global_store_dwordx2 v[2:3], v[4:5], off
	v_mov_b32_e32 v2, 0
.LBB25_239:                             ;   in Loop: Header=BB25_9 Depth=1
	s_or_b64 exec, exec, s[76:77]
	v_cmp_gt_i32_e32 vcc, 50, v2
	s_mov_b64 s[78:79], -1
	s_and_saveexec_b64 s[34:35], vcc
; %bb.240:                              ;   in Loop: Header=BB25_9 Depth=1
	v_cmp_eq_u32_e32 vcc, 0, v2
	s_orn2_b64 s[78:79], vcc, exec
; %bb.241:                              ;   in Loop: Header=BB25_9 Depth=1
	s_or_b64 exec, exec, s[34:35]
	s_mov_b64 s[34:35], 0
                                        ; implicit-def: $vgpr2_vgpr3
	s_and_saveexec_b64 s[76:77], s[78:79]
	s_cbranch_execz .LBB25_305
; %bb.242:                              ;   in Loop: Header=BB25_9 Depth=1
	v_cmp_gt_i32_e32 vcc, s24, v245
	s_and_b64 s[34:35], vcc, s[72:73]
	v_mov_b32_e32 v2, 50
	s_and_saveexec_b64 s[78:79], s[34:35]
	s_cbranch_execz .LBB25_244
; %bb.243:                              ;   in Loop: Header=BB25_9 Depth=1
	v_add_u32_e32 v2, v173, v166
	ds_read_b32 v5, v2 offset:2176
	v_mad_u64_u32 v[2:3], s[34:35], v245, s25, v[46:47]
	v_lshl_add_u32 v2, v2, 6, v48
	v_ashrrev_i32_e32 v3, 31, v2
	s_waitcnt lgkmcnt(0)
	v_cvt_f32_f16_e32 v4, v5
	v_cvt_f32_f16_sdwa v5, v5 dst_sel:DWORD dst_unused:UNUSED_PAD src0_sel:WORD_1
	v_lshl_add_u64 v[2:3], v[2:3], 3, v[98:99]
	v_pk_add_f32 v[4:5], v[4:5], 0 op_sel_hi:[1,0]
	global_store_dwordx2 v[2:3], v[4:5], off
	v_mov_b32_e32 v2, 0
.LBB25_244:                             ;   in Loop: Header=BB25_9 Depth=1
	s_or_b64 exec, exec, s[78:79]
	v_cmp_gt_i32_e32 vcc, 50, v2
	s_mov_b64 s[80:81], -1
	s_and_saveexec_b64 s[34:35], vcc
; %bb.245:                              ;   in Loop: Header=BB25_9 Depth=1
	v_cmp_eq_u32_e32 vcc, 0, v2
	s_orn2_b64 s[80:81], vcc, exec
; %bb.246:                              ;   in Loop: Header=BB25_9 Depth=1
	s_or_b64 exec, exec, s[34:35]
	s_mov_b64 s[34:35], 0
                                        ; implicit-def: $vgpr2_vgpr3
	s_and_saveexec_b64 s[78:79], s[80:81]
	s_cbranch_execz .LBB25_304
; %bb.247:                              ;   in Loop: Header=BB25_9 Depth=1
	v_cmp_gt_i32_e32 vcc, s24, v244
	s_and_b64 s[34:35], vcc, s[72:73]
	v_mov_b32_e32 v2, 50
	s_and_saveexec_b64 s[80:81], s[34:35]
	s_cbranch_execz .LBB25_249
; %bb.248:                              ;   in Loop: Header=BB25_9 Depth=1
	v_add_u32_e32 v2, v173, v166
	ds_read_b32 v5, v2 offset:3264
	v_mad_u64_u32 v[2:3], s[34:35], v244, s25, v[46:47]
	v_lshl_add_u32 v2, v2, 6, v48
	v_ashrrev_i32_e32 v3, 31, v2
	s_waitcnt lgkmcnt(0)
	v_cvt_f32_f16_e32 v4, v5
	v_cvt_f32_f16_sdwa v5, v5 dst_sel:DWORD dst_unused:UNUSED_PAD src0_sel:WORD_1
	v_lshl_add_u64 v[2:3], v[2:3], 3, v[98:99]
	v_pk_add_f32 v[4:5], v[4:5], 0 op_sel_hi:[1,0]
	global_store_dwordx2 v[2:3], v[4:5], off
	v_mov_b32_e32 v2, 0
.LBB25_249:                             ;   in Loop: Header=BB25_9 Depth=1
	;; [unrolled: 33-line block ×3, first 2 shown]
	s_or_b64 exec, exec, s[82:83]
	v_cmp_gt_i32_e32 vcc, 50, v2
	s_mov_b64 s[84:85], -1
	s_and_saveexec_b64 s[34:35], vcc
; %bb.255:                              ;   in Loop: Header=BB25_9 Depth=1
	v_cmp_eq_u32_e32 vcc, 0, v2
	s_orn2_b64 s[84:85], vcc, exec
; %bb.256:                              ;   in Loop: Header=BB25_9 Depth=1
	s_or_b64 exec, exec, s[34:35]
	s_mov_b64 s[34:35], 0
                                        ; implicit-def: $vgpr2_vgpr3
	s_and_saveexec_b64 s[82:83], s[84:85]
	s_cbranch_execz .LBB25_302
; %bb.257:                              ;   in Loop: Header=BB25_9 Depth=1
	v_cmp_gt_i32_e32 vcc, s24, v242
	s_and_b64 s[34:35], vcc, s[72:73]
	v_mov_b32_e32 v2, 50
	s_and_saveexec_b64 s[84:85], s[34:35]
	s_cbranch_execz .LBB25_259
; %bb.258:                              ;   in Loop: Header=BB25_9 Depth=1
	ds_read_b32 v5, v205
	v_mad_u64_u32 v[2:3], s[34:35], v242, s25, v[46:47]
	v_lshl_add_u32 v2, v2, 6, v48
	v_ashrrev_i32_e32 v3, 31, v2
	s_waitcnt lgkmcnt(0)
	v_cvt_f32_f16_e32 v4, v5
	v_cvt_f32_f16_sdwa v5, v5 dst_sel:DWORD dst_unused:UNUSED_PAD src0_sel:WORD_1
	v_lshl_add_u64 v[2:3], v[2:3], 3, v[98:99]
	v_pk_add_f32 v[4:5], v[4:5], 0 op_sel_hi:[1,0]
	global_store_dwordx2 v[2:3], v[4:5], off
	v_mov_b32_e32 v2, 0
.LBB25_259:                             ;   in Loop: Header=BB25_9 Depth=1
	s_or_b64 exec, exec, s[84:85]
	v_cmp_gt_i32_e32 vcc, 50, v2
	s_mov_b64 s[86:87], -1
	s_and_saveexec_b64 s[34:35], vcc
; %bb.260:                              ;   in Loop: Header=BB25_9 Depth=1
	v_cmp_eq_u32_e32 vcc, 0, v2
	s_orn2_b64 s[86:87], vcc, exec
; %bb.261:                              ;   in Loop: Header=BB25_9 Depth=1
	s_or_b64 exec, exec, s[34:35]
	s_mov_b64 s[34:35], 0
                                        ; implicit-def: $vgpr2_vgpr3
	s_and_saveexec_b64 s[84:85], s[86:87]
	s_cbranch_execz .LBB25_301
; %bb.262:                              ;   in Loop: Header=BB25_9 Depth=1
	v_cmp_gt_i32_e32 vcc, s24, v241
	s_and_b64 s[34:35], vcc, s[72:73]
	v_mov_b32_e32 v2, 50
	s_and_saveexec_b64 s[86:87], s[34:35]
	s_cbranch_execz .LBB25_264
; %bb.263:                              ;   in Loop: Header=BB25_9 Depth=1
	v_add_u32_e32 v2, v173, v166
	ds_read_b32 v5, v2 offset:6528
	v_mad_u64_u32 v[2:3], s[34:35], v241, s25, v[46:47]
	v_lshl_add_u32 v2, v2, 6, v48
	v_ashrrev_i32_e32 v3, 31, v2
	s_waitcnt lgkmcnt(0)
	v_cvt_f32_f16_e32 v4, v5
	v_cvt_f32_f16_sdwa v5, v5 dst_sel:DWORD dst_unused:UNUSED_PAD src0_sel:WORD_1
	v_lshl_add_u64 v[2:3], v[2:3], 3, v[98:99]
	v_pk_add_f32 v[4:5], v[4:5], 0 op_sel_hi:[1,0]
	global_store_dwordx2 v[2:3], v[4:5], off
	v_mov_b32_e32 v2, 0
.LBB25_264:                             ;   in Loop: Header=BB25_9 Depth=1
	s_or_b64 exec, exec, s[86:87]
	v_cmp_gt_i32_e32 vcc, 50, v2
	s_mov_b64 s[88:89], -1
	s_and_saveexec_b64 s[34:35], vcc
; %bb.265:                              ;   in Loop: Header=BB25_9 Depth=1
	v_cmp_eq_u32_e32 vcc, 0, v2
	s_orn2_b64 s[88:89], vcc, exec
; %bb.266:                              ;   in Loop: Header=BB25_9 Depth=1
	s_or_b64 exec, exec, s[34:35]
	s_mov_b64 s[34:35], 0
                                        ; implicit-def: $vgpr2_vgpr3
	s_and_saveexec_b64 s[86:87], s[88:89]
	s_cbranch_execz .LBB25_300
; %bb.267:                              ;   in Loop: Header=BB25_9 Depth=1
	v_cmp_gt_i32_e32 vcc, s24, v240
	s_and_b64 s[34:35], vcc, s[72:73]
	v_mov_b32_e32 v2, 50
	s_and_saveexec_b64 s[88:89], s[34:35]
	s_cbranch_execz .LBB25_269
; %bb.268:                              ;   in Loop: Header=BB25_9 Depth=1
	v_add_u32_e32 v2, v173, v166
	ds_read_b32 v5, v2 offset:7616
	v_mad_u64_u32 v[2:3], s[34:35], v240, s25, v[46:47]
	v_lshl_add_u32 v2, v2, 6, v48
	v_ashrrev_i32_e32 v3, 31, v2
	s_waitcnt lgkmcnt(0)
	v_cvt_f32_f16_e32 v4, v5
	v_cvt_f32_f16_sdwa v5, v5 dst_sel:DWORD dst_unused:UNUSED_PAD src0_sel:WORD_1
	v_lshl_add_u64 v[2:3], v[2:3], 3, v[98:99]
	v_pk_add_f32 v[4:5], v[4:5], 0 op_sel_hi:[1,0]
	global_store_dwordx2 v[2:3], v[4:5], off
	v_mov_b32_e32 v2, 0
.LBB25_269:                             ;   in Loop: Header=BB25_9 Depth=1
	;; [unrolled: 33-line block ×3, first 2 shown]
	s_or_b64 exec, exec, s[90:91]
	v_cmp_gt_i32_e32 vcc, 50, v2
	s_mov_b64 s[92:93], -1
	s_and_saveexec_b64 s[34:35], vcc
; %bb.275:                              ;   in Loop: Header=BB25_9 Depth=1
	v_cmp_eq_u32_e32 vcc, 0, v2
	s_orn2_b64 s[92:93], vcc, exec
; %bb.276:                              ;   in Loop: Header=BB25_9 Depth=1
	s_or_b64 exec, exec, s[34:35]
	s_mov_b64 s[34:35], 0
                                        ; implicit-def: $vgpr2_vgpr3
	s_and_saveexec_b64 s[90:91], s[92:93]
	s_cbranch_execz .LBB25_298
; %bb.277:                              ;   in Loop: Header=BB25_9 Depth=1
	v_cmp_gt_i32_e32 vcc, s24, v238
	s_and_b64 s[34:35], vcc, s[72:73]
	v_mov_b32_e32 v2, 50
	s_and_saveexec_b64 s[92:93], s[34:35]
	s_cbranch_execz .LBB25_279
; %bb.278:                              ;   in Loop: Header=BB25_9 Depth=1
	scratch_load_dword v2, off, off offset:12 ; 4-byte Folded Reload
	s_waitcnt vmcnt(0)
	ds_read_b32 v5, v2
	v_mad_u64_u32 v[2:3], s[34:35], v238, s25, v[46:47]
	v_lshl_add_u32 v2, v2, 6, v48
	v_ashrrev_i32_e32 v3, 31, v2
	s_waitcnt lgkmcnt(0)
	v_cvt_f32_f16_e32 v4, v5
	v_cvt_f32_f16_sdwa v5, v5 dst_sel:DWORD dst_unused:UNUSED_PAD src0_sel:WORD_1
	v_lshl_add_u64 v[2:3], v[2:3], 3, v[98:99]
	v_pk_add_f32 v[4:5], v[4:5], 0 op_sel_hi:[1,0]
	global_store_dwordx2 v[2:3], v[4:5], off
	v_mov_b32_e32 v2, 0
.LBB25_279:                             ;   in Loop: Header=BB25_9 Depth=1
	s_or_b64 exec, exec, s[92:93]
	v_cmp_gt_i32_e32 vcc, 50, v2
	s_mov_b64 s[94:95], -1
	s_and_saveexec_b64 s[34:35], vcc
; %bb.280:                              ;   in Loop: Header=BB25_9 Depth=1
	v_cmp_eq_u32_e32 vcc, 0, v2
	s_orn2_b64 s[94:95], vcc, exec
; %bb.281:                              ;   in Loop: Header=BB25_9 Depth=1
	s_or_b64 exec, exec, s[34:35]
	s_mov_b64 s[34:35], 0
                                        ; implicit-def: $vgpr2_vgpr3
	s_and_saveexec_b64 s[92:93], s[94:95]
	s_cbranch_execz .LBB25_297
; %bb.282:                              ;   in Loop: Header=BB25_9 Depth=1
	v_cmp_gt_i32_e32 vcc, s24, v137
	s_and_b64 s[34:35], vcc, s[72:73]
	v_mov_b32_e32 v2, 50
	s_and_saveexec_b64 s[94:95], s[34:35]
	s_cbranch_execz .LBB25_284
; %bb.283:                              ;   in Loop: Header=BB25_9 Depth=1
	v_add_u32_e32 v2, v173, v166
	ds_read_b32 v5, v2 offset:10880
	v_mad_u64_u32 v[2:3], s[34:35], v137, s25, v[46:47]
	v_lshl_add_u32 v2, v2, 6, v48
	v_ashrrev_i32_e32 v3, 31, v2
	s_waitcnt lgkmcnt(0)
	v_cvt_f32_f16_e32 v4, v5
	v_cvt_f32_f16_sdwa v5, v5 dst_sel:DWORD dst_unused:UNUSED_PAD src0_sel:WORD_1
	v_lshl_add_u64 v[2:3], v[2:3], 3, v[98:99]
	v_pk_add_f32 v[4:5], v[4:5], 0 op_sel_hi:[1,0]
	global_store_dwordx2 v[2:3], v[4:5], off
	v_mov_b32_e32 v2, 0
.LBB25_284:                             ;   in Loop: Header=BB25_9 Depth=1
	s_or_b64 exec, exec, s[94:95]
	v_cmp_gt_i32_e32 vcc, 50, v2
	s_mov_b64 s[96:97], -1
	s_and_saveexec_b64 s[34:35], vcc
; %bb.285:                              ;   in Loop: Header=BB25_9 Depth=1
	v_cmp_eq_u32_e32 vcc, 0, v2
	s_orn2_b64 s[96:97], vcc, exec
; %bb.286:                              ;   in Loop: Header=BB25_9 Depth=1
	s_or_b64 exec, exec, s[34:35]
	s_mov_b64 s[34:35], 0
                                        ; implicit-def: $vgpr2_vgpr3
	s_and_saveexec_b64 s[94:95], s[96:97]
	s_cbranch_execz .LBB25_296
; %bb.287:                              ;   in Loop: Header=BB25_9 Depth=1
	v_cmp_gt_i32_e32 vcc, s24, v136
	s_and_b64 s[34:35], vcc, s[72:73]
	v_mov_b32_e32 v2, 50
	s_and_saveexec_b64 s[96:97], s[34:35]
	s_cbranch_execz .LBB25_289
; %bb.288:                              ;   in Loop: Header=BB25_9 Depth=1
	v_add_u32_e32 v2, v173, v166
	ds_read_b32 v5, v2 offset:11968
	v_mad_u64_u32 v[2:3], s[34:35], v136, s25, v[46:47]
	v_lshl_add_u32 v2, v2, 6, v48
	v_ashrrev_i32_e32 v3, 31, v2
	s_waitcnt lgkmcnt(0)
	v_cvt_f32_f16_e32 v4, v5
	v_cvt_f32_f16_sdwa v5, v5 dst_sel:DWORD dst_unused:UNUSED_PAD src0_sel:WORD_1
	v_lshl_add_u64 v[2:3], v[2:3], 3, v[98:99]
	v_pk_add_f32 v[4:5], v[4:5], 0 op_sel_hi:[1,0]
	global_store_dwordx2 v[2:3], v[4:5], off
	v_mov_b32_e32 v2, 0
.LBB25_289:                             ;   in Loop: Header=BB25_9 Depth=1
	s_or_b64 exec, exec, s[96:97]
	v_cmp_gt_i32_e32 vcc, 50, v2
	s_mov_b64 s[98:99], -1
	s_and_saveexec_b64 s[34:35], vcc
; %bb.290:                              ;   in Loop: Header=BB25_9 Depth=1
	v_cmp_eq_u32_e32 vcc, 0, v2
	s_orn2_b64 s[98:99], vcc, exec
; %bb.291:                              ;   in Loop: Header=BB25_9 Depth=1
	s_or_b64 exec, exec, s[34:35]
	s_mov_b64 s[34:35], 0
                                        ; implicit-def: $vgpr2_vgpr3
	s_and_saveexec_b64 s[96:97], s[98:99]
	s_cbranch_execz .LBB25_295
; %bb.292:                              ;   in Loop: Header=BB25_9 Depth=1
	v_cmp_gt_i32_e32 vcc, s24, v79
	s_and_b64 s[72:73], vcc, s[72:73]
                                        ; implicit-def: $vgpr2_vgpr3
	s_and_saveexec_b64 s[98:99], s[72:73]
	s_xor_b64 s[72:73], exec, s[98:99]
	s_cbranch_execz .LBB25_294
; %bb.293:                              ;   in Loop: Header=BB25_9 Depth=1
	v_add_u32_e32 v2, v173, v166
	ds_read_b32 v3, v2 offset:13056
	s_mov_b64 s[34:35], exec
	s_waitcnt lgkmcnt(0)
	v_cvt_f32_f16_e32 v2, v3
	v_cvt_f32_f16_sdwa v3, v3 dst_sel:DWORD dst_unused:UNUSED_PAD src0_sel:WORD_1
	v_pk_add_f32 v[2:3], v[2:3], 0 op_sel_hi:[1,0]
.LBB25_294:                             ;   in Loop: Header=BB25_9 Depth=1
	s_or_b64 exec, exec, s[72:73]
	s_and_b64 s[34:35], s[34:35], exec
.LBB25_295:                             ;   in Loop: Header=BB25_9 Depth=1
	s_or_b64 exec, exec, s[96:97]
	s_and_b64 s[34:35], s[34:35], exec
.LBB25_296:                             ;   in Loop: Header=BB25_9 Depth=1
	s_or_b64 exec, exec, s[94:95]
	s_and_b64 s[34:35], s[34:35], exec
.LBB25_297:                             ;   in Loop: Header=BB25_9 Depth=1
	s_or_b64 exec, exec, s[92:93]
	s_and_b64 s[34:35], s[34:35], exec
.LBB25_298:                             ;   in Loop: Header=BB25_9 Depth=1
	s_or_b64 exec, exec, s[90:91]
	s_and_b64 s[34:35], s[34:35], exec
.LBB25_299:                             ;   in Loop: Header=BB25_9 Depth=1
	s_or_b64 exec, exec, s[88:89]
	s_and_b64 s[34:35], s[34:35], exec
.LBB25_300:                             ;   in Loop: Header=BB25_9 Depth=1
	s_or_b64 exec, exec, s[86:87]
	s_and_b64 s[34:35], s[34:35], exec
.LBB25_301:                             ;   in Loop: Header=BB25_9 Depth=1
	s_or_b64 exec, exec, s[84:85]
	s_and_b64 s[34:35], s[34:35], exec
.LBB25_302:                             ;   in Loop: Header=BB25_9 Depth=1
	s_or_b64 exec, exec, s[82:83]
	s_and_b64 s[34:35], s[34:35], exec
.LBB25_303:                             ;   in Loop: Header=BB25_9 Depth=1
	s_or_b64 exec, exec, s[80:81]
	s_and_b64 s[34:35], s[34:35], exec
.LBB25_304:                             ;   in Loop: Header=BB25_9 Depth=1
	s_or_b64 exec, exec, s[78:79]
	s_and_b64 s[34:35], s[34:35], exec
.LBB25_305:                             ;   in Loop: Header=BB25_9 Depth=1
	s_or_b64 exec, exec, s[76:77]
	s_and_b64 s[34:35], s[34:35], exec
.LBB25_306:                             ;   in Loop: Header=BB25_9 Depth=1
	s_or_b64 exec, exec, s[74:75]
	s_and_b64 s[34:35], s[34:35], exec
.LBB25_307:                             ;   in Loop: Header=BB25_9 Depth=1
	s_or_b64 exec, exec, s[6:7]
	s_and_b64 s[6:7], s[34:35], exec
.LBB25_308:                             ;   in Loop: Header=BB25_9 Depth=1
	s_or_b64 exec, exec, s[4:5]
	s_and_b64 s[6:7], s[6:7], exec
.LBB25_309:                             ;   in Loop: Header=BB25_9 Depth=1
	s_or_b64 exec, exec, s[70:71]
	s_and_b64 vcc, exec, s[56:57]
	s_cbranch_vccz .LBB25_608
.LBB25_310:                             ;   in Loop: Header=BB25_9 Depth=1
	v_cmp_gt_i32_e64 s[4:5], s24, v237
	v_cmp_gt_i32_e32 vcc, s3, v135
	s_and_b64 s[98:99], s[4:5], vcc
	s_xor_b64 s[4:5], s[98:99], -1
	s_and_saveexec_b64 s[34:35], s[4:5]
	s_xor_b64 s[4:5], exec, s[34:35]
; %bb.311:                              ;   in Loop: Header=BB25_9 Depth=1
	v_add_u32_e32 v2, v173, v218
	ds_write_b32 v2, v51
; %bb.312:                              ;   in Loop: Header=BB25_9 Depth=1
	s_andn2_saveexec_b64 s[4:5], s[4:5]
	s_cbranch_execz .LBB25_314
; %bb.313:                              ;   in Loop: Header=BB25_9 Depth=1
	v_mad_u64_u32 v[2:3], s[34:35], v237, s51, v[78:79]
	v_ashrrev_i32_e32 v3, 31, v2
	v_lshl_add_u64 v[2:3], v[2:3], 3, v[118:119]
	global_load_dwordx2 v[2:3], v[2:3], off
	s_waitcnt vmcnt(0)
	v_cvt_pk_f16_f32 v2, v2, v3
	v_pk_mul_f16 v2, v2, v208
	v_add_u32_e32 v3, v173, v218
	ds_write_b32 v3, v2
.LBB25_314:                             ;   in Loop: Header=BB25_9 Depth=1
	s_or_b64 exec, exec, s[4:5]
	v_add_u32_e32 v251, v219, v134
	v_cmp_gt_i32_e64 s[4:5], s24, v251
	s_and_b64 s[96:97], s[4:5], vcc
	s_xor_b64 s[4:5], s[96:97], -1
	s_and_saveexec_b64 s[34:35], s[4:5]
	s_xor_b64 s[4:5], exec, s[34:35]
; %bb.315:                              ;   in Loop: Header=BB25_9 Depth=1
	v_add_u32_e32 v2, v173, v164
	ds_write_b32 v2, v51
; %bb.316:                              ;   in Loop: Header=BB25_9 Depth=1
	s_andn2_saveexec_b64 s[4:5], s[4:5]
	s_cbranch_execz .LBB25_318
; %bb.317:                              ;   in Loop: Header=BB25_9 Depth=1
	v_mad_u64_u32 v[2:3], s[34:35], v251, s51, v[78:79]
	v_ashrrev_i32_e32 v3, 31, v2
	v_lshl_add_u64 v[2:3], v[2:3], 3, v[118:119]
	global_load_dwordx2 v[2:3], v[2:3], off
	s_waitcnt vmcnt(0)
	v_cvt_pk_f16_f32 v2, v2, v3
	v_pk_mul_f16 v2, v2, v208
	v_add_u32_e32 v3, v173, v164
	ds_write_b32 v3, v2
.LBB25_318:                             ;   in Loop: Header=BB25_9 Depth=1
	s_or_b64 exec, exec, s[4:5]
	v_add_u32_e32 v250, v220, v134
	v_cmp_gt_i32_e64 s[4:5], s24, v250
	;; [unrolled: 24-line block ×7, first 2 shown]
	s_and_b64 s[84:85], s[4:5], vcc
	s_xor_b64 s[4:5], s[84:85], -1
	s_and_saveexec_b64 s[34:35], s[4:5]
	s_xor_b64 s[4:5], exec, s[34:35]
; %bb.339:                              ;   in Loop: Header=BB25_9 Depth=1
	v_add_u32_e32 v2, v173, v169
	ds_write_b32 v2, v51 offset:1088
; %bb.340:                              ;   in Loop: Header=BB25_9 Depth=1
	s_andn2_saveexec_b64 s[4:5], s[4:5]
	s_cbranch_execz .LBB25_342
; %bb.341:                              ;   in Loop: Header=BB25_9 Depth=1
	v_mad_u64_u32 v[2:3], s[34:35], v245, s51, v[78:79]
	v_ashrrev_i32_e32 v3, 31, v2
	v_lshl_add_u64 v[2:3], v[2:3], 3, v[118:119]
	global_load_dwordx2 v[2:3], v[2:3], off
	s_waitcnt vmcnt(0)
	v_cvt_pk_f16_f32 v2, v2, v3
	v_pk_mul_f16 v2, v2, v208
	v_add_u32_e32 v3, v173, v169
	ds_write_b32 v3, v2 offset:1088
.LBB25_342:                             ;   in Loop: Header=BB25_9 Depth=1
	s_or_b64 exec, exec, s[4:5]
	v_add_u32_e32 v244, v226, v134
	v_cmp_gt_i32_e64 s[4:5], s24, v244
	s_and_b64 s[82:83], s[4:5], vcc
	s_xor_b64 s[4:5], s[82:83], -1
	s_and_saveexec_b64 s[34:35], s[4:5]
	s_xor_b64 s[4:5], exec, s[34:35]
; %bb.343:                              ;   in Loop: Header=BB25_9 Depth=1
	v_add_u32_e32 v2, v173, v169
	ds_write_b32 v2, v51 offset:2176
; %bb.344:                              ;   in Loop: Header=BB25_9 Depth=1
	s_andn2_saveexec_b64 s[4:5], s[4:5]
	s_cbranch_execz .LBB25_346
; %bb.345:                              ;   in Loop: Header=BB25_9 Depth=1
	v_mad_u64_u32 v[2:3], s[34:35], v244, s51, v[78:79]
	v_ashrrev_i32_e32 v3, 31, v2
	v_lshl_add_u64 v[2:3], v[2:3], 3, v[118:119]
	global_load_dwordx2 v[2:3], v[2:3], off
	s_waitcnt vmcnt(0)
	v_cvt_pk_f16_f32 v2, v2, v3
	v_pk_mul_f16 v2, v2, v208
	v_add_u32_e32 v3, v173, v169
	ds_write_b32 v3, v2 offset:2176
.LBB25_346:                             ;   in Loop: Header=BB25_9 Depth=1
	s_or_b64 exec, exec, s[4:5]
	v_add_u32_e32 v243, v227, v134
	v_cmp_gt_i32_e64 s[4:5], s24, v243
	;; [unrolled: 24-line block ×8, first 2 shown]
	s_and_b64 s[4:5], s[4:5], vcc
	s_xor_b64 s[34:35], s[4:5], -1
	s_and_saveexec_b64 s[56:57], s[34:35]
	s_xor_b64 s[34:35], exec, s[56:57]
; %bb.371:                              ;   in Loop: Header=BB25_9 Depth=1
	v_add_u32_e32 v2, v173, v169
	ds_write_b32 v2, v51 offset:9792
                                        ; implicit-def: $vgpr118_vgpr119
; %bb.372:                              ;   in Loop: Header=BB25_9 Depth=1
	s_andn2_saveexec_b64 s[34:35], s[34:35]
	s_cbranch_execz .LBB25_374
; %bb.373:                              ;   in Loop: Header=BB25_9 Depth=1
	v_mad_u64_u32 v[2:3], s[56:57], v79, s51, v[78:79]
	v_ashrrev_i32_e32 v3, 31, v2
	v_lshl_add_u64 v[2:3], v[2:3], 3, v[118:119]
	global_load_dwordx2 v[2:3], v[2:3], off
	s_waitcnt vmcnt(0)
	v_cvt_pk_f16_f32 v2, v2, v3
	v_pk_mul_f16 v2, v2, v208
	v_add_u32_e32 v3, v173, v169
	ds_write_b32 v3, v2 offset:9792
.LBB25_374:                             ;   in Loop: Header=BB25_9 Depth=1
	s_or_b64 exec, exec, s[34:35]
	s_waitcnt lgkmcnt(0)
	s_barrier
	ds_read2_b64 v[14:17], v49 offset1:4
	ds_read2_b64 v[10:13], v49 offset0:8 offset1:12
	ds_read2_b64 v[6:9], v49 offset0:16 offset1:20
	;; [unrolled: 1-line block ×3, first 2 shown]
	s_cmp_gt_i32 s58, 1
	s_mov_b64 s[56:57], -1
	s_waitcnt lgkmcnt(0)
	s_barrier
                                        ; implicit-def: $vgpr18_vgpr19
                                        ; implicit-def: $vgpr20_vgpr21
	s_cbranch_scc1 .LBB25_376
; %bb.375:                              ;   in Loop: Header=BB25_9 Depth=1
	v_add_u32_e32 v18, v134, v53
	v_add_u32_e32 v20, v134, v210
	v_mul_hi_u32 v19, s38, v18
	v_mul_hi_u32 v21, s38, v20
	v_add_u32_e32 v19, v18, v19
	v_add_u32_e32 v21, v20, v21
	v_lshrrev_b32_e32 v19, s39, v19
	v_lshrrev_b32_e32 v21, s39, v21
	v_mul_lo_u32 v19, v19, s24
	v_mul_lo_u32 v21, v21, s24
	v_sub_u32_e32 v18, v18, v19
	v_sub_u32_e32 v20, v20, v21
	v_mad_i64_i32 v[18:19], s[34:35], v18, s40, 0
	v_mad_i64_i32 v[20:21], s[34:35], v20, s40, 0
	s_mov_b64 s[56:57], 0
.LBB25_376:                             ;   in Loop: Header=BB25_9 Depth=1
	s_andn2_b64 vcc, exec, s[56:57]
	s_cbranch_vccnz .LBB25_444
; %bb.377:                              ;   in Loop: Header=BB25_9 Depth=1
	v_add_u32_e32 v18, v134, v53
	v_mul_hi_u32 v19, s38, v18
	v_add_u32_e32 v19, v18, v19
	v_lshrrev_b32_e32 v19, s39, v19
	v_mul_lo_u32 v19, v19, s24
	v_sub_u32_e32 v50, v18, v19
	v_add_u32_e32 v18, v134, v210
	v_mul_hi_u32 v19, s38, v18
	v_add_u32_e32 v19, v18, v19
	v_lshrrev_b32_e32 v19, s39, v19
	v_mul_lo_u32 v19, v19, s24
	v_sub_u32_e32 v118, v18, v19
	v_and_b32_e32 v18, 64, v235
	v_add_u32_e32 v18, 64, v18
	v_xor_b32_e32 v19, 32, v235
	v_cmp_lt_i32_e32 vcc, v19, v18
	v_readlane_b32 s34, v255, 26
	v_readlane_b32 s35, v255, 27
	v_cndmask_b32_e32 v19, v235, v19, vcc
	v_lshlrev_b32_e32 v253, 2, v19
	v_xor_b32_e32 v19, 16, v235
	v_cmp_lt_i32_e32 vcc, v19, v18
	s_mov_b32 s56, s34
	s_add_i32 s58, s58, -1
	v_cndmask_b32_e32 v18, v235, v19, vcc
	v_lshlrev_b32_e32 v254, 2, v18
	v_mad_i64_i32 v[18:19], s[34:35], s56, v50, v[112:113]
	v_lshl_add_u64 v[120:121], v[80:81], 0, v[18:19]
	v_mad_i64_i32 v[18:19], s[34:35], s56, v118, v[112:113]
	v_lshl_add_u64 v[112:113], v[80:81], 0, v[18:19]
	v_lshl_add_u64 v[18:19], v[114:115], 0, v[116:117]
	;; [unrolled: 1-line block ×11, first 2 shown]
	v_mov_b32_e32 v130, 0
	v_mov_b32_e32 v135, 0xfeffffff
	;; [unrolled: 1-line block ×3, first 2 shown]
	s_mov_b32 s59, s58
	v_mov_b32_e32 v131, 0
	v_mov_b32_e32 v43, 0
	;; [unrolled: 1-line block ×15, first 2 shown]
.LBB25_378:                             ;   Parent Loop BB25_9 Depth=1
                                        ; =>  This Inner Loop Header: Depth=2
	global_load_dword v18, v[120:121], off
	v_add_u32_e32 v19, v211, v209
	v_lshl_add_u64 v[22:23], v[110:111], 0, v[72:73]
	v_lshl_add_u64 v[24:25], v[126:127], 0, v[72:73]
	;; [unrolled: 1-line block ×3, first 2 shown]
	v_add_u32_e32 v30, 0x1000, v203
	v_add_u32_e32 v119, 0x2000, v203
	s_waitcnt vmcnt(0)
	ds_write_b32 v19, v18 offset:17408
	global_load_dword v18, v[112:113], off
	s_waitcnt vmcnt(0)
	ds_write_b32 v19, v18 offset:18560
	v_lshl_add_u64 v[18:19], v[108:109], 0, v[72:73]
	global_load_dwordx4 v[18:21], v[18:19], off
	s_waitcnt vmcnt(0)
	ds_write_b128 v75, v[18:21]
	global_load_dwordx4 v[18:21], v[22:23], off
	s_waitcnt vmcnt(0)
	ds_write_b128 v212, v[18:21]
	;; [unrolled: 3-line block ×4, first 2 shown]
	s_waitcnt lgkmcnt(0)
	s_barrier
	ds_read2_b64 v[18:21], v203 offset1:4
	s_waitcnt lgkmcnt(0)
	v_mfma_f32_16x16x16_f16 v[22:25], v[18:19], v[14:15], 0
	v_mfma_f32_16x16x16_f16 v[18:21], v[20:21], v[16:17], v[22:25]
	s_nop 6
	ds_read2_b64 v[22:25], v203 offset0:8 offset1:12
	s_waitcnt lgkmcnt(0)
	v_mfma_f32_16x16x16_f16 v[18:21], v[22:23], v[10:11], v[18:21]
	v_mfma_f32_16x16x16_f16 v[18:21], v[24:25], v[12:13], v[18:21]
	ds_read2_b64 v[22:25], v203 offset0:16 offset1:20
	s_waitcnt lgkmcnt(0)
	v_mfma_f32_16x16x16_f16 v[18:21], v[22:23], v[6:7], v[18:21]
	v_mfma_f32_16x16x16_f16 v[18:21], v[24:25], v[8:9], v[18:21]
	;; [unrolled: 4-line block ×3, first 2 shown]
	ds_read2_b64 v[22:25], v30 offset0:32 offset1:36
	s_waitcnt lgkmcnt(0)
	v_mfma_f32_16x16x16_f16 v[26:29], v[22:23], v[14:15], 0
	s_nop 4
	v_cmp_nlt_f32_e64 s[34:35], |v18|, s41
	v_mfma_f32_16x16x16_f16 v[22:25], v[24:25], v[16:17], v[26:29]
	s_nop 2
	ds_read2_b64 v[26:29], v30 offset0:40 offset1:44
	s_waitcnt lgkmcnt(0)
	v_mfma_f32_16x16x16_f16 v[22:25], v[26:27], v[10:11], v[22:25]
	v_mfma_f32_16x16x16_f16 v[22:25], v[28:29], v[12:13], v[22:25]
	ds_read2_b64 v[26:29], v30 offset0:48 offset1:52
	s_waitcnt lgkmcnt(0)
	v_mfma_f32_16x16x16_f16 v[22:25], v[26:27], v[6:7], v[22:25]
	v_mfma_f32_16x16x16_f16 v[22:25], v[28:29], v[8:9], v[22:25]
	;; [unrolled: 4-line block ×4, first 2 shown]
	s_nop 6
	ds_read2_b64 v[30:33], v119 offset0:72 offset1:76
	s_waitcnt lgkmcnt(0)
	v_mfma_f32_16x16x16_f16 v[26:29], v[30:31], v[10:11], v[26:29]
	v_mfma_f32_16x16x16_f16 v[26:29], v[32:33], v[12:13], v[26:29]
	ds_read2_b64 v[30:33], v119 offset0:80 offset1:84
	s_waitcnt lgkmcnt(0)
	v_mfma_f32_16x16x16_f16 v[26:29], v[30:31], v[6:7], v[26:29]
	v_mfma_f32_16x16x16_f16 v[26:29], v[32:33], v[8:9], v[26:29]
	ds_read2_b64 v[30:33], v119 offset0:88 offset1:92
	v_add_u32_e32 v119, 0x3000, v203
	s_waitcnt lgkmcnt(0)
	v_mfma_f32_16x16x16_f16 v[26:29], v[30:31], v[2:3], v[26:29]
	v_mfma_f32_16x16x16_f16 v[26:29], v[32:33], v[4:5], v[26:29]
	ds_read2_b64 v[30:33], v119 offset0:96 offset1:100
	s_waitcnt lgkmcnt(0)
	v_mfma_f32_16x16x16_f16 v[194:197], v[30:31], v[14:15], 0
	v_mfma_f32_16x16x16_f16 v[30:33], v[32:33], v[16:17], v[194:197]
	s_nop 6
	ds_read2_b64 v[194:197], v119 offset0:104 offset1:108
	s_waitcnt lgkmcnt(0)
	v_mfma_f32_16x16x16_f16 v[30:33], v[194:195], v[10:11], v[30:33]
	v_mfma_f32_16x16x16_f16 v[30:33], v[196:197], v[12:13], v[30:33]
	ds_read2_b64 v[194:197], v119 offset0:112 offset1:116
	s_waitcnt lgkmcnt(0)
	v_mfma_f32_16x16x16_f16 v[30:33], v[194:195], v[6:7], v[30:33]
	v_mfma_f32_16x16x16_f16 v[30:33], v[196:197], v[8:9], v[30:33]
	ds_read2_b64 v[194:197], v119 offset0:120 offset1:124
	s_waitcnt lgkmcnt(0)
	s_barrier
	v_mfma_f32_16x16x16_f16 v[30:33], v[194:195], v[2:3], v[30:33]
                                        ; implicit-def: $vgpr119
	v_mfma_f32_16x16x16_f16 v[30:33], v[196:197], v[4:5], v[30:33]
	s_and_saveexec_b64 s[56:57], s[34:35]
	s_xor_b64 s[56:57], exec, s[56:57]
	s_cbranch_execz .LBB25_380
; %bb.379:                              ;   in Loop: Header=BB25_378 Depth=2
	v_add_f32_e64 v119, |v18|, |v18|
	v_mul_f32_e32 v136, 0x3fb8aa3b, v119
	v_rndne_f32_e32 v137, v136
	v_sub_f32_e32 v190, v136, v137
	v_fma_f32 v136, v119, s47, -v136
	v_fmac_f32_e32 v136, 0x32a5705f, v119
	v_add_f32_e32 v136, v190, v136
	v_cvt_i32_f32_e32 v137, v137
	v_exp_f32_e32 v136, v136
	v_cmp_ngt_f32_e32 vcc, s0, v119
	v_ldexp_f32 v136, v136, v137
	s_nop 0
	v_cndmask_b32_e32 v136, 0, v136, vcc
	v_cmp_nlt_f32_e32 vcc, s1, v119
	s_nop 1
	v_cndmask_b32_e32 v119, v236, v136, vcc
	v_add_f32_e32 v119, 1.0, v119
	v_rcp_f32_e32 v119, v119
	s_nop 0
	v_fma_f32 v119, v119, -2.0, 1.0
.LBB25_380:                             ;   in Loop: Header=BB25_378 Depth=2
	s_andn2_saveexec_b64 s[34:35], s[56:57]
; %bb.381:                              ;   in Loop: Header=BB25_378 Depth=2
	v_mul_f32_e32 v119, v18, v18
	v_fmamk_f32 v136, v119, 0xbbbac73d, v234
	v_fmaak_f32 v136, v119, v136, 0xbd5c1c4e
	v_fmaak_f32 v136, v119, v136, 0x3e088382
	;; [unrolled: 1-line block ×3, first 2 shown]
	v_mul_f32_e64 v136, |v18|, v136
	v_fma_f32 v119, v119, v136, |v18|
; %bb.382:                              ;   in Loop: Header=BB25_378 Depth=2
	s_or_b64 exec, exec, s[34:35]
	v_cmp_nlt_f32_e64 s[34:35], |v19|, s41
                                        ; implicit-def: $vgpr136
	s_and_saveexec_b64 s[56:57], s[34:35]
	s_xor_b64 s[34:35], exec, s[56:57]
	s_cbranch_execz .LBB25_384
; %bb.383:                              ;   in Loop: Header=BB25_378 Depth=2
	v_add_f32_e64 v136, |v19|, |v19|
	v_mul_f32_e32 v137, 0x3fb8aa3b, v136
	v_rndne_f32_e32 v190, v137
	v_sub_f32_e32 v192, v137, v190
	v_fma_f32 v137, v136, s47, -v137
	v_fmac_f32_e32 v137, 0x32a5705f, v136
	v_add_f32_e32 v137, v192, v137
	v_cvt_i32_f32_e32 v190, v190
	v_exp_f32_e32 v137, v137
	v_cmp_ngt_f32_e32 vcc, s0, v136
	v_ldexp_f32 v137, v137, v190
	s_nop 0
	v_cndmask_b32_e32 v137, 0, v137, vcc
	v_cmp_nlt_f32_e32 vcc, s1, v136
	s_nop 1
	v_cndmask_b32_e32 v136, v236, v137, vcc
	v_add_f32_e32 v136, 1.0, v136
	v_rcp_f32_e32 v136, v136
	s_nop 0
	v_fma_f32 v136, v136, -2.0, 1.0
.LBB25_384:                             ;   in Loop: Header=BB25_378 Depth=2
	s_andn2_saveexec_b64 s[34:35], s[34:35]
; %bb.385:                              ;   in Loop: Header=BB25_378 Depth=2
	v_mul_f32_e32 v136, v19, v19
	v_fmamk_f32 v137, v136, 0xbbbac73d, v234
	v_fmaak_f32 v137, v136, v137, 0xbd5c1c4e
	v_fmaak_f32 v137, v136, v137, 0x3e088382
	;; [unrolled: 1-line block ×3, first 2 shown]
	v_mul_f32_e64 v137, |v19|, v137
	v_fma_f32 v136, v136, v137, |v19|
; %bb.386:                              ;   in Loop: Header=BB25_378 Depth=2
	s_or_b64 exec, exec, s[34:35]
	v_cmp_nlt_f32_e64 s[34:35], |v20|, s41
                                        ; implicit-def: $vgpr137
	s_and_saveexec_b64 s[56:57], s[34:35]
	s_xor_b64 s[34:35], exec, s[56:57]
	s_cbranch_execz .LBB25_388
; %bb.387:                              ;   in Loop: Header=BB25_378 Depth=2
	v_add_f32_e64 v137, |v20|, |v20|
	v_mul_f32_e32 v190, 0x3fb8aa3b, v137
	v_rndne_f32_e32 v192, v190
	v_sub_f32_e32 v194, v190, v192
	v_fma_f32 v190, v137, s47, -v190
	v_fmac_f32_e32 v190, 0x32a5705f, v137
	v_add_f32_e32 v190, v194, v190
	v_cvt_i32_f32_e32 v192, v192
	v_exp_f32_e32 v190, v190
	v_cmp_ngt_f32_e32 vcc, s0, v137
	v_ldexp_f32 v190, v190, v192
	s_nop 0
	v_cndmask_b32_e32 v190, 0, v190, vcc
	v_cmp_nlt_f32_e32 vcc, s1, v137
	s_nop 1
	v_cndmask_b32_e32 v137, v236, v190, vcc
	v_add_f32_e32 v137, 1.0, v137
	v_rcp_f32_e32 v137, v137
	s_nop 0
	v_fma_f32 v137, v137, -2.0, 1.0
.LBB25_388:                             ;   in Loop: Header=BB25_378 Depth=2
	s_andn2_saveexec_b64 s[34:35], s[34:35]
; %bb.389:                              ;   in Loop: Header=BB25_378 Depth=2
	v_mul_f32_e32 v137, v20, v20
	v_fmamk_f32 v190, v137, 0xbbbac73d, v234
	v_fmaak_f32 v190, v137, v190, 0xbd5c1c4e
	v_fmaak_f32 v190, v137, v190, 0x3e088382
	;; [unrolled: 1-line block ×3, first 2 shown]
	v_mul_f32_e64 v190, |v20|, v190
	v_fma_f32 v137, v137, v190, |v20|
; %bb.390:                              ;   in Loop: Header=BB25_378 Depth=2
	s_or_b64 exec, exec, s[34:35]
	v_cmp_nlt_f32_e64 s[34:35], |v21|, s41
                                        ; implicit-def: $vgpr192
	s_and_saveexec_b64 s[56:57], s[34:35]
	s_xor_b64 s[34:35], exec, s[56:57]
	s_cbranch_execz .LBB25_392
; %bb.391:                              ;   in Loop: Header=BB25_378 Depth=2
	v_add_f32_e64 v190, |v21|, |v21|
	v_mul_f32_e32 v192, 0x3fb8aa3b, v190
	v_rndne_f32_e32 v194, v192
	v_sub_f32_e32 v195, v192, v194
	v_fma_f32 v192, v190, s47, -v192
	v_fmac_f32_e32 v192, 0x32a5705f, v190
	v_add_f32_e32 v192, v195, v192
	v_cvt_i32_f32_e32 v194, v194
	v_exp_f32_e32 v192, v192
	v_cmp_ngt_f32_e32 vcc, s0, v190
	v_ldexp_f32 v192, v192, v194
	s_nop 0
	v_cndmask_b32_e32 v192, 0, v192, vcc
	v_cmp_nlt_f32_e32 vcc, s1, v190
	s_nop 1
	v_cndmask_b32_e32 v190, v236, v192, vcc
	v_add_f32_e32 v190, 1.0, v190
	v_rcp_f32_e32 v190, v190
	s_nop 0
	v_fma_f32 v192, v190, -2.0, 1.0
.LBB25_392:                             ;   in Loop: Header=BB25_378 Depth=2
	s_andn2_saveexec_b64 s[34:35], s[34:35]
; %bb.393:                              ;   in Loop: Header=BB25_378 Depth=2
	v_mul_f32_e32 v190, v21, v21
	v_fmamk_f32 v192, v190, 0xbbbac73d, v234
	v_fmaak_f32 v192, v190, v192, 0xbd5c1c4e
	v_fmaak_f32 v192, v190, v192, 0x3e088382
	;; [unrolled: 1-line block ×3, first 2 shown]
	v_mul_f32_e64 v192, |v21|, v192
	v_fma_f32 v192, v190, v192, |v21|
; %bb.394:                              ;   in Loop: Header=BB25_378 Depth=2
	s_or_b64 exec, exec, s[34:35]
	v_cmp_nlt_f32_e64 s[34:35], |v22|, s41
                                        ; implicit-def: $vgpr194
	s_and_saveexec_b64 s[56:57], s[34:35]
	s_xor_b64 s[34:35], exec, s[56:57]
	s_cbranch_execz .LBB25_396
; %bb.395:                              ;   in Loop: Header=BB25_378 Depth=2
	v_add_f32_e64 v190, |v22|, |v22|
	v_mul_f32_e32 v194, 0x3fb8aa3b, v190
	v_rndne_f32_e32 v195, v194
	v_sub_f32_e32 v196, v194, v195
	v_fma_f32 v194, v190, s47, -v194
	v_fmac_f32_e32 v194, 0x32a5705f, v190
	v_add_f32_e32 v194, v196, v194
	v_cvt_i32_f32_e32 v195, v195
	v_exp_f32_e32 v194, v194
	v_cmp_ngt_f32_e32 vcc, s0, v190
	v_ldexp_f32 v194, v194, v195
	s_nop 0
	v_cndmask_b32_e32 v194, 0, v194, vcc
	v_cmp_nlt_f32_e32 vcc, s1, v190
	s_nop 1
	v_cndmask_b32_e32 v190, v236, v194, vcc
	v_add_f32_e32 v190, 1.0, v190
	v_rcp_f32_e32 v190, v190
	s_nop 0
	v_fma_f32 v194, v190, -2.0, 1.0
.LBB25_396:                             ;   in Loop: Header=BB25_378 Depth=2
	s_andn2_saveexec_b64 s[34:35], s[34:35]
; %bb.397:                              ;   in Loop: Header=BB25_378 Depth=2
	v_mul_f32_e32 v190, v22, v22
	v_fmamk_f32 v194, v190, 0xbbbac73d, v234
	v_fmaak_f32 v194, v190, v194, 0xbd5c1c4e
	v_fmaak_f32 v194, v190, v194, 0x3e088382
	;; [unrolled: 1-line block ×3, first 2 shown]
	v_mul_f32_e64 v194, |v22|, v194
	v_fma_f32 v194, v190, v194, |v22|
; %bb.398:                              ;   in Loop: Header=BB25_378 Depth=2
	s_or_b64 exec, exec, s[34:35]
	v_cmp_nlt_f32_e64 s[34:35], |v23|, s41
                                        ; implicit-def: $vgpr195
	s_and_saveexec_b64 s[56:57], s[34:35]
	s_xor_b64 s[34:35], exec, s[56:57]
	s_cbranch_execz .LBB25_400
; %bb.399:                              ;   in Loop: Header=BB25_378 Depth=2
	v_add_f32_e64 v190, |v23|, |v23|
	v_mul_f32_e32 v195, 0x3fb8aa3b, v190
	v_rndne_f32_e32 v196, v195
	v_sub_f32_e32 v197, v195, v196
	v_fma_f32 v195, v190, s47, -v195
	v_fmac_f32_e32 v195, 0x32a5705f, v190
	v_add_f32_e32 v195, v197, v195
	v_cvt_i32_f32_e32 v196, v196
	v_exp_f32_e32 v195, v195
	v_cmp_ngt_f32_e32 vcc, s0, v190
	v_ldexp_f32 v195, v195, v196
	s_nop 0
	v_cndmask_b32_e32 v195, 0, v195, vcc
	v_cmp_nlt_f32_e32 vcc, s1, v190
	s_nop 1
	v_cndmask_b32_e32 v190, v236, v195, vcc
	v_add_f32_e32 v190, 1.0, v190
	v_rcp_f32_e32 v190, v190
	s_nop 0
	v_fma_f32 v195, v190, -2.0, 1.0
.LBB25_400:                             ;   in Loop: Header=BB25_378 Depth=2
	s_andn2_saveexec_b64 s[34:35], s[34:35]
; %bb.401:                              ;   in Loop: Header=BB25_378 Depth=2
	v_mul_f32_e32 v190, v23, v23
	v_fmamk_f32 v195, v190, 0xbbbac73d, v234
	v_fmaak_f32 v195, v190, v195, 0xbd5c1c4e
	v_fmaak_f32 v195, v190, v195, 0x3e088382
	;; [unrolled: 1-line block ×3, first 2 shown]
	v_mul_f32_e64 v195, |v23|, v195
	v_fma_f32 v195, v190, v195, |v23|
; %bb.402:                              ;   in Loop: Header=BB25_378 Depth=2
	s_or_b64 exec, exec, s[34:35]
	v_cmp_nlt_f32_e64 s[34:35], |v24|, s41
                                        ; implicit-def: $vgpr196
	s_and_saveexec_b64 s[56:57], s[34:35]
	s_xor_b64 s[34:35], exec, s[56:57]
	s_cbranch_execz .LBB25_404
; %bb.403:                              ;   in Loop: Header=BB25_378 Depth=2
	v_add_f32_e64 v190, |v24|, |v24|
	v_mul_f32_e32 v196, 0x3fb8aa3b, v190
	v_rndne_f32_e32 v197, v196
	v_sub_f32_e32 v198, v196, v197
	v_fma_f32 v196, v190, s47, -v196
	v_fmac_f32_e32 v196, 0x32a5705f, v190
	v_add_f32_e32 v196, v198, v196
	v_cvt_i32_f32_e32 v197, v197
	v_exp_f32_e32 v196, v196
	v_cmp_ngt_f32_e32 vcc, s0, v190
	v_ldexp_f32 v196, v196, v197
	s_nop 0
	v_cndmask_b32_e32 v196, 0, v196, vcc
	v_cmp_nlt_f32_e32 vcc, s1, v190
	s_nop 1
	v_cndmask_b32_e32 v190, v236, v196, vcc
	v_add_f32_e32 v190, 1.0, v190
	v_rcp_f32_e32 v190, v190
	s_nop 0
	v_fma_f32 v196, v190, -2.0, 1.0
.LBB25_404:                             ;   in Loop: Header=BB25_378 Depth=2
	s_andn2_saveexec_b64 s[34:35], s[34:35]
; %bb.405:                              ;   in Loop: Header=BB25_378 Depth=2
	v_mul_f32_e32 v190, v24, v24
	v_fmamk_f32 v196, v190, 0xbbbac73d, v234
	v_fmaak_f32 v196, v190, v196, 0xbd5c1c4e
	v_fmaak_f32 v196, v190, v196, 0x3e088382
	;; [unrolled: 1-line block ×3, first 2 shown]
	v_mul_f32_e64 v196, |v24|, v196
	v_fma_f32 v196, v190, v196, |v24|
; %bb.406:                              ;   in Loop: Header=BB25_378 Depth=2
	s_or_b64 exec, exec, s[34:35]
	v_cmp_nlt_f32_e64 s[34:35], |v25|, s41
                                        ; implicit-def: $vgpr197
	s_and_saveexec_b64 s[56:57], s[34:35]
	s_xor_b64 s[34:35], exec, s[56:57]
	s_cbranch_execz .LBB25_408
; %bb.407:                              ;   in Loop: Header=BB25_378 Depth=2
	v_add_f32_e64 v190, |v25|, |v25|
	v_mul_f32_e32 v197, 0x3fb8aa3b, v190
	v_rndne_f32_e32 v198, v197
	v_sub_f32_e32 v199, v197, v198
	v_fma_f32 v197, v190, s47, -v197
	v_fmac_f32_e32 v197, 0x32a5705f, v190
	v_add_f32_e32 v197, v199, v197
	v_cvt_i32_f32_e32 v198, v198
	v_exp_f32_e32 v197, v197
	v_cmp_ngt_f32_e32 vcc, s0, v190
	v_ldexp_f32 v197, v197, v198
	s_nop 0
	v_cndmask_b32_e32 v197, 0, v197, vcc
	v_cmp_nlt_f32_e32 vcc, s1, v190
	s_nop 1
	v_cndmask_b32_e32 v190, v236, v197, vcc
	v_add_f32_e32 v190, 1.0, v190
	v_rcp_f32_e32 v190, v190
	s_nop 0
	v_fma_f32 v197, v190, -2.0, 1.0
.LBB25_408:                             ;   in Loop: Header=BB25_378 Depth=2
	s_andn2_saveexec_b64 s[34:35], s[34:35]
; %bb.409:                              ;   in Loop: Header=BB25_378 Depth=2
	v_mul_f32_e32 v190, v25, v25
	v_fmamk_f32 v197, v190, 0xbbbac73d, v234
	v_fmaak_f32 v197, v190, v197, 0xbd5c1c4e
	v_fmaak_f32 v197, v190, v197, 0x3e088382
	;; [unrolled: 1-line block ×3, first 2 shown]
	v_mul_f32_e64 v197, |v25|, v197
	v_fma_f32 v197, v190, v197, |v25|
; %bb.410:                              ;   in Loop: Header=BB25_378 Depth=2
	s_or_b64 exec, exec, s[34:35]
	v_cmp_nlt_f32_e64 s[34:35], |v26|, s41
                                        ; implicit-def: $vgpr198
	s_and_saveexec_b64 s[56:57], s[34:35]
	s_xor_b64 s[34:35], exec, s[56:57]
	s_cbranch_execz .LBB25_412
; %bb.411:                              ;   in Loop: Header=BB25_378 Depth=2
	v_add_f32_e64 v190, |v26|, |v26|
	v_mul_f32_e32 v198, 0x3fb8aa3b, v190
	v_rndne_f32_e32 v199, v198
	v_sub_f32_e32 v200, v198, v199
	v_fma_f32 v198, v190, s47, -v198
	v_fmac_f32_e32 v198, 0x32a5705f, v190
	v_add_f32_e32 v198, v200, v198
	v_cvt_i32_f32_e32 v199, v199
	v_exp_f32_e32 v198, v198
	v_cmp_ngt_f32_e32 vcc, s0, v190
	v_ldexp_f32 v198, v198, v199
	s_nop 0
	v_cndmask_b32_e32 v198, 0, v198, vcc
	v_cmp_nlt_f32_e32 vcc, s1, v190
	s_nop 1
	v_cndmask_b32_e32 v190, v236, v198, vcc
	v_add_f32_e32 v190, 1.0, v190
	v_rcp_f32_e32 v190, v190
	s_nop 0
	v_fma_f32 v198, v190, -2.0, 1.0
.LBB25_412:                             ;   in Loop: Header=BB25_378 Depth=2
	s_andn2_saveexec_b64 s[34:35], s[34:35]
; %bb.413:                              ;   in Loop: Header=BB25_378 Depth=2
	v_mul_f32_e32 v190, v26, v26
	v_fmamk_f32 v198, v190, 0xbbbac73d, v234
	v_fmaak_f32 v198, v190, v198, 0xbd5c1c4e
	v_fmaak_f32 v198, v190, v198, 0x3e088382
	;; [unrolled: 1-line block ×3, first 2 shown]
	v_mul_f32_e64 v198, |v26|, v198
	v_fma_f32 v198, v190, v198, |v26|
; %bb.414:                              ;   in Loop: Header=BB25_378 Depth=2
	s_or_b64 exec, exec, s[34:35]
	v_cmp_nlt_f32_e64 s[34:35], |v27|, s41
                                        ; implicit-def: $vgpr199
	s_and_saveexec_b64 s[56:57], s[34:35]
	s_xor_b64 s[34:35], exec, s[56:57]
	s_cbranch_execz .LBB25_416
; %bb.415:                              ;   in Loop: Header=BB25_378 Depth=2
	v_add_f32_e64 v190, |v27|, |v27|
	v_mul_f32_e32 v199, 0x3fb8aa3b, v190
	v_rndne_f32_e32 v200, v199
	v_sub_f32_e32 v201, v199, v200
	v_fma_f32 v199, v190, s47, -v199
	v_fmac_f32_e32 v199, 0x32a5705f, v190
	v_add_f32_e32 v199, v201, v199
	v_cvt_i32_f32_e32 v200, v200
	v_exp_f32_e32 v199, v199
	v_cmp_ngt_f32_e32 vcc, s0, v190
	v_ldexp_f32 v199, v199, v200
	s_nop 0
	v_cndmask_b32_e32 v199, 0, v199, vcc
	v_cmp_nlt_f32_e32 vcc, s1, v190
	s_nop 1
	v_cndmask_b32_e32 v190, v236, v199, vcc
	v_add_f32_e32 v190, 1.0, v190
	v_rcp_f32_e32 v190, v190
	s_nop 0
	v_fma_f32 v199, v190, -2.0, 1.0
.LBB25_416:                             ;   in Loop: Header=BB25_378 Depth=2
	s_andn2_saveexec_b64 s[34:35], s[34:35]
; %bb.417:                              ;   in Loop: Header=BB25_378 Depth=2
	v_mul_f32_e32 v190, v27, v27
	v_fmamk_f32 v199, v190, 0xbbbac73d, v234
	v_fmaak_f32 v199, v190, v199, 0xbd5c1c4e
	v_fmaak_f32 v199, v190, v199, 0x3e088382
	;; [unrolled: 1-line block ×3, first 2 shown]
	v_mul_f32_e64 v199, |v27|, v199
	v_fma_f32 v199, v190, v199, |v27|
; %bb.418:                              ;   in Loop: Header=BB25_378 Depth=2
	s_or_b64 exec, exec, s[34:35]
	v_cmp_nlt_f32_e64 s[34:35], |v28|, s41
                                        ; implicit-def: $vgpr200
	s_and_saveexec_b64 s[56:57], s[34:35]
	s_xor_b64 s[34:35], exec, s[56:57]
	s_cbranch_execz .LBB25_420
; %bb.419:                              ;   in Loop: Header=BB25_378 Depth=2
	v_add_f32_e64 v190, |v28|, |v28|
	v_mul_f32_e32 v200, 0x3fb8aa3b, v190
	v_rndne_f32_e32 v201, v200
	v_sub_f32_e32 v202, v200, v201
	v_fma_f32 v200, v190, s47, -v200
	v_fmac_f32_e32 v200, 0x32a5705f, v190
	v_add_f32_e32 v200, v202, v200
	v_cvt_i32_f32_e32 v201, v201
	v_exp_f32_e32 v200, v200
	v_cmp_ngt_f32_e32 vcc, s0, v190
	v_ldexp_f32 v200, v200, v201
	s_nop 0
	v_cndmask_b32_e32 v200, 0, v200, vcc
	v_cmp_nlt_f32_e32 vcc, s1, v190
	s_nop 1
	v_cndmask_b32_e32 v190, v236, v200, vcc
	v_add_f32_e32 v190, 1.0, v190
	v_rcp_f32_e32 v190, v190
	s_nop 0
	v_fma_f32 v200, v190, -2.0, 1.0
.LBB25_420:                             ;   in Loop: Header=BB25_378 Depth=2
	s_andn2_saveexec_b64 s[34:35], s[34:35]
; %bb.421:                              ;   in Loop: Header=BB25_378 Depth=2
	v_mul_f32_e32 v190, v28, v28
	v_fmamk_f32 v200, v190, 0xbbbac73d, v234
	v_fmaak_f32 v200, v190, v200, 0xbd5c1c4e
	v_fmaak_f32 v200, v190, v200, 0x3e088382
	;; [unrolled: 1-line block ×3, first 2 shown]
	v_mul_f32_e64 v200, |v28|, v200
	v_fma_f32 v200, v190, v200, |v28|
; %bb.422:                              ;   in Loop: Header=BB25_378 Depth=2
	s_or_b64 exec, exec, s[34:35]
	v_cmp_nlt_f32_e64 s[34:35], |v29|, s41
                                        ; implicit-def: $vgpr201
	s_and_saveexec_b64 s[56:57], s[34:35]
	s_xor_b64 s[34:35], exec, s[56:57]
	s_cbranch_execz .LBB25_424
; %bb.423:                              ;   in Loop: Header=BB25_378 Depth=2
	v_add_f32_e64 v190, |v29|, |v29|
	v_mul_f32_e32 v201, 0x3fb8aa3b, v190
	v_rndne_f32_e32 v202, v201
	v_sub_f32_e32 v206, v201, v202
	v_fma_f32 v201, v190, s47, -v201
	v_fmac_f32_e32 v201, 0x32a5705f, v190
	v_add_f32_e32 v201, v206, v201
	v_cvt_i32_f32_e32 v202, v202
	v_exp_f32_e32 v201, v201
	v_cmp_ngt_f32_e32 vcc, s0, v190
	v_ldexp_f32 v201, v201, v202
	s_nop 0
	v_cndmask_b32_e32 v201, 0, v201, vcc
	v_cmp_nlt_f32_e32 vcc, s1, v190
	s_nop 1
	v_cndmask_b32_e32 v190, v236, v201, vcc
	v_add_f32_e32 v190, 1.0, v190
	v_rcp_f32_e32 v190, v190
	s_nop 0
	v_fma_f32 v201, v190, -2.0, 1.0
.LBB25_424:                             ;   in Loop: Header=BB25_378 Depth=2
	s_andn2_saveexec_b64 s[34:35], s[34:35]
; %bb.425:                              ;   in Loop: Header=BB25_378 Depth=2
	v_mul_f32_e32 v190, v29, v29
	v_fmamk_f32 v201, v190, 0xbbbac73d, v234
	v_fmaak_f32 v201, v190, v201, 0xbd5c1c4e
	v_fmaak_f32 v201, v190, v201, 0x3e088382
	;; [unrolled: 1-line block ×3, first 2 shown]
	v_mul_f32_e64 v201, |v29|, v201
	v_fma_f32 v201, v190, v201, |v29|
; %bb.426:                              ;   in Loop: Header=BB25_378 Depth=2
	s_or_b64 exec, exec, s[34:35]
	v_cmp_nlt_f32_e64 s[34:35], |v30|, s41
                                        ; implicit-def: $vgpr202
	s_and_saveexec_b64 s[56:57], s[34:35]
	s_xor_b64 s[34:35], exec, s[56:57]
	s_cbranch_execz .LBB25_428
; %bb.427:                              ;   in Loop: Header=BB25_378 Depth=2
	v_add_f32_e64 v190, |v30|, |v30|
	v_mul_f32_e32 v202, 0x3fb8aa3b, v190
	v_rndne_f32_e32 v206, v202
	v_sub_f32_e32 v252, v202, v206
	v_fma_f32 v202, v190, s47, -v202
	v_fmac_f32_e32 v202, 0x32a5705f, v190
	v_add_f32_e32 v202, v252, v202
	v_cvt_i32_f32_e32 v206, v206
	v_exp_f32_e32 v202, v202
	v_cmp_ngt_f32_e32 vcc, s0, v190
	v_ldexp_f32 v202, v202, v206
	s_nop 0
	v_cndmask_b32_e32 v202, 0, v202, vcc
	v_cmp_nlt_f32_e32 vcc, s1, v190
	s_nop 1
	v_cndmask_b32_e32 v190, v236, v202, vcc
	v_add_f32_e32 v190, 1.0, v190
	v_rcp_f32_e32 v190, v190
	s_nop 0
	v_fma_f32 v202, v190, -2.0, 1.0
.LBB25_428:                             ;   in Loop: Header=BB25_378 Depth=2
	s_andn2_saveexec_b64 s[34:35], s[34:35]
; %bb.429:                              ;   in Loop: Header=BB25_378 Depth=2
	v_mul_f32_e32 v190, v30, v30
	v_fmamk_f32 v202, v190, 0xbbbac73d, v234
	v_fmaak_f32 v202, v190, v202, 0xbd5c1c4e
	v_fmaak_f32 v202, v190, v202, 0x3e088382
	;; [unrolled: 1-line block ×3, first 2 shown]
	v_mul_f32_e64 v202, |v30|, v202
	v_fma_f32 v202, v190, v202, |v30|
; %bb.430:                              ;   in Loop: Header=BB25_378 Depth=2
	s_or_b64 exec, exec, s[34:35]
	v_cmp_nlt_f32_e64 s[34:35], |v31|, s41
                                        ; implicit-def: $vgpr206
	s_and_saveexec_b64 s[56:57], s[34:35]
	s_xor_b64 s[34:35], exec, s[56:57]
	s_cbranch_execz .LBB25_432
; %bb.431:                              ;   in Loop: Header=BB25_378 Depth=2
	v_add_f32_e64 v190, |v31|, |v31|
	v_mul_f32_e32 v206, 0x3fb8aa3b, v190
	v_rndne_f32_e32 v252, v206
	v_sub_f32_e32 v193, v206, v252
	v_fma_f32 v206, v190, s47, -v206
	v_fmac_f32_e32 v206, 0x32a5705f, v190
	v_add_f32_e32 v193, v193, v206
	v_cvt_i32_f32_e32 v206, v252
	v_exp_f32_e32 v193, v193
	v_cmp_ngt_f32_e32 vcc, s0, v190
	v_ldexp_f32 v193, v193, v206
	s_nop 0
	v_cndmask_b32_e32 v193, 0, v193, vcc
	v_cmp_nlt_f32_e32 vcc, s1, v190
	s_nop 1
	v_cndmask_b32_e32 v190, v236, v193, vcc
	v_add_f32_e32 v190, 1.0, v190
	v_rcp_f32_e32 v190, v190
	s_nop 0
	v_fma_f32 v206, v190, -2.0, 1.0
.LBB25_432:                             ;   in Loop: Header=BB25_378 Depth=2
	s_andn2_saveexec_b64 s[34:35], s[34:35]
; %bb.433:                              ;   in Loop: Header=BB25_378 Depth=2
	v_mul_f32_e32 v190, v31, v31
	v_fmamk_f32 v193, v190, 0xbbbac73d, v234
	v_fmaak_f32 v193, v190, v193, 0xbd5c1c4e
	v_fmaak_f32 v193, v190, v193, 0x3e088382
	;; [unrolled: 1-line block ×3, first 2 shown]
	v_mul_f32_e64 v193, |v31|, v193
	v_fma_f32 v206, v190, v193, |v31|
; %bb.434:                              ;   in Loop: Header=BB25_378 Depth=2
	s_or_b64 exec, exec, s[34:35]
	v_cmp_nlt_f32_e64 s[34:35], |v32|, s41
                                        ; implicit-def: $vgpr252
	s_and_saveexec_b64 s[56:57], s[34:35]
	s_xor_b64 s[34:35], exec, s[56:57]
	s_cbranch_execz .LBB25_436
; %bb.435:                              ;   in Loop: Header=BB25_378 Depth=2
	v_add_f32_e64 v190, |v32|, |v32|
	v_mul_f32_e32 v193, 0x3fb8aa3b, v190
	v_rndne_f32_e32 v252, v193
	v_sub_f32_e32 v191, v193, v252
	v_fma_f32 v193, v190, s47, -v193
	v_fmac_f32_e32 v193, 0x32a5705f, v190
	v_add_f32_e32 v191, v191, v193
	v_cvt_i32_f32_e32 v193, v252
	v_exp_f32_e32 v191, v191
	v_cmp_ngt_f32_e32 vcc, s0, v190
	v_ldexp_f32 v191, v191, v193
	s_nop 0
	v_cndmask_b32_e32 v191, 0, v191, vcc
	v_cmp_nlt_f32_e32 vcc, s1, v190
	s_nop 1
	v_cndmask_b32_e32 v190, v236, v191, vcc
	v_add_f32_e32 v190, 1.0, v190
	v_rcp_f32_e32 v190, v190
	s_nop 0
	v_fma_f32 v252, v190, -2.0, 1.0
.LBB25_436:                             ;   in Loop: Header=BB25_378 Depth=2
	s_andn2_saveexec_b64 s[34:35], s[34:35]
; %bb.437:                              ;   in Loop: Header=BB25_378 Depth=2
	v_mul_f32_e32 v190, v32, v32
	v_fmamk_f32 v191, v190, 0xbbbac73d, v234
	v_fmaak_f32 v191, v190, v191, 0xbd5c1c4e
	v_fmaak_f32 v191, v190, v191, 0x3e088382
	;; [unrolled: 1-line block ×3, first 2 shown]
	v_mul_f32_e64 v191, |v32|, v191
	v_fma_f32 v252, v190, v191, |v32|
; %bb.438:                              ;   in Loop: Header=BB25_378 Depth=2
	s_or_b64 exec, exec, s[34:35]
	v_cmp_nlt_f32_e64 s[34:35], |v33|, s41
                                        ; implicit-def: $vgpr190
	s_and_saveexec_b64 s[56:57], s[34:35]
	s_xor_b64 s[34:35], exec, s[56:57]
	s_cbranch_execz .LBB25_440
; %bb.439:                              ;   in Loop: Header=BB25_378 Depth=2
	v_add_f32_e64 v190, |v33|, |v33|
	v_mul_f32_e32 v191, 0x3fb8aa3b, v190
	v_rndne_f32_e32 v193, v191
	v_sub_f32_e32 v187, v191, v193
	v_fma_f32 v191, v190, s47, -v191
	v_fmac_f32_e32 v191, 0x32a5705f, v190
	v_add_f32_e32 v187, v187, v191
	v_cvt_i32_f32_e32 v191, v193
	v_exp_f32_e32 v187, v187
	v_cmp_ngt_f32_e32 vcc, s0, v190
	v_ldexp_f32 v187, v187, v191
	s_nop 0
	v_cndmask_b32_e32 v187, 0, v187, vcc
	v_cmp_nlt_f32_e32 vcc, s1, v190
	s_nop 1
	v_cndmask_b32_e32 v187, v236, v187, vcc
	v_add_f32_e32 v187, 1.0, v187
	v_rcp_f32_e32 v187, v187
	s_nop 0
	v_fma_f32 v190, v187, -2.0, 1.0
.LBB25_440:                             ;   in Loop: Header=BB25_378 Depth=2
	s_andn2_saveexec_b64 s[34:35], s[34:35]
; %bb.441:                              ;   in Loop: Header=BB25_378 Depth=2
	v_mul_f32_e32 v187, v33, v33
	v_fmamk_f32 v190, v187, 0xbbbac73d, v234
	v_fmaak_f32 v190, v187, v190, 0xbd5c1c4e
	v_fmaak_f32 v190, v187, v190, 0x3e088382
	;; [unrolled: 1-line block ×3, first 2 shown]
	v_mul_f32_e64 v190, |v33|, v190
	v_fma_f32 v190, v187, v190, |v33|
; %bb.442:                              ;   in Loop: Header=BB25_378 Depth=2
	s_or_b64 exec, exec, s[34:35]
	v_bfi_b32 v187, s62, v202, v30
	ds_read_b32 v30, v156 offset:17408
	v_bfi_b32 v18, s62, v119, v18
	v_bfi_b32 v19, s62, v136, v19
	;; [unrolled: 1-line block ×4, first 2 shown]
	s_waitcnt lgkmcnt(0)
	v_fma_mix_f32 v136, s33, v18, v30 op_sel_hi:[0,0,1]
	ds_read_b32 v18, v157 offset:17408
	v_bfi_b32 v33, s62, v190, v33
	v_fma_mix_f32 v137, s33, v19, v30 op_sel:[0,0,1] op_sel_hi:[0,0,1]
	v_bfi_b32 v22, s62, v194, v22
	v_bfi_b32 v23, s62, v195, v23
	s_waitcnt lgkmcnt(0)
	v_fma_mix_f32 v190, s33, v20, v18 op_sel_hi:[0,0,1]
	v_fma_mix_f32 v191, s33, v21, v18 op_sel:[0,0,1] op_sel_hi:[0,0,1]
	v_add_u32_e32 v18, 0x4400, v215
	ds_read2_b32 v[18:19], v18 offset1:1
	v_bfi_b32 v25, s62, v197, v25
	v_bfi_b32 v24, s62, v196, v24
	;; [unrolled: 1-line block ×4, first 2 shown]
	s_waitcnt lgkmcnt(0)
	v_fma_mix_f32 v192, s33, v22, v18 op_sel_hi:[0,0,1]
	v_fma_mix_f32 v193, s33, v23, v18 op_sel:[0,0,1] op_sel_hi:[0,0,1]
	v_add_u32_e32 v18, 0x4400, v216
	v_fma_mix_f32 v194, s33, v24, v19 op_sel_hi:[0,0,1]
	v_fma_mix_f32 v195, s33, v25, v19 op_sel:[0,0,1] op_sel_hi:[0,0,1]
	ds_read2_b32 v[18:19], v18 offset1:1
	v_bfi_b32 v31, s62, v206, v31
	v_bfi_b32 v32, s62, v252, v32
	v_add_f32_e32 v24, 0x40051340, v191
	v_bfi_b32 v29, s62, v201, v29
	s_waitcnt lgkmcnt(0)
	v_fma_mix_f32 v196, s33, v26, v18 op_sel_hi:[0,0,1]
	v_fma_mix_f32 v30, s33, v27, v18 op_sel:[0,0,1] op_sel_hi:[0,0,1]
	v_add_u32_e32 v18, 0x4400, v217
	ds_read2_b32 v[22:23], v18 offset1:1
	v_bfi_b32 v28, s62, v200, v28
	v_fma_mix_f32 v27, s33, v28, v19 op_sel_hi:[0,0,1]
	v_fma_mix_f32 v19, s33, v29, v19 op_sel:[0,0,1] op_sel_hi:[0,0,1]
	s_add_i32 s59, s59, -1
	s_waitcnt lgkmcnt(0)
	v_fma_mix_f32 v26, s33, v187, v22 op_sel_hi:[0,0,1]
	v_fma_mix_f32 v21, s33, v31, v22 op_sel:[0,0,1] op_sel_hi:[0,0,1]
	v_fma_mix_f32 v20, s33, v32, v23 op_sel_hi:[0,0,1]
	v_fma_mix_f32 v18, s33, v33, v23 op_sel:[0,0,1] op_sel_hi:[0,0,1]
	v_add_f32_e32 v22, 0x40051340, v136
	v_add_f32_e32 v23, 0x40051340, v137
	v_max3_f32 v22, v135, v22, v23
	v_add_f32_e32 v23, 0x40051340, v190
	v_max3_f32 v22, v22, v23, v24
	v_add_f32_e32 v23, 0x40051340, v192
	v_add_f32_e32 v24, 0x40051340, v193
	v_max3_f32 v22, v22, v23, v24
	v_add_f32_e32 v23, 0x40051340, v194
	;; [unrolled: 3-line block ×6, first 2 shown]
	v_add_f32_e32 v24, 0x40051340, v18
	v_max3_f32 v22, v22, v23, v24
	ds_bpermute_b32 v23, v253, v22
	v_lshl_add_u64 v[120:121], v[120:121], 0, s[68:69]
	v_lshl_add_u64 v[112:113], v[112:113], 0, s[68:69]
	;; [unrolled: 1-line block ×4, first 2 shown]
	s_waitcnt lgkmcnt(0)
	v_max_f32_e32 v23, v23, v23
	v_max_f32_e32 v22, v22, v23
	ds_bpermute_b32 v23, v254, v22
	v_lshl_add_u64 v[126:127], v[126:127], 0, s[66:67]
	v_lshl_add_u64 v[128:129], v[128:129], 0, s[66:67]
	s_cmp_lg_u32 s59, 0
	s_waitcnt lgkmcnt(0)
	v_max_f32_e32 v23, v23, v23
	v_max_f32_e32 v119, v22, v23
	v_sub_f32_e32 v22, v136, v119
	v_mul_f32_e32 v23, 0x3fb8aa3b, v22
	v_fma_f32 v24, v22, s47, -v23
	v_rndne_f32_e32 v25, v23
	v_fmac_f32_e32 v24, 0x32a5705f, v22
	v_sub_f32_e32 v23, v23, v25
	v_add_f32_e32 v23, v23, v24
	v_exp_f32_e32 v23, v23
	v_cvt_i32_f32_e32 v24, v25
	v_cmp_ngt_f32_e32 vcc, s0, v22
	v_sub_f32_e32 v30, v30, v119
	v_sub_f32_e32 v27, v27, v119
	v_ldexp_f32 v23, v23, v24
	v_cndmask_b32_e32 v23, 0, v23, vcc
	v_cmp_nlt_f32_e32 vcc, s1, v22
	v_sub_f32_e32 v19, v19, v119
	v_sub_f32_e32 v26, v26, v119
	v_cndmask_b32_e32 v22, v236, v23, vcc
	v_sub_f32_e32 v23, v137, v119
	v_mul_f32_e32 v24, 0x3fb8aa3b, v23
	v_fma_f32 v25, v23, s47, -v24
	v_rndne_f32_e32 v28, v24
	v_fmac_f32_e32 v25, 0x32a5705f, v23
	v_sub_f32_e32 v24, v24, v28
	v_add_f32_e32 v24, v24, v25
	v_exp_f32_e32 v24, v24
	v_cvt_i32_f32_e32 v25, v28
	v_cmp_ngt_f32_e32 vcc, s0, v23
	v_sub_f32_e32 v21, v21, v119
	v_sub_f32_e32 v20, v20, v119
	v_ldexp_f32 v24, v24, v25
	v_cndmask_b32_e32 v24, 0, v24, vcc
	v_cmp_nlt_f32_e32 vcc, s1, v23
	v_sub_f32_e32 v18, v18, v119
	s_nop 0
	v_cndmask_b32_e32 v23, v236, v24, vcc
	v_sub_f32_e32 v24, v190, v119
	v_mul_f32_e32 v28, 0x3fb8aa3b, v24
	v_fma_f32 v29, v24, s47, -v28
	v_rndne_f32_e32 v31, v28
	v_fmac_f32_e32 v29, 0x32a5705f, v24
	v_sub_f32_e32 v28, v28, v31
	v_add_f32_e32 v28, v28, v29
	v_exp_f32_e32 v28, v28
	v_cvt_i32_f32_e32 v29, v31
	v_cmp_ngt_f32_e32 vcc, s0, v24
	v_add_f32_e32 v25, v22, v23
	v_ldexp_f32 v28, v28, v29
	v_cndmask_b32_e32 v28, 0, v28, vcc
	v_cmp_nlt_f32_e32 vcc, s1, v24
	s_nop 1
	v_cndmask_b32_e32 v24, v236, v28, vcc
	v_add_f32_e32 v28, v24, v25
	v_sub_f32_e32 v25, v191, v119
	v_mul_f32_e32 v29, 0x3fb8aa3b, v25
	v_fma_f32 v31, v25, s47, -v29
	v_rndne_f32_e32 v32, v29
	v_fmac_f32_e32 v31, 0x32a5705f, v25
	v_sub_f32_e32 v29, v29, v32
	v_add_f32_e32 v29, v29, v31
	v_exp_f32_e32 v29, v29
	v_cvt_i32_f32_e32 v31, v32
	v_cmp_ngt_f32_e32 vcc, s0, v25
	v_ldexp_f32 v29, v29, v31
	s_nop 0
	v_cndmask_b32_e32 v29, 0, v29, vcc
	v_cmp_nlt_f32_e32 vcc, s1, v25
	s_nop 1
	v_cndmask_b32_e32 v25, v236, v29, vcc
	v_add_f32_e32 v29, v25, v28
	v_sub_f32_e32 v28, v192, v119
	v_mul_f32_e32 v31, 0x3fb8aa3b, v28
	v_fma_f32 v32, v28, s47, -v31
	v_rndne_f32_e32 v33, v31
	v_fmac_f32_e32 v32, 0x32a5705f, v28
	v_sub_f32_e32 v31, v31, v33
	v_add_f32_e32 v31, v31, v32
	v_exp_f32_e32 v31, v31
	v_cvt_i32_f32_e32 v32, v33
	v_cmp_ngt_f32_e32 vcc, s0, v28
	v_ldexp_f32 v31, v31, v32
	s_nop 0
	;; [unrolled: 17-line block ×3, first 2 shown]
	v_cndmask_b32_e32 v32, 0, v32, vcc
	v_cmp_nlt_f32_e32 vcc, s1, v29
	s_nop 1
	v_cndmask_b32_e32 v29, v236, v32, vcc
	v_sub_f32_e32 v32, v194, v119
	v_mul_f32_e32 v33, 0x3fb8aa3b, v32
	v_fma_f32 v136, v32, s47, -v33
	v_rndne_f32_e32 v137, v33
	v_fmac_f32_e32 v136, 0x32a5705f, v32
	v_sub_f32_e32 v33, v33, v137
	v_add_f32_e32 v33, v33, v136
	v_exp_f32_e32 v33, v33
	v_cvt_i32_f32_e32 v136, v137
	v_cmp_ngt_f32_e32 vcc, s0, v32
	v_add_f32_e32 v31, v29, v31
	v_ldexp_f32 v33, v33, v136
	v_cndmask_b32_e32 v33, 0, v33, vcc
	v_cmp_nlt_f32_e32 vcc, s1, v32
	s_nop 1
	v_cndmask_b32_e32 v32, v236, v33, vcc
	v_sub_f32_e32 v33, v195, v119
	v_mul_f32_e32 v136, 0x3fb8aa3b, v33
	v_fma_f32 v137, v33, s47, -v136
	v_rndne_f32_e32 v187, v136
	v_fmac_f32_e32 v137, 0x32a5705f, v33
	v_sub_f32_e32 v136, v136, v187
	v_add_f32_e32 v136, v136, v137
	v_exp_f32_e32 v136, v136
	v_cvt_i32_f32_e32 v137, v187
	v_cmp_ngt_f32_e32 vcc, s0, v33
	v_add_f32_e32 v31, v32, v31
	v_ldexp_f32 v136, v136, v137
	v_cndmask_b32_e32 v136, 0, v136, vcc
	v_cmp_nlt_f32_e32 vcc, s1, v33
	v_sub_f32_e32 v33, v196, v119
	s_nop 0
	v_cndmask_b32_e32 v202, v236, v136, vcc
	v_mul_f32_e32 v136, 0x3fb8aa3b, v33
	v_fma_f32 v137, v33, s47, -v136
	v_rndne_f32_e32 v187, v136
	v_fmac_f32_e32 v137, 0x32a5705f, v33
	v_sub_f32_e32 v136, v136, v187
	v_add_f32_e32 v136, v136, v137
	v_exp_f32_e32 v136, v136
	v_cvt_i32_f32_e32 v137, v187
	v_cmp_ngt_f32_e32 vcc, s0, v33
	v_add_f32_e32 v31, v202, v31
	v_ldexp_f32 v136, v136, v137
	v_cndmask_b32_e32 v136, 0, v136, vcc
	v_cmp_nlt_f32_e32 vcc, s1, v33
	v_mul_f32_e32 v33, 0x3fb8aa3b, v30
	v_rndne_f32_e32 v137, v33
	v_cndmask_b32_e32 v197, v236, v136, vcc
	v_fma_f32 v136, v30, s47, -v33
	v_fmac_f32_e32 v136, 0x32a5705f, v30
	v_sub_f32_e32 v33, v33, v137
	v_add_f32_e32 v33, v33, v136
	v_exp_f32_e32 v33, v33
	v_cvt_i32_f32_e32 v136, v137
	v_cmp_ngt_f32_e32 vcc, s0, v30
	v_add_f32_e32 v31, v197, v31
	v_cvt_pk_f16_f32 v137, v24, v25
	v_ldexp_f32 v33, v33, v136
	v_cndmask_b32_e32 v33, 0, v33, vcc
	v_cmp_nlt_f32_e32 vcc, s1, v30
	s_nop 1
	v_cndmask_b32_e32 v200, v236, v33, vcc
	v_add_f32_e32 v30, v200, v31
	v_mul_f32_e32 v31, 0x3fb8aa3b, v27
	v_fma_f32 v33, v27, s47, -v31
	v_rndne_f32_e32 v136, v31
	v_fmac_f32_e32 v33, 0x32a5705f, v27
	v_sub_f32_e32 v31, v31, v136
	v_add_f32_e32 v31, v31, v33
	v_exp_f32_e32 v31, v31
	v_cvt_i32_f32_e32 v33, v136
	v_cmp_ngt_f32_e32 vcc, s0, v27
	v_cvt_pk_f16_f32 v136, v22, v23
	v_ldexp_f32 v31, v31, v33
	v_cndmask_b32_e32 v31, 0, v31, vcc
	v_cmp_nlt_f32_e32 vcc, s1, v27
	s_nop 1
	v_cndmask_b32_e32 v198, v236, v31, vcc
	v_add_f32_e32 v27, v198, v30
	v_mul_f32_e32 v30, 0x3fb8aa3b, v19
	v_fma_f32 v31, v19, s47, -v30
	v_rndne_f32_e32 v33, v30
	v_fmac_f32_e32 v31, 0x32a5705f, v19
	v_sub_f32_e32 v30, v30, v33
	v_add_f32_e32 v30, v30, v31
	v_exp_f32_e32 v30, v30
	v_cvt_i32_f32_e32 v31, v33
	v_cmp_ngt_f32_e32 vcc, s0, v19
	v_ldexp_f32 v30, v30, v31
	s_nop 0
	v_cndmask_b32_e32 v30, 0, v30, vcc
	v_cmp_nlt_f32_e32 vcc, s1, v19
	s_nop 1
	v_cndmask_b32_e32 v196, v236, v30, vcc
	v_add_f32_e32 v19, v196, v27
	v_mul_f32_e32 v27, 0x3fb8aa3b, v26
	v_fma_f32 v30, v26, s47, -v27
	v_rndne_f32_e32 v31, v27
	v_fmac_f32_e32 v30, 0x32a5705f, v26
	v_sub_f32_e32 v27, v27, v31
	v_add_f32_e32 v27, v27, v30
	v_exp_f32_e32 v27, v27
	v_cvt_i32_f32_e32 v30, v31
	v_cmp_ngt_f32_e32 vcc, s0, v26
	v_ldexp_f32 v27, v27, v30
	s_nop 0
	v_cndmask_b32_e32 v27, 0, v27, vcc
	v_cmp_nlt_f32_e32 vcc, s1, v26
	v_mul_f32_e32 v26, 0x3fb8aa3b, v21
	v_rndne_f32_e32 v30, v26
	v_cndmask_b32_e32 v194, v236, v27, vcc
	v_fma_f32 v27, v21, s47, -v26
	v_fmac_f32_e32 v27, 0x32a5705f, v21
	v_sub_f32_e32 v26, v26, v30
	v_add_f32_e32 v26, v26, v27
	v_exp_f32_e32 v26, v26
	v_cvt_i32_f32_e32 v27, v30
	v_cmp_ngt_f32_e32 vcc, s0, v21
	v_add_f32_e32 v19, v194, v19
	v_ldexp_f32 v26, v26, v27
	v_cndmask_b32_e32 v26, 0, v26, vcc
	v_cmp_nlt_f32_e32 vcc, s1, v21
	v_mul_f32_e32 v21, 0x3fb8aa3b, v20
	v_rndne_f32_e32 v27, v21
	v_cndmask_b32_e32 v192, v236, v26, vcc
	v_fma_f32 v26, v20, s47, -v21
	v_fmac_f32_e32 v26, 0x32a5705f, v20
	v_sub_f32_e32 v21, v21, v27
	v_add_f32_e32 v21, v21, v26
	v_exp_f32_e32 v21, v21
	v_cvt_i32_f32_e32 v26, v27
	v_cmp_ngt_f32_e32 vcc, s0, v20
	v_add_f32_e32 v19, v192, v19
	v_ldexp_f32 v21, v21, v26
	;; [unrolled: 14-line block ×3, first 2 shown]
	v_cndmask_b32_e32 v20, 0, v20, vcc
	v_cmp_nlt_f32_e32 vcc, s1, v18
	v_sub_f32_e32 v18, v135, v119
	v_cvt_pk_f16_f32 v135, v32, v202
	v_cndmask_b32_e32 v206, v236, v20, vcc
	v_add_f32_e32 v252, v206, v19
	v_mul_f32_e32 v19, 0x3fb8aa3b, v18
	v_fma_f32 v20, v18, s47, -v19
	v_rndne_f32_e32 v21, v19
	v_fmac_f32_e32 v20, 0x32a5705f, v18
	v_sub_f32_e32 v19, v19, v21
	v_add_f32_e32 v19, v19, v20
	v_exp_f32_e32 v19, v19
	v_cvt_i32_f32_e32 v20, v21
	v_cmp_ngt_f32_e32 vcc, s0, v18
	v_ldexp_f32 v19, v19, v20
	s_nop 0
	v_cndmask_b32_e32 v19, 0, v19, vcc
	v_cmp_nlt_f32_e32 vcc, s1, v18
	s_nop 1
	v_cndmask_b32_e32 v19, v236, v19, vcc
	v_cmp_le_f32_e32 vcc, s63, v18
	s_nop 1
	v_cndmask_b32_e32 v18, 0, v19, vcc
	v_fmac_f32_e32 v252, v134, v18
	v_cvt_f16_f32_e32 v18, v18
	v_cvt_pk_f16_f32 v134, v28, v29
	v_mul_u32_u24_e32 v18, 0x10001, v18
	v_pk_mul_f16 v133, v133, v18
	v_pk_mul_f16 v132, v132, v18
	;; [unrolled: 1-line block ×16, first 2 shown]
	v_lshl_add_u64 v[18:19], v[114:115], 0, v[72:73]
	global_load_dwordx4 v[18:21], v[18:19], off
	v_lshl_add_u64 v[36:37], v[116:117], 0, v[72:73]
	v_lshl_add_u64 v[40:41], v[122:123], 0, v[72:73]
	;; [unrolled: 1-line block ×7, first 2 shown]
	s_waitcnt vmcnt(0)
	ds_write_b128 v75, v[18:21]
	global_load_dwordx4 v[18:21], v[36:37], off
	s_waitcnt vmcnt(0)
	ds_write_b128 v212, v[18:21]
	global_load_dwordx4 v[18:21], v[40:41], off
	;; [unrolled: 3-line block ×3, first 2 shown]
	v_cvt_pk_f16_f32 v131, v195, v206
	v_cvt_pk_f16_f32 v130, v194, v192
	v_cvt_f32_f16_e32 v194, v27
	v_cvt_f32_f16_sdwa v195, v27 dst_sel:DWORD dst_unused:UNUSED_PAD src0_sel:WORD_1
	s_waitcnt vmcnt(0)
	ds_write_b128 v214, v[18:21]
	s_waitcnt lgkmcnt(0)
	s_barrier
	ds_read_u16 v36, v158 offset:272
	ds_read_u16 v37, v158 offset:544
	ds_read_u16 v40, v159
	ds_read_u16 v41, v159 offset:32
	v_cvt_f32_f16_e32 v18, v133
	v_cvt_f32_f16_sdwa v19, v133 dst_sel:DWORD dst_unused:UNUSED_PAD src0_sel:WORD_1
	v_cvt_f32_f16_e32 v20, v132
	s_waitcnt lgkmcnt(1)
	v_perm_b32 v37, v40, v37, s2
	ds_read_u16 v40, v158
	ds_read_u16 v44, v158 offset:32
	v_cvt_f32_f16_sdwa v21, v132 dst_sel:DWORD dst_unused:UNUSED_PAD src0_sel:WORD_1
	ds_read_u16 v22, v158 offset:4352
	ds_read_u16 v24, v158 offset:4624
	;; [unrolled: 1-line block ×4, first 2 shown]
	v_cvt_pk_f16_f32 v133, v198, v196
	s_waitcnt lgkmcnt(5)
	v_perm_b32 v36, v36, v40, s2
	s_waitcnt lgkmcnt(2)
	v_perm_b32 v22, v24, v22, s2
	v_cvt_pk_f16_f32 v132, v197, v200
	v_mfma_f32_16x16x16_f16 v[18:21], v[36:37], v[136:137], v[18:21]
	s_waitcnt lgkmcnt(0)
	v_perm_b32 v23, v25, v23, s2
	v_cvt_f32_f16_e32 v196, v26
	v_cvt_f32_f16_sdwa v197, v26 dst_sel:DWORD dst_unused:UNUSED_PAD src0_sel:WORD_1
	s_nop 3
	v_cvt_f16_f32_e32 v18, v18
	v_cvt_f16_f32_e32 v19, v19
	;; [unrolled: 1-line block ×4, first 2 shown]
	v_cvt_f32_f16_e32 v18, v18
	v_cvt_f32_f16_e32 v19, v19
	v_cvt_f32_f16_e32 v20, v20
	v_cvt_f32_f16_e32 v21, v21
	s_nop 1
	v_mfma_f32_16x16x16_f16 v[18:21], v[22:23], v[134:135], v[18:21]
	ds_read_u16 v22, v158 offset:8704
	ds_read_u16 v24, v158 offset:8976
	;; [unrolled: 1-line block ×4, first 2 shown]
	s_nop 3
	v_cvt_f16_f32_e32 v18, v18
	v_cvt_f16_f32_e32 v19, v19
	;; [unrolled: 1-line block ×4, first 2 shown]
	s_waitcnt lgkmcnt(0)
	v_perm_b32 v23, v25, v23, s2
	v_perm_b32 v22, v24, v22, s2
	v_cvt_f32_f16_e32 v18, v18
	v_cvt_f32_f16_e32 v19, v19
	;; [unrolled: 1-line block ×4, first 2 shown]
	s_nop 1
	v_mfma_f32_16x16x16_f16 v[18:21], v[22:23], v[132:133], v[18:21]
	ds_read_u16 v22, v158 offset:13056
	ds_read_u16 v24, v158 offset:13328
	;; [unrolled: 1-line block ×6, first 2 shown]
	s_nop 1
	v_cvt_f16_f32_e32 v18, v18
	v_cvt_f16_f32_e32 v19, v19
	;; [unrolled: 1-line block ×4, first 2 shown]
	s_waitcnt lgkmcnt(2)
	v_perm_b32 v23, v25, v23, s2
	v_perm_b32 v22, v24, v22, s2
	v_cvt_f32_f16_e32 v18, v18
	v_cvt_f32_f16_e32 v19, v19
	;; [unrolled: 1-line block ×4, first 2 shown]
	s_waitcnt lgkmcnt(0)
	v_perm_b32 v29, v41, v29, s2
	v_perm_b32 v28, v28, v44, s2
	v_mfma_f32_16x16x16_f16 v[18:21], v[22:23], v[130:131], v[18:21]
	v_cvt_f32_f16_e32 v22, v45
	v_cvt_f32_f16_sdwa v23, v45 dst_sel:DWORD dst_unused:UNUSED_PAD src0_sel:WORD_1
	v_cvt_f32_f16_e32 v24, v33
	v_cvt_f32_f16_sdwa v25, v33 dst_sel:DWORD dst_unused:UNUSED_PAD src0_sel:WORD_1
	s_nop 1
	v_mfma_f32_16x16x16_f16 v[22:25], v[28:29], v[136:137], v[22:25]
	ds_read_u16 v28, v158 offset:4384
	ds_read_u16 v32, v158 offset:4656
	ds_read_u16 v29, v158 offset:4928
	ds_read_u16 v33, v159 offset:4384
	s_nop 3
	v_cvt_f16_f32_e32 v22, v22
	v_cvt_f16_f32_e32 v23, v23
	v_cvt_f16_f32_e32 v24, v24
	v_cvt_f16_f32_e32 v25, v25
	s_waitcnt lgkmcnt(0)
	v_perm_b32 v29, v33, v29, s2
	v_perm_b32 v28, v32, v28, s2
	v_cvt_f32_f16_e32 v22, v22
	v_cvt_f32_f16_e32 v23, v23
	v_cvt_f32_f16_e32 v24, v24
	v_cvt_f32_f16_e32 v25, v25
	s_nop 1
	v_mfma_f32_16x16x16_f16 v[22:25], v[28:29], v[134:135], v[22:25]
	ds_read_u16 v28, v158 offset:8736
	ds_read_u16 v32, v158 offset:9008
	ds_read_u16 v29, v158 offset:9280
	ds_read_u16 v33, v159 offset:8736
	s_nop 3
	v_cvt_f16_f32_e32 v22, v22
	v_cvt_f16_f32_e32 v23, v23
	v_cvt_f16_f32_e32 v24, v24
	v_cvt_f16_f32_e32 v25, v25
	s_waitcnt lgkmcnt(0)
	v_perm_b32 v29, v33, v29, s2
	v_perm_b32 v28, v32, v28, s2
	v_cvt_f32_f16_e32 v22, v22
	v_cvt_f32_f16_e32 v23, v23
	v_cvt_f32_f16_e32 v24, v24
	v_cvt_f32_f16_e32 v25, v25
	;; [unrolled: 18-line block ×3, first 2 shown]
	s_nop 1
	v_mfma_f32_16x16x16_f16 v[22:25], v[28:29], v[130:131], v[22:25]
	ds_read_u16 v28, v158 offset:64
	ds_read_u16 v29, v158 offset:336
	;; [unrolled: 1-line block ×4, first 2 shown]
	s_waitcnt lgkmcnt(2)
	v_perm_b32 v26, v29, v28, s2
	s_waitcnt lgkmcnt(0)
	v_perm_b32 v27, v33, v32, s2
	ds_read_u16 v32, v158 offset:4416
	ds_read_u16 v36, v158 offset:4688
	;; [unrolled: 1-line block ×4, first 2 shown]
	v_mfma_f32_16x16x16_f16 v[26:29], v[26:27], v[136:137], v[194:197]
	s_waitcnt lgkmcnt(0)
	v_perm_b32 v33, v37, v33, s2
	v_perm_b32 v32, v36, v32, s2
	v_cvt_f32_f16_e32 v194, v31
	s_nop 3
	v_cvt_f16_f32_e32 v26, v26
	v_cvt_f16_f32_e32 v27, v27
	;; [unrolled: 1-line block ×4, first 2 shown]
	v_cvt_f32_f16_e32 v26, v26
	v_cvt_f32_f16_e32 v27, v27
	;; [unrolled: 1-line block ×4, first 2 shown]
	v_cvt_f32_f16_sdwa v195, v31 dst_sel:DWORD dst_unused:UNUSED_PAD src0_sel:WORD_1
	v_cvt_f32_f16_e32 v196, v30
	v_mfma_f32_16x16x16_f16 v[26:29], v[32:33], v[134:135], v[26:29]
	ds_read_u16 v32, v158 offset:8768
	ds_read_u16 v36, v158 offset:9040
	;; [unrolled: 1-line block ×4, first 2 shown]
	v_cvt_f32_f16_sdwa v197, v30 dst_sel:DWORD dst_unused:UNUSED_PAD src0_sel:WORD_1
	s_nop 2
	v_cvt_f16_f32_e32 v26, v26
	v_cvt_f16_f32_e32 v27, v27
	;; [unrolled: 1-line block ×4, first 2 shown]
	s_waitcnt lgkmcnt(0)
	v_perm_b32 v33, v37, v33, s2
	v_perm_b32 v32, v36, v32, s2
	v_cvt_f32_f16_e32 v26, v26
	v_cvt_f32_f16_e32 v27, v27
	;; [unrolled: 1-line block ×4, first 2 shown]
	s_nop 1
	v_mfma_f32_16x16x16_f16 v[26:29], v[32:33], v[132:133], v[26:29]
	ds_read_u16 v32, v158 offset:13120
	ds_read_u16 v36, v158 offset:13392
	;; [unrolled: 1-line block ×4, first 2 shown]
	s_nop 3
	v_cvt_f16_f32_e32 v26, v26
	v_cvt_f16_f32_e32 v27, v27
	;; [unrolled: 1-line block ×4, first 2 shown]
	s_waitcnt lgkmcnt(0)
	v_perm_b32 v33, v37, v33, s2
	v_perm_b32 v32, v36, v32, s2
	v_cvt_f32_f16_e32 v26, v26
	v_cvt_f32_f16_e32 v27, v27
	;; [unrolled: 1-line block ×4, first 2 shown]
	s_nop 1
	v_mfma_f32_16x16x16_f16 v[26:29], v[32:33], v[130:131], v[26:29]
	ds_read_u16 v32, v158 offset:96
	ds_read_u16 v33, v158 offset:368
	;; [unrolled: 1-line block ×4, first 2 shown]
	s_waitcnt lgkmcnt(2)
	v_perm_b32 v30, v33, v32, s2
	s_waitcnt lgkmcnt(0)
	v_perm_b32 v31, v37, v36, s2
	ds_read_u16 v36, v158 offset:4448
	ds_read_u16 v40, v158 offset:4720
	;; [unrolled: 1-line block ×4, first 2 shown]
	v_mfma_f32_16x16x16_f16 v[30:33], v[30:31], v[136:137], v[194:197]
	s_waitcnt lgkmcnt(0)
	v_perm_b32 v37, v41, v37, s2
	v_perm_b32 v36, v40, v36, s2
	v_cvt_f32_f16_e32 v194, v35
	s_nop 3
	v_cvt_f16_f32_e32 v30, v30
	v_cvt_f16_f32_e32 v31, v31
	;; [unrolled: 1-line block ×4, first 2 shown]
	v_cvt_f32_f16_e32 v30, v30
	v_cvt_f32_f16_e32 v31, v31
	;; [unrolled: 1-line block ×4, first 2 shown]
	v_cvt_f32_f16_sdwa v195, v35 dst_sel:DWORD dst_unused:UNUSED_PAD src0_sel:WORD_1
	v_cvt_f32_f16_e32 v196, v34
	v_mfma_f32_16x16x16_f16 v[30:33], v[36:37], v[134:135], v[30:33]
	ds_read_u16 v36, v158 offset:8800
	ds_read_u16 v40, v158 offset:9072
	;; [unrolled: 1-line block ×4, first 2 shown]
	v_cvt_f32_f16_sdwa v197, v34 dst_sel:DWORD dst_unused:UNUSED_PAD src0_sel:WORD_1
	s_nop 2
	v_cvt_f16_f32_e32 v30, v30
	v_cvt_f16_f32_e32 v31, v31
	;; [unrolled: 1-line block ×4, first 2 shown]
	s_waitcnt lgkmcnt(0)
	v_perm_b32 v37, v41, v37, s2
	v_perm_b32 v36, v40, v36, s2
	v_cvt_f32_f16_e32 v30, v30
	v_cvt_f32_f16_e32 v31, v31
	;; [unrolled: 1-line block ×4, first 2 shown]
	s_nop 1
	v_mfma_f32_16x16x16_f16 v[30:33], v[36:37], v[132:133], v[30:33]
	ds_read_u16 v36, v158 offset:13152
	ds_read_u16 v40, v158 offset:13424
	;; [unrolled: 1-line block ×4, first 2 shown]
	s_nop 3
	v_cvt_f16_f32_e32 v30, v30
	v_cvt_f16_f32_e32 v31, v31
	v_cvt_f16_f32_e32 v32, v32
	v_cvt_f16_f32_e32 v33, v33
	s_waitcnt lgkmcnt(0)
	v_perm_b32 v37, v41, v37, s2
	v_perm_b32 v36, v40, v36, s2
	v_cvt_f32_f16_e32 v30, v30
	v_cvt_f32_f16_e32 v31, v31
	;; [unrolled: 1-line block ×4, first 2 shown]
	s_nop 1
	v_mfma_f32_16x16x16_f16 v[30:33], v[36:37], v[130:131], v[30:33]
	ds_read_u16 v36, v158 offset:128
	ds_read_u16 v37, v158 offset:400
	;; [unrolled: 1-line block ×4, first 2 shown]
	s_waitcnt lgkmcnt(2)
	v_perm_b32 v34, v37, v36, s2
	s_waitcnt lgkmcnt(0)
	v_perm_b32 v35, v41, v40, s2
	ds_read_u16 v40, v158 offset:4480
	ds_read_u16 v44, v158 offset:4752
	;; [unrolled: 1-line block ×4, first 2 shown]
	v_mfma_f32_16x16x16_f16 v[34:37], v[34:35], v[136:137], v[194:197]
	s_waitcnt lgkmcnt(0)
	v_perm_b32 v41, v45, v41, s2
	v_perm_b32 v40, v44, v40, s2
	v_cvt_f32_f16_e32 v194, v39
	s_nop 3
	v_cvt_f16_f32_e32 v34, v34
	v_cvt_f16_f32_e32 v35, v35
	;; [unrolled: 1-line block ×4, first 2 shown]
	v_cvt_f32_f16_e32 v34, v34
	v_cvt_f32_f16_e32 v35, v35
	;; [unrolled: 1-line block ×4, first 2 shown]
	v_cvt_f32_f16_sdwa v195, v39 dst_sel:DWORD dst_unused:UNUSED_PAD src0_sel:WORD_1
	v_cvt_f32_f16_e32 v196, v38
	v_mfma_f32_16x16x16_f16 v[34:37], v[40:41], v[134:135], v[34:37]
	ds_read_u16 v40, v158 offset:8832
	ds_read_u16 v44, v158 offset:9104
	;; [unrolled: 1-line block ×4, first 2 shown]
	v_cvt_f32_f16_sdwa v197, v38 dst_sel:DWORD dst_unused:UNUSED_PAD src0_sel:WORD_1
	s_nop 2
	v_cvt_f16_f32_e32 v34, v34
	v_cvt_f16_f32_e32 v35, v35
	v_cvt_f16_f32_e32 v36, v36
	v_cvt_f16_f32_e32 v37, v37
	s_waitcnt lgkmcnt(0)
	v_perm_b32 v41, v45, v41, s2
	v_perm_b32 v40, v44, v40, s2
	v_cvt_f32_f16_e32 v34, v34
	v_cvt_f32_f16_e32 v35, v35
	v_cvt_f32_f16_e32 v36, v36
	v_cvt_f32_f16_e32 v37, v37
	s_nop 1
	v_mfma_f32_16x16x16_f16 v[34:37], v[40:41], v[132:133], v[34:37]
	ds_read_u16 v40, v158 offset:13184
	ds_read_u16 v44, v158 offset:13456
	;; [unrolled: 1-line block ×4, first 2 shown]
	s_nop 3
	v_cvt_f16_f32_e32 v34, v34
	v_cvt_f16_f32_e32 v35, v35
	;; [unrolled: 1-line block ×4, first 2 shown]
	s_waitcnt lgkmcnt(0)
	v_perm_b32 v41, v45, v41, s2
	v_perm_b32 v40, v44, v40, s2
	v_cvt_f32_f16_e32 v34, v34
	v_cvt_f32_f16_e32 v35, v35
	;; [unrolled: 1-line block ×4, first 2 shown]
	s_nop 1
	v_mfma_f32_16x16x16_f16 v[34:37], v[40:41], v[130:131], v[34:37]
	ds_read_u16 v40, v158 offset:160
	ds_read_u16 v41, v158 offset:432
	;; [unrolled: 1-line block ×4, first 2 shown]
	s_waitcnt lgkmcnt(2)
	v_perm_b32 v38, v41, v40, s2
	s_nop 1
	v_cvt_pk_f16_f32 v35, v34, v35
	s_waitcnt lgkmcnt(0)
	v_perm_b32 v39, v45, v44, s2
	ds_read_u16 v44, v158 offset:4512
	ds_read_u16 v187, v158 offset:4784
	;; [unrolled: 1-line block ×4, first 2 shown]
	v_mfma_f32_16x16x16_f16 v[38:41], v[38:39], v[136:137], v[194:197]
	s_waitcnt lgkmcnt(0)
	v_perm_b32 v45, v190, v45, s2
	v_perm_b32 v44, v187, v44, s2
	v_cvt_f32_f16_e32 v194, v43
	s_nop 3
	v_cvt_f16_f32_e32 v38, v38
	v_cvt_f16_f32_e32 v39, v39
	;; [unrolled: 1-line block ×4, first 2 shown]
	v_cvt_f32_f16_e32 v38, v38
	v_cvt_f32_f16_e32 v39, v39
	;; [unrolled: 1-line block ×4, first 2 shown]
	v_cvt_f32_f16_sdwa v195, v43 dst_sel:DWORD dst_unused:UNUSED_PAD src0_sel:WORD_1
	v_cvt_f32_f16_e32 v196, v42
	v_mfma_f32_16x16x16_f16 v[38:41], v[44:45], v[134:135], v[38:41]
	ds_read_u16 v44, v158 offset:8864
	ds_read_u16 v187, v158 offset:9136
	;; [unrolled: 1-line block ×4, first 2 shown]
	v_cvt_f32_f16_sdwa v197, v42 dst_sel:DWORD dst_unused:UNUSED_PAD src0_sel:WORD_1
	v_cvt_pk_f16_f32 v34, v36, v37
	s_nop 1
	v_cvt_f16_f32_e32 v38, v38
	v_cvt_f16_f32_e32 v39, v39
	;; [unrolled: 1-line block ×4, first 2 shown]
	s_waitcnt lgkmcnt(0)
	v_perm_b32 v45, v190, v45, s2
	v_perm_b32 v44, v187, v44, s2
	v_cvt_f32_f16_e32 v38, v38
	v_cvt_f32_f16_e32 v39, v39
	;; [unrolled: 1-line block ×4, first 2 shown]
	v_cvt_pk_f16_f32 v37, v30, v31
	v_cvt_pk_f16_f32 v36, v32, v33
	v_mfma_f32_16x16x16_f16 v[38:41], v[44:45], v[132:133], v[38:41]
	ds_read_u16 v44, v158 offset:13216
	ds_read_u16 v187, v158 offset:13488
	;; [unrolled: 1-line block ×4, first 2 shown]
	s_nop 3
	v_cvt_f16_f32_e32 v38, v38
	v_cvt_f16_f32_e32 v39, v39
	v_cvt_f16_f32_e32 v40, v40
	v_cvt_f16_f32_e32 v41, v41
	s_waitcnt lgkmcnt(0)
	v_perm_b32 v45, v190, v45, s2
	v_perm_b32 v44, v187, v44, s2
	v_cvt_f32_f16_e32 v38, v38
	v_cvt_f32_f16_e32 v39, v39
	;; [unrolled: 1-line block ×4, first 2 shown]
	s_nop 1
	v_mfma_f32_16x16x16_f16 v[38:41], v[44:45], v[130:131], v[38:41]
	ds_read_u16 v44, v158 offset:192
	ds_read_u16 v45, v158 offset:464
	;; [unrolled: 1-line block ×4, first 2 shown]
	s_waitcnt lgkmcnt(2)
	v_perm_b32 v42, v45, v44, s2
	s_nop 1
	v_cvt_pk_f16_f32 v39, v38, v39
	s_waitcnt lgkmcnt(0)
	v_perm_b32 v43, v190, v187, s2
	ds_read_u16 v187, v158 offset:4544
	ds_read_u16 v190, v158 offset:4816
	;; [unrolled: 1-line block ×4, first 2 shown]
	v_mfma_f32_16x16x16_f16 v[42:45], v[42:43], v[136:137], v[194:197]
	s_waitcnt lgkmcnt(0)
	s_nop 1
	v_perm_b32 v195, v192, v191, s2
	v_perm_b32 v194, v190, v187, s2
	ds_read_u16 v187, v158 offset:8896
	ds_read_u16 v190, v158 offset:9168
	;; [unrolled: 1-line block ×4, first 2 shown]
	v_cvt_f16_f32_e32 v42, v42
	v_cvt_f16_f32_e32 v43, v43
	;; [unrolled: 1-line block ×4, first 2 shown]
	v_cvt_f32_f16_e32 v42, v42
	v_cvt_f32_f16_e32 v43, v43
	v_cvt_f32_f16_e32 v44, v44
	v_cvt_f32_f16_e32 v45, v45
	v_cvt_f32_f16_e32 v196, v201
	v_cvt_f32_f16_sdwa v197, v201 dst_sel:DWORD dst_unused:UNUSED_PAD src0_sel:WORD_1
	v_mfma_f32_16x16x16_f16 v[42:45], v[194:195], v[134:135], v[42:45]
	s_waitcnt lgkmcnt(0)
	v_perm_b32 v195, v192, v191, s2
	v_perm_b32 v194, v190, v187, s2
	ds_read_u16 v187, v158 offset:13248
	ds_read_u16 v190, v158 offset:13520
	;; [unrolled: 1-line block ×4, first 2 shown]
	s_nop 0
	v_cvt_f16_f32_e32 v42, v42
	v_cvt_f16_f32_e32 v43, v43
	;; [unrolled: 1-line block ×4, first 2 shown]
	v_cvt_f32_f16_e32 v42, v42
	v_cvt_f32_f16_e32 v43, v43
	;; [unrolled: 1-line block ×4, first 2 shown]
	v_cvt_pk_f16_f32 v38, v40, v41
	v_cvt_pk_f16_f32 v41, v26, v27
	v_mfma_f32_16x16x16_f16 v[42:45], v[194:195], v[132:133], v[42:45]
	s_waitcnt lgkmcnt(0)
	v_perm_b32 v195, v192, v191, s2
	v_perm_b32 v194, v190, v187, s2
	ds_read_u16 v187, v158 offset:224
	ds_read_u16 v190, v158 offset:496
	;; [unrolled: 1-line block ×4, first 2 shown]
	s_nop 0
	v_cvt_f16_f32_e32 v42, v42
	v_cvt_f16_f32_e32 v43, v43
	;; [unrolled: 1-line block ×4, first 2 shown]
	v_cvt_f32_f16_e32 v42, v42
	v_cvt_f32_f16_e32 v43, v43
	;; [unrolled: 1-line block ×4, first 2 shown]
	s_waitcnt lgkmcnt(2)
	v_perm_b32 v198, v190, v187, s2
	v_cvt_pk_f16_f32 v40, v28, v29
	v_mfma_f32_16x16x16_f16 v[42:45], v[194:195], v[130:131], v[42:45]
	v_cvt_f32_f16_e32 v194, v199
	v_cvt_f32_f16_sdwa v195, v199 dst_sel:DWORD dst_unused:UNUSED_PAD src0_sel:WORD_1
	s_waitcnt lgkmcnt(0)
	v_perm_b32 v199, v192, v191, s2
	s_nop 1
	v_mfma_f32_16x16x16_f16 v[194:197], v[198:199], v[136:137], v[194:197]
	ds_read_u16 v191, v158 offset:4576
	ds_read_u16 v192, v158 offset:4848
	ds_read_u16 v193, v158 offset:5120
	ds_read_u16 v198, v159 offset:4576
	v_cvt_pk_f16_f32 v43, v42, v43
	v_cvt_pk_f16_f32 v42, v44, v45
	s_nop 1
	v_cvt_f16_f32_e32 v136, v194
	v_cvt_f16_f32_e32 v137, v195
	;; [unrolled: 1-line block ×4, first 2 shown]
	v_cvt_f32_f16_e32 v194, v136
	v_cvt_f32_f16_e32 v195, v137
	s_waitcnt lgkmcnt(0)
	v_perm_b32 v137, v198, v193, s2
	v_perm_b32 v136, v192, v191, s2
	v_cvt_f32_f16_e32 v196, v187
	v_cvt_f32_f16_e32 v197, v190
	ds_read_u16 v187, v158 offset:8928
	ds_read_u16 v190, v158 offset:9200
	;; [unrolled: 1-line block ×4, first 2 shown]
	v_mfma_f32_16x16x16_f16 v[134:137], v[136:137], v[134:135], v[194:197]
	v_cvt_pk_f16_f32 v45, v22, v23
	s_waitcnt lgkmcnt(0)
	s_nop 0
	v_perm_b32 v195, v192, v191, s2
	v_perm_b32 v194, v190, v187, s2
	s_nop 2
	v_cvt_f16_f32_e32 v134, v134
	v_cvt_f16_f32_e32 v135, v135
	;; [unrolled: 1-line block ×4, first 2 shown]
	v_cvt_f32_f16_e32 v134, v134
	v_cvt_f32_f16_e32 v135, v135
	;; [unrolled: 1-line block ×4, first 2 shown]
	v_cvt_pk_f16_f32 v44, v24, v25
	s_nop 0
	v_mfma_f32_16x16x16_f16 v[134:137], v[194:195], v[132:133], v[134:137]
	ds_read_u16 v132, v158 offset:13280
	ds_read_u16 v133, v158 offset:13552
	;; [unrolled: 1-line block ×4, first 2 shown]
	s_waitcnt lgkmcnt(0)
	s_barrier
	s_nop 1
	v_cvt_f16_f32_e32 v134, v134
	v_cvt_f16_f32_e32 v135, v135
	;; [unrolled: 1-line block ×4, first 2 shown]
	v_perm_b32 v195, v199, v197, s2
	v_perm_b32 v194, v133, v132, s2
	v_cvt_f32_f16_e32 v134, v134
	v_cvt_f32_f16_e32 v135, v135
	v_cvt_f32_f16_e32 v136, v136
	v_cvt_f32_f16_e32 v137, v137
	s_nop 1
	v_mfma_f32_16x16x16_f16 v[130:133], v[194:195], v[130:131], v[134:137]
	s_nop 7
	v_cvt_pk_f16_f32 v130, v130, v131
	v_cvt_pk_f16_f32 v131, v132, v133
	;; [unrolled: 1-line block ×4, first 2 shown]
	s_cbranch_scc0 .LBB25_445
; %bb.443:                              ;   in Loop: Header=BB25_378 Depth=2
	v_mov_b32_e32 v134, v252
	v_mov_b32_e32 v135, v119
	s_branch .LBB25_378
.LBB25_444:                             ;   in Loop: Header=BB25_9 Depth=1
	v_mov_b32_e32 v119, 0xfeffffff
	v_mov_b32_e32 v252, 0
	s_mov_b64 s[56:57], 0
	v_mov_b32_e32 v132, 0
	v_mov_b32_e32 v133, 0
	v_mov_b32_e32 v44, 0
	v_mov_b32_e32 v45, 0
	v_mov_b32_e32 v40, 0
	v_mov_b32_e32 v41, 0
	v_mov_b32_e32 v36, 0
	v_mov_b32_e32 v37, 0
	v_mov_b32_e32 v34, 0
	v_mov_b32_e32 v35, 0
	v_mov_b32_e32 v38, 0
	v_mov_b32_e32 v39, 0
	v_mov_b32_e32 v42, 0
	v_mov_b32_e32 v43, 0
	v_mov_b32_e32 v131, 0
	v_mov_b32_e32 v130, 0
	s_branch .LBB25_446
.LBB25_445:                             ;   in Loop: Header=BB25_9 Depth=1
	v_readlane_b32 s56, v255, 18
	v_mad_i64_i32 v[18:19], s[34:35], v50, s40, 0
	v_mad_i64_i32 v[20:21], s[34:35], v118, s40, 0
	v_readlane_b32 s57, v255, 19
	s_mov_b32 s35, s57
	v_writelane_b32 v255, s34, 18
	s_lshl_b32 s56, s58, 6
	s_nop 0
	v_writelane_b32 v255, s35, 19
.LBB25_446:                             ;   in Loop: Header=BB25_9 Depth=1
	s_lshl_b64 s[34:35], s[56:57], 1
	v_lshl_add_u64 v[22:23], v[106:107], 0, s[34:35]
	v_lshlrev_b32_e32 v50, 1, v74
	v_lshl_add_u64 v[22:23], v[22:23], 0, v[50:51]
	v_lshl_add_u64 v[18:19], v[18:19], 1, v[22:23]
	global_load_dword v18, v[18:19], off
	v_add_u32_e32 v24, v211, v209
	s_mul_i32 s34, s56, s37
	s_mul_hi_u32 s35, s56, s36
	s_add_i32 s35, s35, s34
	s_mul_i32 s34, s56, s36
	s_lshl_b64 s[34:35], s[34:35], 2
	v_lshlrev_b32_e32 v50, 2, v52
	v_add_u32_e32 v30, 0x1000, v203
	v_add_u32_e32 v108, 0x3000, v203
	s_waitcnt vmcnt(0)
	ds_write_b32 v24, v18 offset:17408
	v_lshl_add_u64 v[18:19], v[20:21], 1, v[22:23]
	global_load_dword v18, v[18:19], off
	s_waitcnt vmcnt(0)
	ds_write_b32 v24, v18 offset:18560
	v_lshl_add_u64 v[18:19], v[104:105], 0, s[34:35]
	v_lshl_add_u64 v[20:21], v[54:55], 2, v[18:19]
	;; [unrolled: 1-line block ×7, first 2 shown]
	global_load_dwordx4 v[18:21], v[20:21], off
	v_lshl_add_u64 v[22:23], v[22:23], 0, v[50:51]
	v_lshl_add_u64 v[24:25], v[24:25], 0, v[50:51]
	v_add_u32_e32 v104, 0x2000, v203
	s_waitcnt vmcnt(0)
	ds_write_b128 v75, v[18:21]
	global_load_dwordx4 v[18:21], v[22:23], off
	s_waitcnt vmcnt(0)
	ds_write_b128 v212, v[18:21]
	global_load_dwordx4 v[18:21], v[24:25], off
	;; [unrolled: 3-line block ×3, first 2 shown]
	s_waitcnt vmcnt(0)
	ds_write_b128 v214, v[18:21]
	s_waitcnt lgkmcnt(0)
	s_barrier
	ds_read2_b64 v[18:21], v203 offset1:4
	s_waitcnt lgkmcnt(0)
	v_mfma_f32_16x16x16_f16 v[22:25], v[18:19], v[14:15], 0
	v_mfma_f32_16x16x16_f16 v[18:21], v[20:21], v[16:17], v[22:25]
	s_nop 6
	ds_read2_b64 v[22:25], v203 offset0:8 offset1:12
	s_waitcnt lgkmcnt(0)
	v_mfma_f32_16x16x16_f16 v[18:21], v[22:23], v[10:11], v[18:21]
	v_mfma_f32_16x16x16_f16 v[18:21], v[24:25], v[12:13], v[18:21]
	ds_read2_b64 v[22:25], v203 offset0:16 offset1:20
	s_waitcnt lgkmcnt(0)
	v_mfma_f32_16x16x16_f16 v[18:21], v[22:23], v[6:7], v[18:21]
	v_mfma_f32_16x16x16_f16 v[18:21], v[24:25], v[8:9], v[18:21]
	;; [unrolled: 4-line block ×3, first 2 shown]
	ds_read2_b64 v[22:25], v30 offset0:32 offset1:36
	s_waitcnt lgkmcnt(0)
	v_mfma_f32_16x16x16_f16 v[26:29], v[22:23], v[14:15], 0
	s_nop 4
	v_cmp_nlt_f32_e64 s[34:35], |v18|, s41
	v_mfma_f32_16x16x16_f16 v[22:25], v[24:25], v[16:17], v[26:29]
	s_nop 2
	ds_read2_b64 v[26:29], v30 offset0:40 offset1:44
	s_waitcnt lgkmcnt(0)
	v_mfma_f32_16x16x16_f16 v[22:25], v[26:27], v[10:11], v[22:25]
	v_mfma_f32_16x16x16_f16 v[22:25], v[28:29], v[12:13], v[22:25]
	ds_read2_b64 v[26:29], v30 offset0:48 offset1:52
	s_waitcnt lgkmcnt(0)
	v_mfma_f32_16x16x16_f16 v[22:25], v[26:27], v[6:7], v[22:25]
	v_mfma_f32_16x16x16_f16 v[22:25], v[28:29], v[8:9], v[22:25]
	;; [unrolled: 4-line block ×4, first 2 shown]
	s_nop 6
	ds_read2_b64 v[30:33], v104 offset0:72 offset1:76
	s_waitcnt lgkmcnt(0)
	v_mfma_f32_16x16x16_f16 v[26:29], v[30:31], v[10:11], v[26:29]
	v_mfma_f32_16x16x16_f16 v[26:29], v[32:33], v[12:13], v[26:29]
	ds_read2_b64 v[30:33], v104 offset0:80 offset1:84
	s_waitcnt lgkmcnt(0)
	v_mfma_f32_16x16x16_f16 v[26:29], v[30:31], v[6:7], v[26:29]
	v_mfma_f32_16x16x16_f16 v[26:29], v[32:33], v[8:9], v[26:29]
	ds_read2_b64 v[30:33], v104 offset0:88 offset1:92
	s_waitcnt lgkmcnt(0)
	v_mfma_f32_16x16x16_f16 v[26:29], v[30:31], v[2:3], v[26:29]
	v_mfma_f32_16x16x16_f16 v[26:29], v[32:33], v[4:5], v[26:29]
	ds_read2_b64 v[30:33], v108 offset0:96 offset1:100
	s_waitcnt lgkmcnt(0)
	v_mfma_f32_16x16x16_f16 v[104:107], v[30:31], v[14:15], 0
	v_mfma_f32_16x16x16_f16 v[14:17], v[32:33], v[16:17], v[104:107]
	ds_read2_b64 v[30:33], v108 offset0:104 offset1:108
	s_waitcnt lgkmcnt(0)
	v_mfma_f32_16x16x16_f16 v[14:17], v[30:31], v[10:11], v[14:17]
	v_mfma_f32_16x16x16_f16 v[10:13], v[32:33], v[12:13], v[14:17]
	s_nop 6
	ds_read2_b64 v[14:17], v108 offset0:112 offset1:116
	s_waitcnt lgkmcnt(0)
	v_mfma_f32_16x16x16_f16 v[10:13], v[14:15], v[6:7], v[10:13]
	v_mfma_f32_16x16x16_f16 v[6:9], v[16:17], v[8:9], v[10:13]
	s_nop 6
	ds_read2_b64 v[10:13], v108 offset0:120 offset1:124
	s_waitcnt lgkmcnt(0)
	v_mfma_f32_16x16x16_f16 v[6:9], v[10:11], v[2:3], v[6:9]
	s_barrier
	v_mfma_f32_16x16x16_f16 v[2:5], v[12:13], v[4:5], v[6:9]
                                        ; implicit-def: $vgpr6
	s_and_saveexec_b64 s[58:59], s[34:35]
	s_xor_b64 s[34:35], exec, s[58:59]
	s_cbranch_execz .LBB25_448
; %bb.447:                              ;   in Loop: Header=BB25_9 Depth=1
	s_nop 2
	v_add_f32_e64 v6, |v18|, |v18|
	v_mul_f32_e32 v7, 0x3fb8aa3b, v6
	v_rndne_f32_e32 v8, v7
	v_sub_f32_e32 v9, v7, v8
	v_fma_f32 v7, v6, s47, -v7
	v_fmac_f32_e32 v7, 0x32a5705f, v6
	v_add_f32_e32 v7, v9, v7
	v_cvt_i32_f32_e32 v8, v8
	v_exp_f32_e32 v7, v7
	v_cmp_ngt_f32_e32 vcc, s0, v6
	v_ldexp_f32 v7, v7, v8
	s_nop 0
	v_cndmask_b32_e32 v7, 0, v7, vcc
	v_cmp_nlt_f32_e32 vcc, s1, v6
	s_nop 1
	v_cndmask_b32_e32 v6, v236, v7, vcc
	v_add_f32_e32 v6, 1.0, v6
	v_rcp_f32_e32 v6, v6
	s_nop 0
	v_fma_f32 v6, v6, -2.0, 1.0
.LBB25_448:                             ;   in Loop: Header=BB25_9 Depth=1
	s_andn2_saveexec_b64 s[34:35], s[34:35]
; %bb.449:                              ;   in Loop: Header=BB25_9 Depth=1
	s_nop 1
	v_mul_f32_e32 v6, v18, v18
	v_fmamk_f32 v7, v6, 0xbbbac73d, v234
	v_fmaak_f32 v7, v6, v7, 0xbd5c1c4e
	v_fmaak_f32 v7, v6, v7, 0x3e088382
	;; [unrolled: 1-line block ×3, first 2 shown]
	v_mul_f32_e64 v7, |v18|, v7
	v_fma_f32 v6, v6, v7, |v18|
; %bb.450:                              ;   in Loop: Header=BB25_9 Depth=1
	s_or_b64 exec, exec, s[34:35]
	v_cmp_nlt_f32_e64 s[34:35], |v19|, s41
                                        ; implicit-def: $vgpr7
	s_and_saveexec_b64 s[58:59], s[34:35]
	s_xor_b64 s[34:35], exec, s[58:59]
	s_cbranch_execz .LBB25_452
; %bb.451:                              ;   in Loop: Header=BB25_9 Depth=1
	v_add_f32_e64 v7, |v19|, |v19|
	v_mul_f32_e32 v8, 0x3fb8aa3b, v7
	v_rndne_f32_e32 v9, v8
	v_sub_f32_e32 v10, v8, v9
	v_fma_f32 v8, v7, s47, -v8
	v_fmac_f32_e32 v8, 0x32a5705f, v7
	v_add_f32_e32 v8, v10, v8
	v_cvt_i32_f32_e32 v9, v9
	v_exp_f32_e32 v8, v8
	v_cmp_ngt_f32_e32 vcc, s0, v7
	v_ldexp_f32 v8, v8, v9
	s_nop 0
	v_cndmask_b32_e32 v8, 0, v8, vcc
	v_cmp_nlt_f32_e32 vcc, s1, v7
	s_nop 1
	v_cndmask_b32_e32 v7, v236, v8, vcc
	v_add_f32_e32 v7, 1.0, v7
	v_rcp_f32_e32 v7, v7
	s_nop 0
	v_fma_f32 v7, v7, -2.0, 1.0
.LBB25_452:                             ;   in Loop: Header=BB25_9 Depth=1
	s_andn2_saveexec_b64 s[34:35], s[34:35]
; %bb.453:                              ;   in Loop: Header=BB25_9 Depth=1
	v_mul_f32_e32 v7, v19, v19
	v_fmamk_f32 v8, v7, 0xbbbac73d, v234
	v_fmaak_f32 v8, v7, v8, 0xbd5c1c4e
	v_fmaak_f32 v8, v7, v8, 0x3e088382
	;; [unrolled: 1-line block ×3, first 2 shown]
	v_mul_f32_e64 v8, |v19|, v8
	v_fma_f32 v7, v7, v8, |v19|
; %bb.454:                              ;   in Loop: Header=BB25_9 Depth=1
	s_or_b64 exec, exec, s[34:35]
	v_cmp_nlt_f32_e64 s[34:35], |v20|, s41
                                        ; implicit-def: $vgpr8
	s_and_saveexec_b64 s[58:59], s[34:35]
	s_xor_b64 s[34:35], exec, s[58:59]
	s_cbranch_execz .LBB25_456
; %bb.455:                              ;   in Loop: Header=BB25_9 Depth=1
	v_add_f32_e64 v8, |v20|, |v20|
	v_mul_f32_e32 v9, 0x3fb8aa3b, v8
	v_rndne_f32_e32 v10, v9
	v_sub_f32_e32 v11, v9, v10
	v_fma_f32 v9, v8, s47, -v9
	v_fmac_f32_e32 v9, 0x32a5705f, v8
	v_add_f32_e32 v9, v11, v9
	v_cvt_i32_f32_e32 v10, v10
	v_exp_f32_e32 v9, v9
	v_cmp_ngt_f32_e32 vcc, s0, v8
	v_ldexp_f32 v9, v9, v10
	s_nop 0
	v_cndmask_b32_e32 v9, 0, v9, vcc
	v_cmp_nlt_f32_e32 vcc, s1, v8
	s_nop 1
	v_cndmask_b32_e32 v8, v236, v9, vcc
	v_add_f32_e32 v8, 1.0, v8
	v_rcp_f32_e32 v8, v8
	s_nop 0
	v_fma_f32 v8, v8, -2.0, 1.0
.LBB25_456:                             ;   in Loop: Header=BB25_9 Depth=1
	s_andn2_saveexec_b64 s[34:35], s[34:35]
; %bb.457:                              ;   in Loop: Header=BB25_9 Depth=1
	v_mul_f32_e32 v8, v20, v20
	v_fmamk_f32 v9, v8, 0xbbbac73d, v234
	v_fmaak_f32 v9, v8, v9, 0xbd5c1c4e
	v_fmaak_f32 v9, v8, v9, 0x3e088382
	;; [unrolled: 1-line block ×3, first 2 shown]
	v_mul_f32_e64 v9, |v20|, v9
	v_fma_f32 v8, v8, v9, |v20|
; %bb.458:                              ;   in Loop: Header=BB25_9 Depth=1
	s_or_b64 exec, exec, s[34:35]
	v_cmp_nlt_f32_e64 s[34:35], |v21|, s41
                                        ; implicit-def: $vgpr9
	s_and_saveexec_b64 s[58:59], s[34:35]
	s_xor_b64 s[34:35], exec, s[58:59]
	s_cbranch_execz .LBB25_460
; %bb.459:                              ;   in Loop: Header=BB25_9 Depth=1
	v_add_f32_e64 v9, |v21|, |v21|
	v_mul_f32_e32 v10, 0x3fb8aa3b, v9
	v_rndne_f32_e32 v11, v10
	v_sub_f32_e32 v12, v10, v11
	v_fma_f32 v10, v9, s47, -v10
	v_fmac_f32_e32 v10, 0x32a5705f, v9
	v_add_f32_e32 v10, v12, v10
	v_cvt_i32_f32_e32 v11, v11
	v_exp_f32_e32 v10, v10
	v_cmp_ngt_f32_e32 vcc, s0, v9
	v_ldexp_f32 v10, v10, v11
	s_nop 0
	v_cndmask_b32_e32 v10, 0, v10, vcc
	v_cmp_nlt_f32_e32 vcc, s1, v9
	s_nop 1
	v_cndmask_b32_e32 v9, v236, v10, vcc
	v_add_f32_e32 v9, 1.0, v9
	v_rcp_f32_e32 v9, v9
	s_nop 0
	v_fma_f32 v9, v9, -2.0, 1.0
.LBB25_460:                             ;   in Loop: Header=BB25_9 Depth=1
	s_andn2_saveexec_b64 s[34:35], s[34:35]
; %bb.461:                              ;   in Loop: Header=BB25_9 Depth=1
	v_mul_f32_e32 v9, v21, v21
	v_fmamk_f32 v10, v9, 0xbbbac73d, v234
	v_fmaak_f32 v10, v9, v10, 0xbd5c1c4e
	v_fmaak_f32 v10, v9, v10, 0x3e088382
	;; [unrolled: 1-line block ×3, first 2 shown]
	v_mul_f32_e64 v10, |v21|, v10
	v_fma_f32 v9, v9, v10, |v21|
; %bb.462:                              ;   in Loop: Header=BB25_9 Depth=1
	s_or_b64 exec, exec, s[34:35]
	v_cmp_nlt_f32_e64 s[34:35], |v22|, s41
                                        ; implicit-def: $vgpr10
	s_and_saveexec_b64 s[58:59], s[34:35]
	s_xor_b64 s[34:35], exec, s[58:59]
	s_cbranch_execz .LBB25_464
; %bb.463:                              ;   in Loop: Header=BB25_9 Depth=1
	v_add_f32_e64 v10, |v22|, |v22|
	v_mul_f32_e32 v11, 0x3fb8aa3b, v10
	v_rndne_f32_e32 v12, v11
	v_sub_f32_e32 v13, v11, v12
	v_fma_f32 v11, v10, s47, -v11
	v_fmac_f32_e32 v11, 0x32a5705f, v10
	v_add_f32_e32 v11, v13, v11
	v_cvt_i32_f32_e32 v12, v12
	v_exp_f32_e32 v11, v11
	v_cmp_ngt_f32_e32 vcc, s0, v10
	v_ldexp_f32 v11, v11, v12
	s_nop 0
	v_cndmask_b32_e32 v11, 0, v11, vcc
	v_cmp_nlt_f32_e32 vcc, s1, v10
	s_nop 1
	v_cndmask_b32_e32 v10, v236, v11, vcc
	v_add_f32_e32 v10, 1.0, v10
	v_rcp_f32_e32 v10, v10
	s_nop 0
	v_fma_f32 v10, v10, -2.0, 1.0
.LBB25_464:                             ;   in Loop: Header=BB25_9 Depth=1
	s_andn2_saveexec_b64 s[34:35], s[34:35]
; %bb.465:                              ;   in Loop: Header=BB25_9 Depth=1
	v_mul_f32_e32 v10, v22, v22
	v_fmamk_f32 v11, v10, 0xbbbac73d, v234
	v_fmaak_f32 v11, v10, v11, 0xbd5c1c4e
	v_fmaak_f32 v11, v10, v11, 0x3e088382
	;; [unrolled: 1-line block ×3, first 2 shown]
	v_mul_f32_e64 v11, |v22|, v11
	v_fma_f32 v10, v10, v11, |v22|
; %bb.466:                              ;   in Loop: Header=BB25_9 Depth=1
	s_or_b64 exec, exec, s[34:35]
	v_cmp_nlt_f32_e64 s[34:35], |v23|, s41
                                        ; implicit-def: $vgpr11
	s_and_saveexec_b64 s[58:59], s[34:35]
	s_xor_b64 s[34:35], exec, s[58:59]
	s_cbranch_execz .LBB25_468
; %bb.467:                              ;   in Loop: Header=BB25_9 Depth=1
	v_add_f32_e64 v11, |v23|, |v23|
	v_mul_f32_e32 v12, 0x3fb8aa3b, v11
	v_rndne_f32_e32 v13, v12
	v_sub_f32_e32 v14, v12, v13
	v_fma_f32 v12, v11, s47, -v12
	v_fmac_f32_e32 v12, 0x32a5705f, v11
	v_add_f32_e32 v12, v14, v12
	v_cvt_i32_f32_e32 v13, v13
	v_exp_f32_e32 v12, v12
	v_cmp_ngt_f32_e32 vcc, s0, v11
	v_ldexp_f32 v12, v12, v13
	s_nop 0
	v_cndmask_b32_e32 v12, 0, v12, vcc
	v_cmp_nlt_f32_e32 vcc, s1, v11
	s_nop 1
	v_cndmask_b32_e32 v11, v236, v12, vcc
	v_add_f32_e32 v11, 1.0, v11
	v_rcp_f32_e32 v11, v11
	s_nop 0
	v_fma_f32 v11, v11, -2.0, 1.0
.LBB25_468:                             ;   in Loop: Header=BB25_9 Depth=1
	s_andn2_saveexec_b64 s[34:35], s[34:35]
; %bb.469:                              ;   in Loop: Header=BB25_9 Depth=1
	v_mul_f32_e32 v11, v23, v23
	v_fmamk_f32 v12, v11, 0xbbbac73d, v234
	v_fmaak_f32 v12, v11, v12, 0xbd5c1c4e
	v_fmaak_f32 v12, v11, v12, 0x3e088382
	;; [unrolled: 1-line block ×3, first 2 shown]
	v_mul_f32_e64 v12, |v23|, v12
	v_fma_f32 v11, v11, v12, |v23|
; %bb.470:                              ;   in Loop: Header=BB25_9 Depth=1
	s_or_b64 exec, exec, s[34:35]
	v_cmp_nlt_f32_e64 s[34:35], |v24|, s41
                                        ; implicit-def: $vgpr12
	s_and_saveexec_b64 s[58:59], s[34:35]
	s_xor_b64 s[34:35], exec, s[58:59]
	s_cbranch_execz .LBB25_472
; %bb.471:                              ;   in Loop: Header=BB25_9 Depth=1
	v_add_f32_e64 v12, |v24|, |v24|
	v_mul_f32_e32 v13, 0x3fb8aa3b, v12
	v_rndne_f32_e32 v14, v13
	v_sub_f32_e32 v15, v13, v14
	v_fma_f32 v13, v12, s47, -v13
	v_fmac_f32_e32 v13, 0x32a5705f, v12
	v_add_f32_e32 v13, v15, v13
	v_cvt_i32_f32_e32 v14, v14
	v_exp_f32_e32 v13, v13
	v_cmp_ngt_f32_e32 vcc, s0, v12
	v_ldexp_f32 v13, v13, v14
	s_nop 0
	v_cndmask_b32_e32 v13, 0, v13, vcc
	v_cmp_nlt_f32_e32 vcc, s1, v12
	s_nop 1
	v_cndmask_b32_e32 v12, v236, v13, vcc
	v_add_f32_e32 v12, 1.0, v12
	v_rcp_f32_e32 v12, v12
	s_nop 0
	v_fma_f32 v12, v12, -2.0, 1.0
.LBB25_472:                             ;   in Loop: Header=BB25_9 Depth=1
	s_andn2_saveexec_b64 s[34:35], s[34:35]
; %bb.473:                              ;   in Loop: Header=BB25_9 Depth=1
	v_mul_f32_e32 v12, v24, v24
	v_fmamk_f32 v13, v12, 0xbbbac73d, v234
	v_fmaak_f32 v13, v12, v13, 0xbd5c1c4e
	v_fmaak_f32 v13, v12, v13, 0x3e088382
	;; [unrolled: 1-line block ×3, first 2 shown]
	v_mul_f32_e64 v13, |v24|, v13
	v_fma_f32 v12, v12, v13, |v24|
; %bb.474:                              ;   in Loop: Header=BB25_9 Depth=1
	s_or_b64 exec, exec, s[34:35]
	v_cmp_nlt_f32_e64 s[34:35], |v25|, s41
                                        ; implicit-def: $vgpr13
	s_and_saveexec_b64 s[58:59], s[34:35]
	s_xor_b64 s[34:35], exec, s[58:59]
	s_cbranch_execz .LBB25_476
; %bb.475:                              ;   in Loop: Header=BB25_9 Depth=1
	v_add_f32_e64 v13, |v25|, |v25|
	v_mul_f32_e32 v14, 0x3fb8aa3b, v13
	v_rndne_f32_e32 v15, v14
	v_sub_f32_e32 v16, v14, v15
	v_fma_f32 v14, v13, s47, -v14
	v_fmac_f32_e32 v14, 0x32a5705f, v13
	v_add_f32_e32 v14, v16, v14
	v_cvt_i32_f32_e32 v15, v15
	v_exp_f32_e32 v14, v14
	v_cmp_ngt_f32_e32 vcc, s0, v13
	v_ldexp_f32 v14, v14, v15
	s_nop 0
	v_cndmask_b32_e32 v14, 0, v14, vcc
	v_cmp_nlt_f32_e32 vcc, s1, v13
	s_nop 1
	v_cndmask_b32_e32 v13, v236, v14, vcc
	v_add_f32_e32 v13, 1.0, v13
	v_rcp_f32_e32 v13, v13
	s_nop 0
	v_fma_f32 v13, v13, -2.0, 1.0
.LBB25_476:                             ;   in Loop: Header=BB25_9 Depth=1
	s_andn2_saveexec_b64 s[34:35], s[34:35]
; %bb.477:                              ;   in Loop: Header=BB25_9 Depth=1
	v_mul_f32_e32 v13, v25, v25
	v_fmamk_f32 v14, v13, 0xbbbac73d, v234
	v_fmaak_f32 v14, v13, v14, 0xbd5c1c4e
	v_fmaak_f32 v14, v13, v14, 0x3e088382
	;; [unrolled: 1-line block ×3, first 2 shown]
	v_mul_f32_e64 v14, |v25|, v14
	v_fma_f32 v13, v13, v14, |v25|
; %bb.478:                              ;   in Loop: Header=BB25_9 Depth=1
	s_or_b64 exec, exec, s[34:35]
	v_cmp_nlt_f32_e64 s[34:35], |v26|, s41
                                        ; implicit-def: $vgpr14
	s_and_saveexec_b64 s[58:59], s[34:35]
	s_xor_b64 s[34:35], exec, s[58:59]
	s_cbranch_execz .LBB25_480
; %bb.479:                              ;   in Loop: Header=BB25_9 Depth=1
	v_add_f32_e64 v14, |v26|, |v26|
	v_mul_f32_e32 v15, 0x3fb8aa3b, v14
	v_rndne_f32_e32 v16, v15
	v_sub_f32_e32 v17, v15, v16
	v_fma_f32 v15, v14, s47, -v15
	v_fmac_f32_e32 v15, 0x32a5705f, v14
	v_add_f32_e32 v15, v17, v15
	v_cvt_i32_f32_e32 v16, v16
	v_exp_f32_e32 v15, v15
	v_cmp_ngt_f32_e32 vcc, s0, v14
	v_ldexp_f32 v15, v15, v16
	s_nop 0
	v_cndmask_b32_e32 v15, 0, v15, vcc
	v_cmp_nlt_f32_e32 vcc, s1, v14
	s_nop 1
	v_cndmask_b32_e32 v14, v236, v15, vcc
	v_add_f32_e32 v14, 1.0, v14
	v_rcp_f32_e32 v14, v14
	s_nop 0
	v_fma_f32 v14, v14, -2.0, 1.0
.LBB25_480:                             ;   in Loop: Header=BB25_9 Depth=1
	s_andn2_saveexec_b64 s[34:35], s[34:35]
; %bb.481:                              ;   in Loop: Header=BB25_9 Depth=1
	v_mul_f32_e32 v14, v26, v26
	v_fmamk_f32 v15, v14, 0xbbbac73d, v234
	v_fmaak_f32 v15, v14, v15, 0xbd5c1c4e
	v_fmaak_f32 v15, v14, v15, 0x3e088382
	;; [unrolled: 1-line block ×3, first 2 shown]
	v_mul_f32_e64 v15, |v26|, v15
	v_fma_f32 v14, v14, v15, |v26|
; %bb.482:                              ;   in Loop: Header=BB25_9 Depth=1
	s_or_b64 exec, exec, s[34:35]
	v_cmp_nlt_f32_e64 s[34:35], |v27|, s41
                                        ; implicit-def: $vgpr15
	s_and_saveexec_b64 s[58:59], s[34:35]
	s_xor_b64 s[34:35], exec, s[58:59]
	s_cbranch_execz .LBB25_484
; %bb.483:                              ;   in Loop: Header=BB25_9 Depth=1
	v_add_f32_e64 v15, |v27|, |v27|
	v_mul_f32_e32 v16, 0x3fb8aa3b, v15
	v_rndne_f32_e32 v17, v16
	v_sub_f32_e32 v30, v16, v17
	v_fma_f32 v16, v15, s47, -v16
	v_fmac_f32_e32 v16, 0x32a5705f, v15
	v_add_f32_e32 v16, v30, v16
	v_cvt_i32_f32_e32 v17, v17
	v_exp_f32_e32 v16, v16
	v_cmp_ngt_f32_e32 vcc, s0, v15
	v_ldexp_f32 v16, v16, v17
	s_nop 0
	v_cndmask_b32_e32 v16, 0, v16, vcc
	v_cmp_nlt_f32_e32 vcc, s1, v15
	s_nop 1
	v_cndmask_b32_e32 v15, v236, v16, vcc
	v_add_f32_e32 v15, 1.0, v15
	v_rcp_f32_e32 v15, v15
	s_nop 0
	v_fma_f32 v15, v15, -2.0, 1.0
.LBB25_484:                             ;   in Loop: Header=BB25_9 Depth=1
	s_andn2_saveexec_b64 s[34:35], s[34:35]
; %bb.485:                              ;   in Loop: Header=BB25_9 Depth=1
	v_mul_f32_e32 v15, v27, v27
	v_fmamk_f32 v16, v15, 0xbbbac73d, v234
	v_fmaak_f32 v16, v15, v16, 0xbd5c1c4e
	v_fmaak_f32 v16, v15, v16, 0x3e088382
	v_fmaak_f32 v16, v15, v16, 0xbeaaaa99
	v_mul_f32_e64 v16, |v27|, v16
	v_fma_f32 v15, v15, v16, |v27|
; %bb.486:                              ;   in Loop: Header=BB25_9 Depth=1
	s_or_b64 exec, exec, s[34:35]
	v_cmp_nlt_f32_e64 s[34:35], |v28|, s41
                                        ; implicit-def: $vgpr16
	s_and_saveexec_b64 s[58:59], s[34:35]
	s_xor_b64 s[34:35], exec, s[58:59]
	s_cbranch_execz .LBB25_488
; %bb.487:                              ;   in Loop: Header=BB25_9 Depth=1
	v_add_f32_e64 v16, |v28|, |v28|
	v_mul_f32_e32 v17, 0x3fb8aa3b, v16
	v_rndne_f32_e32 v30, v17
	v_sub_f32_e32 v31, v17, v30
	v_fma_f32 v17, v16, s47, -v17
	v_fmac_f32_e32 v17, 0x32a5705f, v16
	v_add_f32_e32 v17, v31, v17
	v_cvt_i32_f32_e32 v30, v30
	v_exp_f32_e32 v17, v17
	v_cmp_ngt_f32_e32 vcc, s0, v16
	v_ldexp_f32 v17, v17, v30
	s_nop 0
	v_cndmask_b32_e32 v17, 0, v17, vcc
	v_cmp_nlt_f32_e32 vcc, s1, v16
	s_nop 1
	v_cndmask_b32_e32 v16, v236, v17, vcc
	v_add_f32_e32 v16, 1.0, v16
	v_rcp_f32_e32 v16, v16
	s_nop 0
	v_fma_f32 v16, v16, -2.0, 1.0
.LBB25_488:                             ;   in Loop: Header=BB25_9 Depth=1
	s_andn2_saveexec_b64 s[34:35], s[34:35]
; %bb.489:                              ;   in Loop: Header=BB25_9 Depth=1
	v_mul_f32_e32 v16, v28, v28
	v_fmamk_f32 v17, v16, 0xbbbac73d, v234
	v_fmaak_f32 v17, v16, v17, 0xbd5c1c4e
	v_fmaak_f32 v17, v16, v17, 0x3e088382
	;; [unrolled: 1-line block ×3, first 2 shown]
	v_mul_f32_e64 v17, |v28|, v17
	v_fma_f32 v16, v16, v17, |v28|
; %bb.490:                              ;   in Loop: Header=BB25_9 Depth=1
	s_or_b64 exec, exec, s[34:35]
	v_cmp_nlt_f32_e64 s[34:35], |v29|, s41
                                        ; implicit-def: $vgpr17
	s_and_saveexec_b64 s[58:59], s[34:35]
	s_xor_b64 s[34:35], exec, s[58:59]
	s_cbranch_execz .LBB25_492
; %bb.491:                              ;   in Loop: Header=BB25_9 Depth=1
	v_add_f32_e64 v17, |v29|, |v29|
	v_mul_f32_e32 v30, 0x3fb8aa3b, v17
	v_rndne_f32_e32 v31, v30
	v_sub_f32_e32 v32, v30, v31
	v_fma_f32 v30, v17, s47, -v30
	v_fmac_f32_e32 v30, 0x32a5705f, v17
	v_add_f32_e32 v30, v32, v30
	v_cvt_i32_f32_e32 v31, v31
	v_exp_f32_e32 v30, v30
	v_cmp_ngt_f32_e32 vcc, s0, v17
	v_ldexp_f32 v30, v30, v31
	s_nop 0
	v_cndmask_b32_e32 v30, 0, v30, vcc
	v_cmp_nlt_f32_e32 vcc, s1, v17
	s_nop 1
	v_cndmask_b32_e32 v17, v236, v30, vcc
	v_add_f32_e32 v17, 1.0, v17
	v_rcp_f32_e32 v17, v17
	s_nop 0
	v_fma_f32 v17, v17, -2.0, 1.0
.LBB25_492:                             ;   in Loop: Header=BB25_9 Depth=1
	s_andn2_saveexec_b64 s[34:35], s[34:35]
; %bb.493:                              ;   in Loop: Header=BB25_9 Depth=1
	v_mul_f32_e32 v17, v29, v29
	v_fmamk_f32 v30, v17, 0xbbbac73d, v234
	v_fmaak_f32 v30, v17, v30, 0xbd5c1c4e
	v_fmaak_f32 v30, v17, v30, 0x3e088382
	;; [unrolled: 1-line block ×3, first 2 shown]
	v_mul_f32_e64 v30, |v29|, v30
	v_fma_f32 v17, v17, v30, |v29|
; %bb.494:                              ;   in Loop: Header=BB25_9 Depth=1
	s_or_b64 exec, exec, s[34:35]
	v_cmp_nlt_f32_e64 s[34:35], |v2|, s41
                                        ; implicit-def: $vgpr30
	s_and_saveexec_b64 s[58:59], s[34:35]
	s_xor_b64 s[34:35], exec, s[58:59]
	s_cbranch_execz .LBB25_496
; %bb.495:                              ;   in Loop: Header=BB25_9 Depth=1
	v_add_f32_e64 v30, |v2|, |v2|
	v_mul_f32_e32 v31, 0x3fb8aa3b, v30
	v_rndne_f32_e32 v32, v31
	v_sub_f32_e32 v33, v31, v32
	v_fma_f32 v31, v30, s47, -v31
	v_fmac_f32_e32 v31, 0x32a5705f, v30
	v_add_f32_e32 v31, v33, v31
	v_cvt_i32_f32_e32 v32, v32
	v_exp_f32_e32 v31, v31
	v_cmp_ngt_f32_e32 vcc, s0, v30
	v_ldexp_f32 v31, v31, v32
	s_nop 0
	v_cndmask_b32_e32 v31, 0, v31, vcc
	v_cmp_nlt_f32_e32 vcc, s1, v30
	s_nop 1
	v_cndmask_b32_e32 v30, v236, v31, vcc
	v_add_f32_e32 v30, 1.0, v30
	v_rcp_f32_e32 v30, v30
	s_nop 0
	v_fma_f32 v30, v30, -2.0, 1.0
.LBB25_496:                             ;   in Loop: Header=BB25_9 Depth=1
	s_andn2_saveexec_b64 s[34:35], s[34:35]
; %bb.497:                              ;   in Loop: Header=BB25_9 Depth=1
	v_mul_f32_e32 v30, v2, v2
	v_fmamk_f32 v31, v30, 0xbbbac73d, v234
	v_fmaak_f32 v31, v30, v31, 0xbd5c1c4e
	v_fmaak_f32 v31, v30, v31, 0x3e088382
	;; [unrolled: 1-line block ×3, first 2 shown]
	v_mul_f32_e64 v31, |v2|, v31
	v_fma_f32 v30, v30, v31, |v2|
; %bb.498:                              ;   in Loop: Header=BB25_9 Depth=1
	s_or_b64 exec, exec, s[34:35]
	v_cmp_nlt_f32_e64 s[34:35], |v3|, s41
                                        ; implicit-def: $vgpr31
	s_and_saveexec_b64 s[58:59], s[34:35]
	s_xor_b64 s[34:35], exec, s[58:59]
	s_cbranch_execz .LBB25_500
; %bb.499:                              ;   in Loop: Header=BB25_9 Depth=1
	v_add_f32_e64 v31, |v3|, |v3|
	v_mul_f32_e32 v32, 0x3fb8aa3b, v31
	v_rndne_f32_e32 v33, v32
	v_sub_f32_e32 v104, v32, v33
	v_fma_f32 v32, v31, s47, -v32
	v_fmac_f32_e32 v32, 0x32a5705f, v31
	v_add_f32_e32 v32, v104, v32
	v_cvt_i32_f32_e32 v33, v33
	v_exp_f32_e32 v32, v32
	v_cmp_ngt_f32_e32 vcc, s0, v31
	v_ldexp_f32 v32, v32, v33
	s_nop 0
	v_cndmask_b32_e32 v32, 0, v32, vcc
	v_cmp_nlt_f32_e32 vcc, s1, v31
	s_nop 1
	v_cndmask_b32_e32 v31, v236, v32, vcc
	v_add_f32_e32 v31, 1.0, v31
	v_rcp_f32_e32 v31, v31
	s_nop 0
	v_fma_f32 v31, v31, -2.0, 1.0
.LBB25_500:                             ;   in Loop: Header=BB25_9 Depth=1
	s_andn2_saveexec_b64 s[34:35], s[34:35]
; %bb.501:                              ;   in Loop: Header=BB25_9 Depth=1
	v_mul_f32_e32 v31, v3, v3
	v_fmamk_f32 v32, v31, 0xbbbac73d, v234
	v_fmaak_f32 v32, v31, v32, 0xbd5c1c4e
	v_fmaak_f32 v32, v31, v32, 0x3e088382
	;; [unrolled: 1-line block ×3, first 2 shown]
	v_mul_f32_e64 v32, |v3|, v32
	v_fma_f32 v31, v31, v32, |v3|
; %bb.502:                              ;   in Loop: Header=BB25_9 Depth=1
	s_or_b64 exec, exec, s[34:35]
	v_cmp_nlt_f32_e64 s[34:35], |v4|, s41
                                        ; implicit-def: $vgpr32
	s_and_saveexec_b64 s[58:59], s[34:35]
	s_xor_b64 s[34:35], exec, s[58:59]
	s_cbranch_execz .LBB25_504
; %bb.503:                              ;   in Loop: Header=BB25_9 Depth=1
	v_add_f32_e64 v32, |v4|, |v4|
	v_mul_f32_e32 v33, 0x3fb8aa3b, v32
	v_rndne_f32_e32 v104, v33
	v_sub_f32_e32 v105, v33, v104
	v_fma_f32 v33, v32, s47, -v33
	v_fmac_f32_e32 v33, 0x32a5705f, v32
	v_add_f32_e32 v33, v105, v33
	v_cvt_i32_f32_e32 v104, v104
	v_exp_f32_e32 v33, v33
	v_cmp_ngt_f32_e32 vcc, s0, v32
	v_ldexp_f32 v33, v33, v104
	s_nop 0
	v_cndmask_b32_e32 v33, 0, v33, vcc
	v_cmp_nlt_f32_e32 vcc, s1, v32
	s_nop 1
	v_cndmask_b32_e32 v32, v236, v33, vcc
	v_add_f32_e32 v32, 1.0, v32
	v_rcp_f32_e32 v32, v32
	s_nop 0
	v_fma_f32 v32, v32, -2.0, 1.0
.LBB25_504:                             ;   in Loop: Header=BB25_9 Depth=1
	s_andn2_saveexec_b64 s[34:35], s[34:35]
; %bb.505:                              ;   in Loop: Header=BB25_9 Depth=1
	v_mul_f32_e32 v32, v4, v4
	v_fmamk_f32 v33, v32, 0xbbbac73d, v234
	v_fmaak_f32 v33, v32, v33, 0xbd5c1c4e
	v_fmaak_f32 v33, v32, v33, 0x3e088382
	;; [unrolled: 1-line block ×3, first 2 shown]
	v_mul_f32_e64 v33, |v4|, v33
	v_fma_f32 v32, v32, v33, |v4|
; %bb.506:                              ;   in Loop: Header=BB25_9 Depth=1
	s_or_b64 exec, exec, s[34:35]
	v_cmp_nlt_f32_e64 s[34:35], |v5|, s41
                                        ; implicit-def: $vgpr33
	s_and_saveexec_b64 s[58:59], s[34:35]
	s_xor_b64 s[34:35], exec, s[58:59]
	s_cbranch_execz .LBB25_508
; %bb.507:                              ;   in Loop: Header=BB25_9 Depth=1
	v_add_f32_e64 v33, |v5|, |v5|
	v_mul_f32_e32 v104, 0x3fb8aa3b, v33
	v_rndne_f32_e32 v105, v104
	v_sub_f32_e32 v106, v104, v105
	v_fma_f32 v104, v33, s47, -v104
	v_fmac_f32_e32 v104, 0x32a5705f, v33
	v_add_f32_e32 v104, v106, v104
	v_cvt_i32_f32_e32 v105, v105
	v_exp_f32_e32 v104, v104
	v_cmp_ngt_f32_e32 vcc, s0, v33
	v_ldexp_f32 v104, v104, v105
	s_nop 0
	v_cndmask_b32_e32 v104, 0, v104, vcc
	v_cmp_nlt_f32_e32 vcc, s1, v33
	s_nop 1
	v_cndmask_b32_e32 v33, v236, v104, vcc
	v_add_f32_e32 v33, 1.0, v33
	v_rcp_f32_e32 v33, v33
	s_nop 0
	v_fma_f32 v33, v33, -2.0, 1.0
.LBB25_508:                             ;   in Loop: Header=BB25_9 Depth=1
	s_andn2_saveexec_b64 s[34:35], s[34:35]
; %bb.509:                              ;   in Loop: Header=BB25_9 Depth=1
	v_mul_f32_e32 v33, v5, v5
	v_fmamk_f32 v104, v33, 0xbbbac73d, v234
	v_fmaak_f32 v104, v33, v104, 0xbd5c1c4e
	v_fmaak_f32 v104, v33, v104, 0x3e088382
	;; [unrolled: 1-line block ×3, first 2 shown]
	v_mul_f32_e64 v104, |v5|, v104
	v_fma_f32 v33, v33, v104, |v5|
; %bb.510:                              ;   in Loop: Header=BB25_9 Depth=1
	s_or_b64 exec, exec, s[34:35]
	v_bfi_b32 v31, s62, v31, v3
	v_bfi_b32 v3, s62, v6, v18
	;; [unrolled: 1-line block ×3, first 2 shown]
	ds_read_b32 v5, v156 offset:17408
	v_bfi_b32 v6, s62, v7, v19
	v_bfi_b32 v30, s62, v30, v2
	;; [unrolled: 1-line block ×4, first 2 shown]
	s_waitcnt lgkmcnt(0)
	v_fma_mix_f32 v19, s33, v3, v5 op_sel_hi:[0,0,1]
	ds_read_b32 v3, v157 offset:17408
	v_bfi_b32 v7, s62, v8, v20
	v_bfi_b32 v11, s62, v11, v23
	;; [unrolled: 1-line block ×4, first 2 shown]
	s_waitcnt lgkmcnt(0)
	v_fma_mix_f32 v24, s33, v2, v3 op_sel:[0,0,1] op_sel_hi:[0,0,1]
	v_add_u32_e32 v2, 0x4400, v215
	v_fma_mix_f32 v23, s33, v7, v3 op_sel_hi:[0,0,1]
	ds_read2_b32 v[2:3], v2 offset1:1
	v_bfi_b32 v14, s62, v14, v26
	v_bfi_b32 v15, s62, v15, v27
	v_fma_mix_f32 v22, s33, v6, v5 op_sel:[0,0,1] op_sel_hi:[0,0,1]
	v_bfi_b32 v4, s62, v32, v4
	s_waitcnt lgkmcnt(0)
	v_fma_mix_f32 v25, s33, v10, v2 op_sel_hi:[0,0,1]
	v_fma_mix_f32 v11, s33, v11, v2 op_sel:[0,0,1] op_sel_hi:[0,0,1]
	v_add_u32_e32 v2, 0x4400, v216
	v_fma_mix_f32 v12, s33, v12, v3 op_sel_hi:[0,0,1]
	v_fma_mix_f32 v13, s33, v13, v3 op_sel:[0,0,1] op_sel_hi:[0,0,1]
	ds_read2_b32 v[2:3], v2 offset1:1
	v_bfi_b32 v17, s62, v17, v29
	v_bfi_b32 v16, s62, v16, v28
	s_mul_i32 s34, s56, s27
	s_mul_hi_u32 s35, s56, s26
	s_waitcnt lgkmcnt(0)
	v_fma_mix_f32 v14, s33, v14, v2 op_sel_hi:[0,0,1]
	v_fma_mix_f32 v10, s33, v15, v2 op_sel:[0,0,1] op_sel_hi:[0,0,1]
	v_add_u32_e32 v2, 0x4400, v217
	ds_read2_b32 v[6:7], v2 offset1:1
	v_add_f32_e32 v15, 0x40051340, v24
	v_fma_mix_f32 v9, s33, v16, v3 op_sel_hi:[0,0,1]
	v_fma_mix_f32 v3, s33, v17, v3 op_sel:[0,0,1] op_sel_hi:[0,0,1]
	s_add_i32 s35, s35, s34
	s_waitcnt lgkmcnt(0)
	v_fma_mix_f32 v8, s33, v30, v6 op_sel_hi:[0,0,1]
	v_fma_mix_f32 v5, s33, v31, v6 op_sel:[0,0,1] op_sel_hi:[0,0,1]
	v_fma_mix_f32 v4, s33, v4, v7 op_sel_hi:[0,0,1]
	v_fma_mix_f32 v2, s33, v18, v7 op_sel:[0,0,1] op_sel_hi:[0,0,1]
	v_add_f32_e32 v6, 0x40051340, v19
	v_add_f32_e32 v7, 0x40051340, v22
	v_max3_f32 v6, v119, v6, v7
	v_add_f32_e32 v7, 0x40051340, v23
	v_max3_f32 v6, v6, v7, v15
	v_add_f32_e32 v7, 0x40051340, v25
	v_add_f32_e32 v15, 0x40051340, v11
	v_max3_f32 v6, v6, v7, v15
	v_add_f32_e32 v7, 0x40051340, v12
	;; [unrolled: 3-line block ×6, first 2 shown]
	v_add_f32_e32 v15, 0x40051340, v2
	v_max3_f32 v6, v6, v7, v15
	v_and_b32_e32 v7, 64, v235
	v_add_u32_e32 v7, 64, v7
	v_xor_b32_e32 v15, 32, v235
	v_cmp_lt_i32_e32 vcc, v15, v7
	s_mul_i32 s34, s56, s26
	s_lshl_b64 s[34:35], s[34:35], 2
	v_cndmask_b32_e32 v15, v235, v15, vcc
	v_lshlrev_b32_e32 v28, 2, v15
	ds_bpermute_b32 v15, v28, v6
	s_waitcnt lgkmcnt(0)
	v_max_f32_e32 v15, v15, v15
	v_max_f32_e32 v6, v6, v15
	v_xor_b32_e32 v15, 16, v235
	v_cmp_lt_i32_e32 vcc, v15, v7
	s_nop 1
	v_cndmask_b32_e32 v7, v235, v15, vcc
	v_lshlrev_b32_e32 v21, 2, v7
	ds_bpermute_b32 v7, v21, v6
	s_waitcnt lgkmcnt(0)
	v_max_f32_e32 v7, v7, v7
	v_max_f32_e32 v20, v6, v7
	v_sub_f32_e32 v6, v19, v20
	v_mul_f32_e32 v7, 0x3fb8aa3b, v6
	v_fma_f32 v15, v6, s47, -v7
	v_rndne_f32_e32 v16, v7
	v_fmac_f32_e32 v15, 0x32a5705f, v6
	v_sub_f32_e32 v7, v7, v16
	v_add_f32_e32 v7, v7, v15
	v_exp_f32_e32 v7, v7
	v_cvt_i32_f32_e32 v15, v16
	v_cmp_ngt_f32_e32 vcc, s0, v6
	v_sub_f32_e32 v11, v11, v20
	v_sub_f32_e32 v12, v12, v20
	v_ldexp_f32 v7, v7, v15
	v_cndmask_b32_e32 v7, 0, v7, vcc
	v_cmp_nlt_f32_e32 vcc, s1, v6
	v_sub_f32_e32 v10, v10, v20
	v_sub_f32_e32 v9, v9, v20
	v_cndmask_b32_e32 v6, v236, v7, vcc
	v_sub_f32_e32 v7, v22, v20
	v_mul_f32_e32 v15, 0x3fb8aa3b, v7
	v_fma_f32 v16, v7, s47, -v15
	v_rndne_f32_e32 v17, v15
	v_fmac_f32_e32 v16, 0x32a5705f, v7
	v_sub_f32_e32 v15, v15, v17
	v_add_f32_e32 v15, v15, v16
	v_exp_f32_e32 v15, v15
	v_cvt_i32_f32_e32 v16, v17
	v_cmp_ngt_f32_e32 vcc, s0, v7
	v_sub_f32_e32 v3, v3, v20
	v_sub_f32_e32 v8, v8, v20
	v_ldexp_f32 v15, v15, v16
	v_sub_f32_e32 v16, v23, v20
	v_mul_f32_e32 v17, 0x3fb8aa3b, v16
	v_fma_f32 v18, v16, s47, -v17
	v_rndne_f32_e32 v19, v17
	v_fmac_f32_e32 v18, 0x32a5705f, v16
	v_sub_f32_e32 v17, v17, v19
	v_add_f32_e32 v17, v17, v18
	v_exp_f32_e32 v17, v17
	v_cvt_i32_f32_e32 v18, v19
	v_cndmask_b32_e32 v15, 0, v15, vcc
	v_cmp_nlt_f32_e32 vcc, s1, v7
	v_sub_f32_e32 v5, v5, v20
	v_ldexp_f32 v17, v17, v18
	v_cndmask_b32_e32 v7, v236, v15, vcc
	v_cmp_ngt_f32_e32 vcc, s0, v16
	v_add_f32_e32 v15, v6, v7
	v_sub_f32_e32 v4, v4, v20
	v_cndmask_b32_e32 v17, 0, v17, vcc
	v_cmp_nlt_f32_e32 vcc, s1, v16
	v_sub_f32_e32 v16, v24, v20
	v_sub_f32_e32 v2, v2, v20
	v_cndmask_b32_e32 v18, v236, v17, vcc
	v_mul_f32_e32 v17, 0x3fb8aa3b, v16
	v_fma_f32 v19, v16, s47, -v17
	v_rndne_f32_e32 v22, v17
	v_fmac_f32_e32 v19, 0x32a5705f, v16
	v_sub_f32_e32 v17, v17, v22
	v_add_f32_e32 v17, v17, v19
	v_exp_f32_e32 v17, v17
	v_cvt_i32_f32_e32 v19, v22
	v_cmp_ngt_f32_e32 vcc, s0, v16
	v_add_f32_e32 v15, v18, v15
	v_ldexp_f32 v17, v17, v19
	v_cndmask_b32_e32 v17, 0, v17, vcc
	v_cmp_nlt_f32_e32 vcc, s1, v16
	v_sub_f32_e32 v16, v25, v20
	s_nop 0
	v_cndmask_b32_e32 v19, v236, v17, vcc
	v_mul_f32_e32 v17, 0x3fb8aa3b, v16
	v_fma_f32 v22, v16, s47, -v17
	v_rndne_f32_e32 v23, v17
	v_fmac_f32_e32 v22, 0x32a5705f, v16
	v_sub_f32_e32 v17, v17, v23
	v_add_f32_e32 v17, v17, v22
	v_exp_f32_e32 v17, v17
	v_cvt_i32_f32_e32 v22, v23
	v_cmp_ngt_f32_e32 vcc, s0, v16
	v_add_f32_e32 v15, v19, v15
	v_ldexp_f32 v17, v17, v22
	v_cndmask_b32_e32 v17, 0, v17, vcc
	v_cmp_nlt_f32_e32 vcc, s1, v16
	v_mul_f32_e32 v16, 0x3fb8aa3b, v11
	v_rndne_f32_e32 v23, v16
	v_cndmask_b32_e32 v22, v236, v17, vcc
	v_fma_f32 v17, v11, s47, -v16
	v_fmac_f32_e32 v17, 0x32a5705f, v11
	v_sub_f32_e32 v16, v16, v23
	v_add_f32_e32 v16, v16, v17
	v_exp_f32_e32 v16, v16
	v_cvt_i32_f32_e32 v17, v23
	v_cmp_ngt_f32_e32 vcc, s0, v11
	v_add_f32_e32 v15, v22, v15
	v_ldexp_f32 v16, v16, v17
	v_cndmask_b32_e32 v16, 0, v16, vcc
	v_cmp_nlt_f32_e32 vcc, s1, v11
	s_nop 1
	v_cndmask_b32_e32 v23, v236, v16, vcc
	v_add_f32_e32 v11, v23, v15
	v_mul_f32_e32 v15, 0x3fb8aa3b, v12
	v_fma_f32 v16, v12, s47, -v15
	v_rndne_f32_e32 v17, v15
	v_fmac_f32_e32 v16, 0x32a5705f, v12
	v_sub_f32_e32 v15, v15, v17
	v_add_f32_e32 v15, v15, v16
	v_exp_f32_e32 v15, v15
	v_cvt_i32_f32_e32 v16, v17
	v_cmp_ngt_f32_e32 vcc, s0, v12
	v_ldexp_f32 v15, v15, v16
	s_nop 0
	v_cndmask_b32_e32 v15, 0, v15, vcc
	v_cmp_nlt_f32_e32 vcc, s1, v12
	v_sub_f32_e32 v12, v13, v20
	v_mul_f32_e32 v13, 0x3fb8aa3b, v12
	v_cndmask_b32_e32 v24, v236, v15, vcc
	v_fma_f32 v15, v12, s47, -v13
	v_rndne_f32_e32 v16, v13
	v_fmac_f32_e32 v15, 0x32a5705f, v12
	v_sub_f32_e32 v13, v13, v16
	v_add_f32_e32 v13, v13, v15
	v_exp_f32_e32 v13, v13
	v_cvt_i32_f32_e32 v15, v16
	v_cmp_ngt_f32_e32 vcc, s0, v12
	v_add_f32_e32 v11, v24, v11
	v_ldexp_f32 v13, v13, v15
	v_cndmask_b32_e32 v13, 0, v13, vcc
	v_cmp_nlt_f32_e32 vcc, s1, v12
	v_sub_f32_e32 v12, v14, v20
	s_nop 0
	v_cndmask_b32_e32 v25, v236, v13, vcc
	v_mul_f32_e32 v13, 0x3fb8aa3b, v12
	v_fma_f32 v14, v12, s47, -v13
	v_rndne_f32_e32 v15, v13
	v_fmac_f32_e32 v14, 0x32a5705f, v12
	v_sub_f32_e32 v13, v13, v15
	v_add_f32_e32 v13, v13, v14
	v_exp_f32_e32 v13, v13
	v_cvt_i32_f32_e32 v14, v15
	v_cmp_ngt_f32_e32 vcc, s0, v12
	v_add_f32_e32 v11, v25, v11
	v_cvt_pk_f16_f32 v25, v24, v25
	v_ldexp_f32 v13, v13, v14
	v_cndmask_b32_e32 v13, 0, v13, vcc
	v_cmp_nlt_f32_e32 vcc, s1, v12
	v_mul_f32_e32 v12, 0x3fb8aa3b, v10
	v_rndne_f32_e32 v14, v12
	v_cndmask_b32_e32 v30, v236, v13, vcc
	v_fma_f32 v13, v10, s47, -v12
	v_fmac_f32_e32 v13, 0x32a5705f, v10
	v_sub_f32_e32 v12, v12, v14
	v_add_f32_e32 v12, v12, v13
	v_exp_f32_e32 v12, v12
	v_cvt_i32_f32_e32 v13, v14
	v_cmp_ngt_f32_e32 vcc, s0, v10
	v_add_f32_e32 v11, v30, v11
	v_cvt_pk_f16_f32 v24, v22, v23
	v_ldexp_f32 v12, v12, v13
	v_cndmask_b32_e32 v12, 0, v12, vcc
	v_cmp_nlt_f32_e32 vcc, s1, v10
	s_nop 1
	v_cndmask_b32_e32 v33, v236, v12, vcc
	v_add_f32_e32 v10, v33, v11
	v_mul_f32_e32 v11, 0x3fb8aa3b, v9
	v_fma_f32 v12, v9, s47, -v11
	v_rndne_f32_e32 v13, v11
	v_fmac_f32_e32 v12, 0x32a5705f, v9
	v_sub_f32_e32 v11, v11, v13
	v_add_f32_e32 v11, v11, v12
	v_exp_f32_e32 v11, v11
	v_cvt_i32_f32_e32 v12, v13
	v_cmp_ngt_f32_e32 vcc, s0, v9
	v_cvt_pk_f16_f32 v22, v30, v33
	v_ldexp_f32 v11, v11, v12
	v_cndmask_b32_e32 v11, 0, v11, vcc
	v_cmp_nlt_f32_e32 vcc, s1, v9
	s_nop 1
	v_cndmask_b32_e32 v104, v236, v11, vcc
	v_add_f32_e32 v9, v104, v10
	v_mul_f32_e32 v10, 0x3fb8aa3b, v3
	v_fma_f32 v11, v3, s47, -v10
	v_rndne_f32_e32 v12, v10
	v_fmac_f32_e32 v11, 0x32a5705f, v3
	v_sub_f32_e32 v10, v10, v12
	v_add_f32_e32 v10, v10, v11
	v_exp_f32_e32 v10, v10
	v_cvt_i32_f32_e32 v11, v12
	v_cmp_ngt_f32_e32 vcc, s0, v3
	v_ldexp_f32 v10, v10, v11
	s_nop 0
	v_cndmask_b32_e32 v10, 0, v10, vcc
	v_cmp_nlt_f32_e32 vcc, s1, v3
	s_nop 1
	v_cndmask_b32_e32 v106, v236, v10, vcc
	v_add_f32_e32 v3, v106, v9
	v_mul_f32_e32 v9, 0x3fb8aa3b, v8
	v_fma_f32 v10, v8, s47, -v9
	v_rndne_f32_e32 v11, v9
	v_fmac_f32_e32 v10, 0x32a5705f, v8
	v_sub_f32_e32 v9, v9, v11
	v_add_f32_e32 v9, v9, v10
	v_exp_f32_e32 v9, v9
	v_cvt_i32_f32_e32 v10, v11
	v_cmp_ngt_f32_e32 vcc, s0, v8
	v_cvt_pk_f16_f32 v23, v104, v106
	v_ldexp_f32 v9, v9, v10
	v_cndmask_b32_e32 v9, 0, v9, vcc
	v_cmp_nlt_f32_e32 vcc, s1, v8
	v_mul_f32_e32 v8, 0x3fb8aa3b, v5
	v_rndne_f32_e32 v10, v8
	v_cndmask_b32_e32 v105, v236, v9, vcc
	v_fma_f32 v9, v5, s47, -v8
	v_fmac_f32_e32 v9, 0x32a5705f, v5
	v_sub_f32_e32 v8, v8, v10
	v_add_f32_e32 v8, v8, v9
	v_exp_f32_e32 v8, v8
	v_cvt_i32_f32_e32 v9, v10
	v_cmp_ngt_f32_e32 vcc, s0, v5
	v_add_f32_e32 v3, v105, v3
	v_ldexp_f32 v8, v8, v9
	v_cndmask_b32_e32 v8, 0, v8, vcc
	v_cmp_nlt_f32_e32 vcc, s1, v5
	v_mul_f32_e32 v5, 0x3fb8aa3b, v4
	v_rndne_f32_e32 v9, v5
	v_cndmask_b32_e32 v107, v236, v8, vcc
	v_fma_f32 v8, v4, s47, -v5
	v_fmac_f32_e32 v8, 0x32a5705f, v4
	v_sub_f32_e32 v5, v5, v9
	v_add_f32_e32 v5, v5, v8
	v_exp_f32_e32 v5, v5
	v_cvt_i32_f32_e32 v8, v9
	v_cmp_ngt_f32_e32 vcc, s0, v4
	v_add_f32_e32 v3, v107, v3
	;; [unrolled: 14-line block ×3, first 2 shown]
	v_ldexp_f32 v4, v4, v5
	v_cndmask_b32_e32 v4, 0, v4, vcc
	v_cmp_nlt_f32_e32 vcc, s1, v2
	v_sub_f32_e32 v2, v119, v20
	s_nop 0
	v_cndmask_b32_e32 v109, v236, v4, vcc
	v_add_f32_e32 v29, v109, v3
	v_mul_f32_e32 v3, 0x3fb8aa3b, v2
	v_fma_f32 v4, v2, s47, -v3
	v_rndne_f32_e32 v5, v3
	v_fmac_f32_e32 v4, 0x32a5705f, v2
	v_sub_f32_e32 v3, v3, v5
	v_add_f32_e32 v3, v3, v4
	v_exp_f32_e32 v3, v3
	v_cvt_i32_f32_e32 v4, v5
	v_cmp_ngt_f32_e32 vcc, s0, v2
	v_ldexp_f32 v3, v3, v4
	s_nop 0
	v_cndmask_b32_e32 v3, 0, v3, vcc
	v_cmp_nlt_f32_e32 vcc, s1, v2
	s_nop 1
	v_cndmask_b32_e32 v3, v236, v3, vcc
	v_cmp_le_f32_e32 vcc, s63, v2
	s_nop 1
	v_cndmask_b32_e32 v2, 0, v3, vcc
	v_fmac_f32_e32 v29, v252, v2
	v_cvt_f16_f32_e32 v2, v2
	v_cmp_eq_u64_e32 vcc, 0, v[100:101]
	s_and_b64 vcc, exec, vcc
	v_mul_u32_u24_e32 v2, 0x10001, v2
	v_pk_mul_f16 v27, v133, v2
	v_pk_mul_f16 v26, v132, v2
	;; [unrolled: 1-line block ×16, first 2 shown]
	v_lshl_add_u64 v[2:3], v[102:103], 0, s[34:35]
	v_lshl_add_u64 v[4:5], v[62:63], 2, v[2:3]
	v_lshl_add_u64 v[4:5], v[4:5], 0, v[50:51]
	v_lshl_add_u64 v[38:39], v[64:65], 2, v[2:3]
	v_lshl_add_u64 v[40:41], v[66:67], 2, v[2:3]
	v_lshl_add_u64 v[2:3], v[70:71], 2, v[2:3]
	v_lshl_add_u64 v[42:43], v[2:3], 0, v[50:51]
	global_load_dwordx4 v[2:5], v[4:5], off
	v_lshl_add_u64 v[38:39], v[38:39], 0, v[50:51]
	v_lshl_add_u64 v[40:41], v[40:41], 0, v[50:51]
	s_waitcnt vmcnt(0)
	ds_write_b128 v75, v[2:5]
	global_load_dwordx4 v[2:5], v[38:39], off
	s_waitcnt vmcnt(0)
	ds_write_b128 v212, v[2:5]
	global_load_dwordx4 v[2:5], v[40:41], off
	v_cvt_f32_f16_sdwa v41, v8 dst_sel:DWORD dst_unused:UNUSED_PAD src0_sel:WORD_1
	s_waitcnt vmcnt(0)
	ds_write_b128 v213, v[2:5]
	global_load_dwordx4 v[2:5], v[42:43], off
	s_waitcnt vmcnt(0)
	ds_write_b128 v214, v[2:5]
	s_waitcnt lgkmcnt(0)
	s_barrier
	ds_read_u16 v34, v158 offset:272
	ds_read_u16 v37, v158 offset:544
	v_cvt_f32_f16_e32 v4, v26
	v_cvt_f32_f16_sdwa v5, v26 dst_sel:DWORD dst_unused:UNUSED_PAD src0_sel:WORD_1
	ds_read_u16 v26, v159
	ds_read_u16 v40, v159 offset:32
	v_cvt_f32_f16_e32 v2, v27
	v_cvt_f32_f16_sdwa v3, v27 dst_sel:DWORD dst_unused:UNUSED_PAD src0_sel:WORD_1
	v_cvt_pk_f16_f32 v27, v18, v19
	s_waitcnt lgkmcnt(1)
	v_perm_b32 v39, v26, v37, s2
	ds_read_u16 v26, v158
	ds_read_u16 v37, v158 offset:32
	s_waitcnt lgkmcnt(1)
	v_perm_b32 v38, v34, v26, s2
	v_cvt_pk_f16_f32 v26, v6, v7
	ds_read_u16 v6, v158 offset:4352
	ds_read_u16 v18, v158 offset:4624
	;; [unrolled: 1-line block ×4, first 2 shown]
	v_mfma_f32_16x16x16_f16 v[2:5], v[38:39], v[26:27], v[2:5]
	s_waitcnt lgkmcnt(2)
	v_perm_b32 v6, v18, v6, s2
	s_waitcnt lgkmcnt(0)
	v_perm_b32 v7, v19, v7, s2
	v_cvt_f32_f16_e32 v38, v9
	s_nop 2
	v_cvt_f16_f32_e32 v2, v2
	v_cvt_f16_f32_e32 v3, v3
	;; [unrolled: 1-line block ×4, first 2 shown]
	v_cvt_f32_f16_e32 v2, v2
	v_cvt_f32_f16_e32 v3, v3
	;; [unrolled: 1-line block ×4, first 2 shown]
	v_cvt_f32_f16_sdwa v39, v9 dst_sel:DWORD dst_unused:UNUSED_PAD src0_sel:WORD_1
	s_nop 0
	v_mfma_f32_16x16x16_f16 v[2:5], v[6:7], v[24:25], v[2:5]
	ds_read_u16 v6, v158 offset:8704
	ds_read_u16 v18, v158 offset:8976
	;; [unrolled: 1-line block ×4, first 2 shown]
	s_nop 3
	v_cvt_f16_f32_e32 v2, v2
	v_cvt_f16_f32_e32 v3, v3
	;; [unrolled: 1-line block ×4, first 2 shown]
	s_waitcnt lgkmcnt(0)
	v_perm_b32 v7, v19, v7, s2
	v_perm_b32 v6, v18, v6, s2
	v_cvt_f32_f16_e32 v2, v2
	v_cvt_f32_f16_e32 v3, v3
	;; [unrolled: 1-line block ×4, first 2 shown]
	s_nop 1
	v_mfma_f32_16x16x16_f16 v[2:5], v[6:7], v[22:23], v[2:5]
	ds_read_u16 v6, v158 offset:13056
	ds_read_u16 v18, v158 offset:13328
	;; [unrolled: 1-line block ×6, first 2 shown]
	s_nop 1
	v_cvt_f16_f32_e32 v2, v2
	v_cvt_f16_f32_e32 v3, v3
	;; [unrolled: 1-line block ×4, first 2 shown]
	s_waitcnt lgkmcnt(2)
	v_perm_b32 v7, v19, v7, s2
	v_perm_b32 v6, v18, v6, s2
	v_cvt_f32_f16_e32 v2, v2
	v_cvt_f32_f16_e32 v3, v3
	;; [unrolled: 1-line block ×4, first 2 shown]
	v_cvt_pk_f16_f32 v19, v108, v109
	v_cvt_pk_f16_f32 v18, v105, v107
	s_waitcnt lgkmcnt(0)
	v_perm_b32 v33, v40, v33, s2
	v_cvt_f32_f16_e32 v40, v8
	v_mfma_f32_16x16x16_f16 v[2:5], v[6:7], v[18:19], v[2:5]
	v_cvt_f32_f16_e32 v6, v31
	v_cvt_f32_f16_sdwa v7, v31 dst_sel:DWORD dst_unused:UNUSED_PAD src0_sel:WORD_1
	s_nop 5
	v_cvt_f16_f32_e32 v4, v4
	v_cvt_f16_f32_e32 v5, v5
	v_perm_b32 v30, v5, v4, s2
	v_cvt_f32_f16_e32 v4, v32
	v_cvt_f32_f16_sdwa v5, v32 dst_sel:DWORD dst_unused:UNUSED_PAD src0_sel:WORD_1
	v_perm_b32 v32, v34, v37, s2
	s_nop 1
	v_mfma_f32_16x16x16_f16 v[4:7], v[32:33], v[26:27], v[4:7]
	ds_read_u16 v31, v158 offset:4384
	ds_read_u16 v32, v158 offset:4656
	ds_read_u16 v33, v158 offset:4928
	ds_read_u16 v34, v159 offset:4384
	s_nop 3
	v_cvt_f16_f32_e32 v4, v4
	v_cvt_f16_f32_e32 v5, v5
	v_cvt_f16_f32_e32 v6, v6
	v_cvt_f16_f32_e32 v7, v7
	s_waitcnt lgkmcnt(0)
	v_perm_b32 v33, v34, v33, s2
	v_perm_b32 v32, v32, v31, s2
	v_cvt_f32_f16_e32 v4, v4
	v_cvt_f32_f16_e32 v5, v5
	v_cvt_f32_f16_e32 v6, v6
	v_cvt_f32_f16_e32 v7, v7
	s_nop 1
	v_mfma_f32_16x16x16_f16 v[4:7], v[32:33], v[24:25], v[4:7]
	ds_read_u16 v31, v158 offset:8736
	ds_read_u16 v32, v158 offset:9008
	ds_read_u16 v33, v158 offset:9280
	ds_read_u16 v34, v159 offset:8736
	s_nop 3
	v_cvt_f16_f32_e32 v4, v4
	v_cvt_f16_f32_e32 v5, v5
	v_cvt_f16_f32_e32 v6, v6
	v_cvt_f16_f32_e32 v7, v7
	s_waitcnt lgkmcnt(0)
	v_perm_b32 v33, v34, v33, s2
	v_perm_b32 v32, v32, v31, s2
	v_cvt_f32_f16_e32 v4, v4
	v_cvt_f32_f16_e32 v5, v5
	v_cvt_f32_f16_e32 v6, v6
	v_cvt_f32_f16_e32 v7, v7
	;; [unrolled: 18-line block ×3, first 2 shown]
	s_nop 1
	v_mfma_f32_16x16x16_f16 v[4:7], v[32:33], v[18:19], v[4:7]
	s_nop 7
	v_cvt_f16_f32_e32 v6, v6
	v_cvt_f16_f32_e32 v7, v7
	v_perm_b32 v31, v7, v6, s2
	ds_read_u16 v6, v158 offset:64
	ds_read_u16 v32, v158 offset:336
	;; [unrolled: 1-line block ×4, first 2 shown]
	s_waitcnt lgkmcnt(2)
	v_perm_b32 v6, v32, v6, s2
	s_waitcnt lgkmcnt(0)
	v_perm_b32 v7, v33, v7, s2
	ds_read_u16 v32, v158 offset:4416
	ds_read_u16 v34, v158 offset:4688
	;; [unrolled: 1-line block ×4, first 2 shown]
	v_mfma_f32_16x16x16_f16 v[6:9], v[6:7], v[26:27], v[38:41]
	s_waitcnt lgkmcnt(0)
	v_perm_b32 v33, v37, v33, s2
	v_perm_b32 v32, v34, v32, s2
	v_cvt_f32_f16_e32 v38, v11
	s_nop 3
	v_cvt_f16_f32_e32 v6, v6
	v_cvt_f16_f32_e32 v7, v7
	;; [unrolled: 1-line block ×4, first 2 shown]
	v_cvt_f32_f16_e32 v6, v6
	v_cvt_f32_f16_e32 v7, v7
	;; [unrolled: 1-line block ×4, first 2 shown]
	v_cvt_f32_f16_sdwa v39, v11 dst_sel:DWORD dst_unused:UNUSED_PAD src0_sel:WORD_1
	v_cvt_f32_f16_e32 v40, v10
	v_mfma_f32_16x16x16_f16 v[6:9], v[32:33], v[24:25], v[6:9]
	ds_read_u16 v32, v158 offset:8768
	ds_read_u16 v34, v158 offset:9040
	;; [unrolled: 1-line block ×4, first 2 shown]
	v_cvt_f32_f16_sdwa v41, v10 dst_sel:DWORD dst_unused:UNUSED_PAD src0_sel:WORD_1
	s_nop 2
	v_cvt_f16_f32_e32 v6, v6
	v_cvt_f16_f32_e32 v7, v7
	;; [unrolled: 1-line block ×4, first 2 shown]
	s_waitcnt lgkmcnt(0)
	v_perm_b32 v33, v37, v33, s2
	v_perm_b32 v32, v34, v32, s2
	v_cvt_f32_f16_e32 v6, v6
	v_cvt_f32_f16_e32 v7, v7
	;; [unrolled: 1-line block ×4, first 2 shown]
	s_nop 1
	v_mfma_f32_16x16x16_f16 v[6:9], v[32:33], v[22:23], v[6:9]
	ds_read_u16 v32, v158 offset:13120
	ds_read_u16 v34, v158 offset:13392
	;; [unrolled: 1-line block ×4, first 2 shown]
	s_nop 3
	v_cvt_f16_f32_e32 v6, v6
	v_cvt_f16_f32_e32 v7, v7
	;; [unrolled: 1-line block ×4, first 2 shown]
	s_waitcnt lgkmcnt(0)
	v_perm_b32 v33, v37, v33, s2
	v_perm_b32 v32, v34, v32, s2
	v_cvt_f32_f16_e32 v6, v6
	v_cvt_f32_f16_e32 v7, v7
	;; [unrolled: 1-line block ×4, first 2 shown]
	s_nop 1
	v_mfma_f32_16x16x16_f16 v[6:9], v[32:33], v[18:19], v[6:9]
	s_nop 7
	v_cvt_f16_f32_e32 v8, v8
	v_cvt_f16_f32_e32 v9, v9
	v_perm_b32 v32, v9, v8, s2
	ds_read_u16 v8, v158 offset:96
	ds_read_u16 v33, v158 offset:368
	;; [unrolled: 1-line block ×4, first 2 shown]
	s_waitcnt lgkmcnt(2)
	v_perm_b32 v8, v33, v8, s2
	s_waitcnt lgkmcnt(0)
	v_perm_b32 v9, v34, v9, s2
	s_nop 1
	v_mfma_f32_16x16x16_f16 v[8:11], v[8:9], v[26:27], v[38:41]
	ds_read_u16 v33, v158 offset:4448
	ds_read_u16 v34, v158 offset:4720
	;; [unrolled: 1-line block ×4, first 2 shown]
	v_cvt_f32_f16_e32 v40, v12
	v_cvt_f32_f16_sdwa v41, v12 dst_sel:DWORD dst_unused:UNUSED_PAD src0_sel:WORD_1
	s_nop 1
	v_cvt_f16_f32_e32 v8, v8
	v_cvt_f16_f32_e32 v9, v9
	;; [unrolled: 1-line block ×4, first 2 shown]
	s_waitcnt lgkmcnt(0)
	v_perm_b32 v39, v38, v37, s2
	v_perm_b32 v38, v34, v33, s2
	v_cvt_f32_f16_e32 v8, v8
	v_cvt_f32_f16_e32 v9, v9
	;; [unrolled: 1-line block ×4, first 2 shown]
	s_nop 1
	v_mfma_f32_16x16x16_f16 v[8:11], v[38:39], v[24:25], v[8:11]
	ds_read_u16 v33, v158 offset:8800
	ds_read_u16 v34, v158 offset:9072
	ds_read_u16 v37, v158 offset:9344
	ds_read_u16 v38, v159 offset:8800
	s_nop 3
	v_cvt_f16_f32_e32 v8, v8
	v_cvt_f16_f32_e32 v9, v9
	;; [unrolled: 1-line block ×4, first 2 shown]
	s_waitcnt lgkmcnt(0)
	v_perm_b32 v39, v38, v37, s2
	v_perm_b32 v38, v34, v33, s2
	v_cvt_f32_f16_e32 v8, v8
	v_cvt_f32_f16_e32 v9, v9
	;; [unrolled: 1-line block ×4, first 2 shown]
	s_nop 1
	v_mfma_f32_16x16x16_f16 v[8:11], v[38:39], v[22:23], v[8:11]
	ds_read_u16 v33, v158 offset:13152
	ds_read_u16 v34, v158 offset:13424
	ds_read_u16 v37, v158 offset:13696
	ds_read_u16 v38, v159 offset:13152
	s_nop 3
	v_cvt_f16_f32_e32 v8, v8
	v_cvt_f16_f32_e32 v9, v9
	;; [unrolled: 1-line block ×4, first 2 shown]
	s_waitcnt lgkmcnt(0)
	v_perm_b32 v39, v38, v37, s2
	v_perm_b32 v38, v34, v33, s2
	v_cvt_f32_f16_e32 v8, v8
	v_cvt_f32_f16_e32 v9, v9
	;; [unrolled: 1-line block ×4, first 2 shown]
	s_nop 1
	v_mfma_f32_16x16x16_f16 v[8:11], v[38:39], v[18:19], v[8:11]
	v_cvt_f32_f16_e32 v38, v13
	v_cvt_f32_f16_sdwa v39, v13 dst_sel:DWORD dst_unused:UNUSED_PAD src0_sel:WORD_1
	s_nop 5
	v_cvt_f16_f32_e32 v10, v10
	v_cvt_f16_f32_e32 v11, v11
	v_perm_b32 v33, v11, v10, s2
	ds_read_u16 v10, v158 offset:128
	ds_read_u16 v34, v158 offset:400
	;; [unrolled: 1-line block ×4, first 2 shown]
	s_waitcnt lgkmcnt(2)
	v_perm_b32 v10, v34, v10, s2
	s_waitcnt lgkmcnt(0)
	v_perm_b32 v11, v37, v11, s2
	s_nop 1
	v_mfma_f32_16x16x16_f16 v[10:13], v[10:11], v[26:27], v[38:41]
	ds_read_u16 v34, v158 offset:4480
	ds_read_u16 v37, v158 offset:4752
	s_nop 0
	ds_read_u16 v38, v158 offset:5024
	ds_read_u16 v39, v159 offset:4480
	v_cvt_f32_f16_e32 v40, v14
	v_cvt_f32_f16_sdwa v41, v14 dst_sel:DWORD dst_unused:UNUSED_PAD src0_sel:WORD_1
	s_nop 0
	v_cvt_f16_f32_e32 v10, v10
	v_cvt_f16_f32_e32 v11, v11
	;; [unrolled: 1-line block ×4, first 2 shown]
	s_waitcnt lgkmcnt(0)
	v_perm_b32 v39, v39, v38, s2
	v_perm_b32 v38, v37, v34, s2
	v_cvt_f32_f16_e32 v10, v10
	v_cvt_f32_f16_e32 v11, v11
	;; [unrolled: 1-line block ×4, first 2 shown]
	s_nop 1
	v_mfma_f32_16x16x16_f16 v[10:13], v[38:39], v[24:25], v[10:13]
	ds_read_u16 v34, v158 offset:8832
	ds_read_u16 v37, v158 offset:9104
	;; [unrolled: 1-line block ×4, first 2 shown]
	s_nop 3
	v_cvt_f16_f32_e32 v10, v10
	v_cvt_f16_f32_e32 v11, v11
	;; [unrolled: 1-line block ×4, first 2 shown]
	s_waitcnt lgkmcnt(0)
	v_perm_b32 v39, v39, v38, s2
	v_perm_b32 v38, v37, v34, s2
	v_cvt_f32_f16_e32 v10, v10
	v_cvt_f32_f16_e32 v11, v11
	;; [unrolled: 1-line block ×4, first 2 shown]
	s_nop 1
	v_mfma_f32_16x16x16_f16 v[10:13], v[38:39], v[22:23], v[10:13]
	ds_read_u16 v34, v158 offset:13184
	ds_read_u16 v37, v158 offset:13456
	;; [unrolled: 1-line block ×4, first 2 shown]
	s_nop 3
	v_cvt_f16_f32_e32 v10, v10
	v_cvt_f16_f32_e32 v11, v11
	;; [unrolled: 1-line block ×4, first 2 shown]
	s_waitcnt lgkmcnt(0)
	v_perm_b32 v39, v39, v38, s2
	v_perm_b32 v38, v37, v34, s2
	v_cvt_f32_f16_e32 v10, v10
	v_cvt_f32_f16_e32 v11, v11
	;; [unrolled: 1-line block ×4, first 2 shown]
	s_nop 1
	v_mfma_f32_16x16x16_f16 v[10:13], v[38:39], v[18:19], v[10:13]
	v_cvt_f32_f16_e32 v38, v15
	v_cvt_f32_f16_sdwa v39, v15 dst_sel:DWORD dst_unused:UNUSED_PAD src0_sel:WORD_1
	s_nop 5
	v_cvt_f16_f32_e32 v12, v12
	v_cvt_f16_f32_e32 v13, v13
	v_perm_b32 v34, v13, v12, s2
	ds_read_u16 v12, v158 offset:160
	ds_read_u16 v37, v158 offset:432
	;; [unrolled: 1-line block ×4, first 2 shown]
	s_waitcnt lgkmcnt(2)
	v_perm_b32 v12, v37, v12, s2
	s_waitcnt lgkmcnt(0)
	v_perm_b32 v13, v42, v13, s2
	s_nop 1
	v_mfma_f32_16x16x16_f16 v[12:15], v[12:13], v[26:27], v[38:41]
	ds_read_u16 v37, v158 offset:4512
	s_nop 1
	ds_read_u16 v38, v158 offset:4784
	ds_read_u16 v39, v158 offset:5056
	;; [unrolled: 1-line block ×3, first 2 shown]
	v_cvt_f32_f16_sdwa v41, v16 dst_sel:DWORD dst_unused:UNUSED_PAD src0_sel:WORD_1
	s_nop 0
	v_cvt_f16_f32_e32 v12, v12
	v_cvt_f16_f32_e32 v13, v13
	;; [unrolled: 1-line block ×4, first 2 shown]
	s_waitcnt lgkmcnt(0)
	v_perm_b32 v39, v40, v39, s2
	v_perm_b32 v38, v38, v37, s2
	v_cvt_f32_f16_e32 v12, v12
	v_cvt_f32_f16_e32 v13, v13
	;; [unrolled: 1-line block ×4, first 2 shown]
	s_nop 1
	v_mfma_f32_16x16x16_f16 v[12:15], v[38:39], v[24:25], v[12:15]
	ds_read_u16 v37, v158 offset:8864
	ds_read_u16 v38, v158 offset:9136
	;; [unrolled: 1-line block ×4, first 2 shown]
	s_nop 3
	v_cvt_f16_f32_e32 v12, v12
	v_cvt_f16_f32_e32 v13, v13
	;; [unrolled: 1-line block ×4, first 2 shown]
	s_waitcnt lgkmcnt(0)
	v_perm_b32 v39, v40, v39, s2
	v_perm_b32 v38, v38, v37, s2
	v_cvt_f32_f16_e32 v12, v12
	v_cvt_f32_f16_e32 v13, v13
	;; [unrolled: 1-line block ×4, first 2 shown]
	s_nop 1
	v_mfma_f32_16x16x16_f16 v[12:15], v[38:39], v[22:23], v[12:15]
	ds_read_u16 v37, v158 offset:13216
	ds_read_u16 v38, v158 offset:13488
	;; [unrolled: 1-line block ×4, first 2 shown]
	s_nop 3
	v_cvt_f16_f32_e32 v12, v12
	v_cvt_f16_f32_e32 v13, v13
	;; [unrolled: 1-line block ×4, first 2 shown]
	s_waitcnt lgkmcnt(0)
	v_perm_b32 v39, v40, v39, s2
	v_perm_b32 v38, v38, v37, s2
	v_cvt_f32_f16_e32 v12, v12
	v_cvt_f32_f16_e32 v13, v13
	;; [unrolled: 1-line block ×5, first 2 shown]
	s_nop 0
	v_mfma_f32_16x16x16_f16 v[12:15], v[38:39], v[18:19], v[12:15]
	v_cvt_f32_f16_e32 v38, v17
	v_cvt_f32_f16_sdwa v39, v17 dst_sel:DWORD dst_unused:UNUSED_PAD src0_sel:WORD_1
	s_nop 5
	v_cvt_f16_f32_e32 v14, v14
	v_cvt_f16_f32_e32 v15, v15
	v_perm_b32 v37, v15, v14, s2
	ds_read_u16 v14, v158 offset:192
	ds_read_u16 v42, v158 offset:464
	;; [unrolled: 1-line block ×4, first 2 shown]
	s_waitcnt lgkmcnt(2)
	v_perm_b32 v14, v42, v14, s2
	v_cvt_f32_f16_e32 v42, v35
	s_waitcnt lgkmcnt(0)
	v_perm_b32 v15, v43, v15, s2
	v_cvt_f32_f16_sdwa v43, v35 dst_sel:DWORD dst_unused:UNUSED_PAD src0_sel:WORD_1
	s_nop 0
	v_mfma_f32_16x16x16_f16 v[14:17], v[14:15], v[26:27], v[38:41]
	s_nop 2
	ds_read_u16 v38, v158 offset:4544
	ds_read_u16 v40, v158 offset:4816
	;; [unrolled: 1-line block ×4, first 2 shown]
	s_nop 0
	v_cvt_f16_f32_e32 v14, v14
	v_cvt_f16_f32_e32 v15, v15
	;; [unrolled: 1-line block ×4, first 2 shown]
	s_waitcnt lgkmcnt(0)
	v_perm_b32 v39, v41, v39, s2
	v_perm_b32 v38, v40, v38, s2
	v_cvt_f32_f16_e32 v14, v14
	v_cvt_f32_f16_e32 v15, v15
	;; [unrolled: 1-line block ×4, first 2 shown]
	s_nop 1
	v_mfma_f32_16x16x16_f16 v[14:17], v[38:39], v[24:25], v[14:17]
	ds_read_u16 v38, v158 offset:8896
	ds_read_u16 v40, v158 offset:9168
	;; [unrolled: 1-line block ×4, first 2 shown]
	s_nop 3
	v_cvt_f16_f32_e32 v14, v14
	v_cvt_f16_f32_e32 v15, v15
	v_cvt_f16_f32_e32 v16, v16
	v_cvt_f16_f32_e32 v17, v17
	s_waitcnt lgkmcnt(0)
	v_perm_b32 v39, v41, v39, s2
	v_perm_b32 v38, v40, v38, s2
	v_cvt_f32_f16_e32 v14, v14
	v_cvt_f32_f16_e32 v15, v15
	;; [unrolled: 1-line block ×4, first 2 shown]
	s_nop 1
	v_mfma_f32_16x16x16_f16 v[14:17], v[38:39], v[22:23], v[14:17]
	ds_read_u16 v38, v158 offset:13248
	ds_read_u16 v40, v158 offset:13520
	;; [unrolled: 1-line block ×4, first 2 shown]
	s_nop 3
	v_cvt_f16_f32_e32 v14, v14
	v_cvt_f16_f32_e32 v15, v15
	;; [unrolled: 1-line block ×4, first 2 shown]
	s_waitcnt lgkmcnt(0)
	v_perm_b32 v39, v41, v39, s2
	v_perm_b32 v38, v40, v38, s2
	v_cvt_f32_f16_e32 v14, v14
	v_cvt_f32_f16_e32 v15, v15
	;; [unrolled: 1-line block ×5, first 2 shown]
	v_cvt_f32_f16_sdwa v41, v36 dst_sel:DWORD dst_unused:UNUSED_PAD src0_sel:WORD_1
	v_mfma_f32_16x16x16_f16 v[14:17], v[38:39], v[18:19], v[14:17]
	s_nop 7
	v_cvt_f16_f32_e32 v16, v16
	v_cvt_f16_f32_e32 v17, v17
	v_perm_b32 v38, v17, v16, s2
	ds_read_u16 v16, v158 offset:224
	ds_read_u16 v39, v158 offset:496
	;; [unrolled: 1-line block ×4, first 2 shown]
	s_waitcnt lgkmcnt(2)
	v_perm_b32 v16, v39, v16, s2
	s_waitcnt lgkmcnt(0)
	v_perm_b32 v17, v44, v17, s2
	ds_read_u16 v35, v158 offset:4576
	ds_read_u16 v36, v158 offset:4848
	;; [unrolled: 1-line block ×4, first 2 shown]
	v_mfma_f32_16x16x16_f16 v[40:43], v[16:17], v[26:27], v[40:43]
	s_nop 7
	v_cvt_f16_f32_e32 v16, v40
	v_cvt_f16_f32_e32 v17, v41
	;; [unrolled: 1-line block ×4, first 2 shown]
	v_cvt_f32_f16_e32 v40, v16
	v_cvt_f32_f16_e32 v41, v17
	s_waitcnt lgkmcnt(0)
	v_perm_b32 v17, v44, v39, s2
	v_perm_b32 v16, v36, v35, s2
	v_cvt_f32_f16_e32 v42, v26
	v_cvt_f32_f16_e32 v43, v27
	s_nop 1
	v_mfma_f32_16x16x16_f16 v[24:27], v[16:17], v[24:25], v[40:43]
	ds_read_u16 v35, v158 offset:8928
	ds_read_u16 v36, v158 offset:9200
	ds_read_u16 v39, v158 offset:9472
	ds_read_u16 v40, v159 offset:8928
	s_nop 3
	v_cvt_f16_f32_e32 v16, v24
	v_cvt_f16_f32_e32 v17, v25
	;; [unrolled: 1-line block ×4, first 2 shown]
	v_cvt_f32_f16_e32 v24, v16
	v_cvt_f32_f16_e32 v25, v17
	s_waitcnt lgkmcnt(0)
	v_perm_b32 v17, v40, v39, s2
	v_perm_b32 v16, v36, v35, s2
	v_cvt_f32_f16_e32 v26, v26
	v_cvt_f32_f16_e32 v27, v27
	s_nop 1
	v_mfma_f32_16x16x16_f16 v[22:25], v[16:17], v[22:23], v[24:27]
	ds_read_u16 v16, v158 offset:13280
	ds_read_u16 v17, v158 offset:13552
	s_nop 0
	ds_read_u16 v26, v158 offset:13824
	ds_read_u16 v27, v159 offset:13280
	s_waitcnt lgkmcnt(0)
	s_barrier
	s_nop 0
	v_cvt_f16_f32_e32 v22, v22
	v_cvt_f16_f32_e32 v23, v23
	;; [unrolled: 1-line block ×4, first 2 shown]
	v_perm_b32 v27, v27, v26, s2
	v_perm_b32 v26, v17, v16, s2
	v_cvt_f32_f16_e32 v22, v22
	v_cvt_f32_f16_e32 v23, v23
	;; [unrolled: 1-line block ×4, first 2 shown]
	s_nop 1
	v_mfma_f32_16x16x16_f16 v[16:19], v[26:27], v[18:19], v[22:25]
	s_nop 7
	v_cvt_f16_f32_e32 v18, v18
	v_cvt_f16_f32_e32 v19, v19
	v_perm_b32 v18, v19, v18, s2
	ds_bpermute_b32 v19, v28, v29
	s_waitcnt lgkmcnt(0)
	v_add_f32_e32 v19, v29, v19
	ds_bpermute_b32 v21, v21, v19
	s_waitcnt lgkmcnt(0)
	v_add_f32_e32 v21, v19, v21
	s_cbranch_vccnz .LBB25_512
; %bb.511:                              ;   in Loop: Header=BB25_9 Depth=1
	v_lshlrev_b32_e32 v19, 2, v76
	v_readfirstlane_b32 s34, v100
	v_readfirstlane_b32 s35, v101
	v_cvt_pk_f16_f32 v2, v2, v3
	v_cvt_pk_f16_f32 v3, v4, v5
	;; [unrolled: 1-line block ×3, first 2 shown]
	v_max_f32_e32 v6, v20, v20
	v_cvt_pk_f16_f32 v22, v10, v11
	global_load_dword v19, v19, s[34:35]
	v_cvt_pk_f16_f32 v5, v8, v9
	v_cvt_pk_f16_f32 v12, v12, v13
	;; [unrolled: 1-line block ×4, first 2 shown]
	s_waitcnt vmcnt(0)
	v_max_f32_e32 v7, v19, v19
	v_max_f32_e32 v10, v6, v7
	v_sub_f32_e32 v6, v20, v10
	v_sub_f32_e32 v7, v19, v10
	v_mul_f32_e32 v8, 0x3fb8aa3b, v6
	v_mul_f32_e32 v9, 0x3fb8aa3b, v7
	v_fma_f32 v11, v6, s47, -v8
	v_rndne_f32_e32 v13, v8
	v_fma_f32 v19, v7, s47, -v9
	v_rndne_f32_e32 v20, v9
	v_fmac_f32_e32 v11, 0x32a5705f, v6
	v_sub_f32_e32 v8, v8, v13
	v_fmac_f32_e32 v19, 0x32a5705f, v7
	v_sub_f32_e32 v9, v9, v20
	v_add_f32_e32 v8, v8, v11
	v_cvt_i32_f32_e32 v13, v13
	v_add_f32_e32 v9, v9, v19
	v_exp_f32_e32 v8, v8
	v_cvt_i32_f32_e32 v20, v20
	v_exp_f32_e32 v9, v9
	v_cmp_ngt_f32_e32 vcc, s0, v6
	v_ldexp_f32 v8, v8, v13
	v_ldexp_f32 v9, v9, v20
	v_cndmask_b32_e32 v8, 0, v8, vcc
	v_cmp_ngt_f32_e32 vcc, s0, v7
	s_nop 1
	v_cndmask_b32_e32 v9, 0, v9, vcc
	v_cmp_nlt_f32_e32 vcc, s1, v6
	s_nop 1
	v_cndmask_b32_e32 v8, v236, v8, vcc
	v_cmp_le_f32_e32 vcc, s63, v6
	s_nop 1
	v_cndmask_b32_e32 v6, 0, v8, vcc
	v_cvt_f16_f32_e32 v8, v6
	v_cmp_nlt_f32_e32 vcc, s1, v7
	v_mul_u32_u24_e32 v13, 0x10001, v8
	s_nop 0
	v_cndmask_b32_e32 v11, v236, v9, vcc
	v_fmac_f32_e32 v11, v21, v6
	v_pk_mul_f16 v9, v2, v13
	v_pk_mul_f16 v30, v30, v13
	v_pk_mul_f16 v8, v3, v13
	v_pk_mul_f16 v31, v31, v13
	v_pk_mul_f16 v7, v4, v13
	v_pk_mul_f16 v32, v32, v13
	v_pk_mul_f16 v6, v5, v13
	v_pk_mul_f16 v33, v33, v13
	v_pk_mul_f16 v5, v22, v13
	v_pk_mul_f16 v34, v34, v13
	v_pk_mul_f16 v4, v12, v13
	v_pk_mul_f16 v37, v37, v13
	v_pk_mul_f16 v3, v14, v13
	v_pk_mul_f16 v38, v38, v13
	v_pk_mul_f16 v2, v15, v13
	v_pk_mul_f16 v18, v18, v13
	v_mov_b64_e32 v[20:21], v[10:11]
	s_branch .LBB25_513
.LBB25_512:                             ;   in Loop: Header=BB25_9 Depth=1
	v_cvt_f16_f32_e32 v19, v2
	v_cvt_f16_f32_e32 v22, v3
	v_cvt_f16_f32_e32 v23, v4
	v_cvt_f16_f32_e32 v24, v5
	v_cvt_f16_f32_e32 v25, v6
	v_cvt_f16_f32_e32 v7, v7
	v_cvt_f16_f32_e32 v6, v8
	v_cvt_f16_f32_e32 v8, v9
	v_cvt_f16_f32_e32 v5, v10
	v_cvt_f16_f32_e32 v4, v12
	v_cvt_f16_f32_e32 v3, v14
	v_cvt_f16_f32_e32 v2, v16
	v_cvt_f16_f32_e32 v9, v17
	v_cvt_f16_f32_e32 v10, v15
	v_cvt_f16_f32_e32 v12, v13
	v_cvt_f16_f32_e32 v11, v11
	v_perm_b32 v2, v9, v2, s2
	v_perm_b32 v3, v10, v3, s2
	;; [unrolled: 1-line block ×8, first 2 shown]
.LBB25_513:                             ;   in Loop: Header=BB25_9 Depth=1
	s_mov_b64 s[34:35], exec
	v_readlane_b32 s56, v255, 20
	v_readlane_b32 s57, v255, 21
	s_and_b64 s[56:57], s[34:35], s[56:57]
	s_mov_b64 exec, s[56:57]
; %bb.514:                              ;   in Loop: Header=BB25_9 Depth=1
	ds_write2_b32 v207, v20, v21 offset0:64 offset1:65
; %bb.515:                              ;   in Loop: Header=BB25_9 Depth=1
	s_or_b64 exec, exec, s[34:35]
	v_add_u32_e32 v10, v77, v163
	s_waitcnt lgkmcnt(0)
	s_barrier
	ds_write2_b32 v10, v9, v30 offset1:1
	ds_write2_b32 v10, v8, v31 offset0:8 offset1:9
	ds_write2_b32 v10, v7, v32 offset0:16 offset1:17
	;; [unrolled: 1-line block ×7, first 2 shown]
	v_mov_b32_e32 v2, 50
	s_waitcnt lgkmcnt(0)
	s_barrier
	s_and_saveexec_b64 s[56:57], s[98:99]
	s_cbranch_execz .LBB25_517
; %bb.516:                              ;   in Loop: Header=BB25_9 Depth=1
	ds_read_b32 v6, v174 offset:260
	ds_read_b32 v4, v175
	v_mad_u64_u32 v[2:3], s[34:35], v237, s25, v[46:47]
	v_lshl_add_u32 v2, v2, 6, v48
	v_ashrrev_i32_e32 v3, 31, v2
	s_waitcnt lgkmcnt(0)
	v_cvt_f32_f16_sdwa v5, v4 dst_sel:DWORD dst_unused:UNUSED_PAD src0_sel:WORD_1
	v_cvt_f32_f16_e32 v4, v4
	v_lshl_add_u64 v[2:3], v[2:3], 3, v[98:99]
	v_pk_add_f32 v[4:5], v[4:5], 0 op_sel_hi:[1,0]
	s_nop 0
	v_div_scale_f32 v7, s[34:35], v6, v6, v5
	v_rcp_f32_e32 v8, v7
	s_nop 0
	v_fma_f32 v9, -v7, v8, 1.0
	v_fmac_f32_e32 v8, v9, v8
	v_div_scale_f32 v9, vcc, v5, v6, v5
	v_mul_f32_e32 v10, v9, v8
	v_fma_f32 v11, -v7, v10, v9
	v_fmac_f32_e32 v10, v11, v8
	v_fma_f32 v7, -v7, v10, v9
	v_div_fmas_f32 v7, v7, v8, v10
	v_div_fixup_f32 v5, v7, v6, v5
	v_div_scale_f32 v7, s[34:35], v6, v6, v4
	v_rcp_f32_e32 v8, v7
	s_nop 0
	v_fma_f32 v9, -v7, v8, 1.0
	v_fmac_f32_e32 v8, v9, v8
	v_div_scale_f32 v9, vcc, v4, v6, v4
	v_mul_f32_e32 v10, v9, v8
	v_fma_f32 v11, -v7, v10, v9
	v_fmac_f32_e32 v10, v11, v8
	v_fma_f32 v7, -v7, v10, v9
	v_div_fmas_f32 v7, v7, v8, v10
	v_div_fixup_f32 v4, v7, v6, v4
	global_store_dwordx2 v[2:3], v[4:5], off
	v_mov_b32_e32 v2, 0
.LBB25_517:                             ;   in Loop: Header=BB25_9 Depth=1
	s_or_b64 exec, exec, s[56:57]
	v_cmp_gt_i32_e32 vcc, 50, v2
	s_mov_b64 s[34:35], -1
	s_and_saveexec_b64 s[56:57], vcc
; %bb.518:                              ;   in Loop: Header=BB25_9 Depth=1
	v_cmp_eq_u32_e32 vcc, 0, v2
	s_orn2_b64 s[34:35], vcc, exec
; %bb.519:                              ;   in Loop: Header=BB25_9 Depth=1
	s_or_b64 exec, exec, s[56:57]
                                        ; implicit-def: $vgpr2_vgpr3
	s_and_saveexec_b64 s[98:99], s[34:35]
	s_cbranch_execz .LBB25_607
; %bb.520:                              ;   in Loop: Header=BB25_9 Depth=1
	v_mov_b32_e32 v2, 50
	s_and_saveexec_b64 s[56:57], s[96:97]
	s_cbranch_execz .LBB25_522
; %bb.521:                              ;   in Loop: Header=BB25_9 Depth=1
	ds_read_b32 v6, v176 offset:260
	ds_read_b32 v4, v177
	v_mad_u64_u32 v[2:3], s[34:35], v251, s25, v[46:47]
	v_lshl_add_u32 v2, v2, 6, v48
	v_ashrrev_i32_e32 v3, 31, v2
	s_waitcnt lgkmcnt(0)
	v_cvt_f32_f16_sdwa v5, v4 dst_sel:DWORD dst_unused:UNUSED_PAD src0_sel:WORD_1
	v_cvt_f32_f16_e32 v4, v4
	v_lshl_add_u64 v[2:3], v[2:3], 3, v[98:99]
	v_pk_add_f32 v[4:5], v[4:5], 0 op_sel_hi:[1,0]
	s_nop 0
	v_div_scale_f32 v7, s[34:35], v6, v6, v5
	v_rcp_f32_e32 v8, v7
	s_nop 0
	v_fma_f32 v9, -v7, v8, 1.0
	v_fmac_f32_e32 v8, v9, v8
	v_div_scale_f32 v9, vcc, v5, v6, v5
	v_mul_f32_e32 v10, v9, v8
	v_fma_f32 v11, -v7, v10, v9
	v_fmac_f32_e32 v10, v11, v8
	v_fma_f32 v7, -v7, v10, v9
	v_div_fmas_f32 v7, v7, v8, v10
	v_div_fixup_f32 v5, v7, v6, v5
	v_div_scale_f32 v7, s[34:35], v6, v6, v4
	v_rcp_f32_e32 v8, v7
	s_nop 0
	v_fma_f32 v9, -v7, v8, 1.0
	v_fmac_f32_e32 v8, v9, v8
	v_div_scale_f32 v9, vcc, v4, v6, v4
	v_mul_f32_e32 v10, v9, v8
	v_fma_f32 v11, -v7, v10, v9
	v_fmac_f32_e32 v10, v11, v8
	v_fma_f32 v7, -v7, v10, v9
	v_div_fmas_f32 v7, v7, v8, v10
	v_div_fixup_f32 v4, v7, v6, v4
	global_store_dwordx2 v[2:3], v[4:5], off
	v_mov_b32_e32 v2, 0
.LBB25_522:                             ;   in Loop: Header=BB25_9 Depth=1
	s_or_b64 exec, exec, s[56:57]
	v_cmp_gt_i32_e32 vcc, 50, v2
	s_mov_b64 s[96:97], -1
	s_and_saveexec_b64 s[34:35], vcc
; %bb.523:                              ;   in Loop: Header=BB25_9 Depth=1
	v_cmp_eq_u32_e32 vcc, 0, v2
	s_orn2_b64 s[96:97], vcc, exec
; %bb.524:                              ;   in Loop: Header=BB25_9 Depth=1
	s_or_b64 exec, exec, s[34:35]
	s_mov_b64 s[34:35], s[6:7]
                                        ; implicit-def: $vgpr2_vgpr3
	s_and_saveexec_b64 s[56:57], s[96:97]
	s_cbranch_execz .LBB25_606
; %bb.525:                              ;   in Loop: Header=BB25_9 Depth=1
	v_mov_b32_e32 v2, 50
	s_and_saveexec_b64 s[96:97], s[94:95]
	s_cbranch_execz .LBB25_527
; %bb.526:                              ;   in Loop: Header=BB25_9 Depth=1
	ds_read_b32 v6, v178 offset:260
	ds_read_b32 v4, v179
	v_mad_u64_u32 v[2:3], s[34:35], v250, s25, v[46:47]
	v_lshl_add_u32 v2, v2, 6, v48
	v_ashrrev_i32_e32 v3, 31, v2
	s_waitcnt lgkmcnt(0)
	v_cvt_f32_f16_sdwa v5, v4 dst_sel:DWORD dst_unused:UNUSED_PAD src0_sel:WORD_1
	v_cvt_f32_f16_e32 v4, v4
	v_lshl_add_u64 v[2:3], v[2:3], 3, v[98:99]
	v_pk_add_f32 v[4:5], v[4:5], 0 op_sel_hi:[1,0]
	s_nop 0
	v_div_scale_f32 v7, s[34:35], v6, v6, v5
	v_rcp_f32_e32 v8, v7
	s_nop 0
	v_fma_f32 v9, -v7, v8, 1.0
	v_fmac_f32_e32 v8, v9, v8
	v_div_scale_f32 v9, vcc, v5, v6, v5
	v_mul_f32_e32 v10, v9, v8
	v_fma_f32 v11, -v7, v10, v9
	v_fmac_f32_e32 v10, v11, v8
	v_fma_f32 v7, -v7, v10, v9
	v_div_fmas_f32 v7, v7, v8, v10
	v_div_fixup_f32 v5, v7, v6, v5
	v_div_scale_f32 v7, s[34:35], v6, v6, v4
	v_rcp_f32_e32 v8, v7
	s_nop 0
	v_fma_f32 v9, -v7, v8, 1.0
	v_fmac_f32_e32 v8, v9, v8
	v_div_scale_f32 v9, vcc, v4, v6, v4
	v_mul_f32_e32 v10, v9, v8
	v_fma_f32 v11, -v7, v10, v9
	v_fmac_f32_e32 v10, v11, v8
	v_fma_f32 v7, -v7, v10, v9
	v_div_fmas_f32 v7, v7, v8, v10
	v_div_fixup_f32 v4, v7, v6, v4
	global_store_dwordx2 v[2:3], v[4:5], off
	v_mov_b32_e32 v2, 0
.LBB25_527:                             ;   in Loop: Header=BB25_9 Depth=1
	s_or_b64 exec, exec, s[96:97]
	v_cmp_gt_i32_e32 vcc, 50, v2
	s_mov_b64 s[96:97], -1
	s_and_saveexec_b64 s[34:35], vcc
; %bb.528:                              ;   in Loop: Header=BB25_9 Depth=1
	v_cmp_eq_u32_e32 vcc, 0, v2
	s_orn2_b64 s[96:97], vcc, exec
; %bb.529:                              ;   in Loop: Header=BB25_9 Depth=1
	s_or_b64 exec, exec, s[34:35]
	s_mov_b64 s[34:35], s[6:7]
	;; [unrolled: 56-line block ×6, first 2 shown]
                                        ; implicit-def: $vgpr2_vgpr3
	s_and_saveexec_b64 s[86:87], s[96:97]
	s_cbranch_execz .LBB25_601
; %bb.550:                              ;   in Loop: Header=BB25_9 Depth=1
	v_mov_b32_e32 v2, 50
	s_and_saveexec_b64 s[96:97], s[84:85]
	s_cbranch_execz .LBB25_552
; %bb.551:                              ;   in Loop: Header=BB25_9 Depth=1
	v_add_u32_e32 v2, 0x1dc0, v174
	ds_read_b32 v6, v2 offset:260
	ds_read_b32 v4, v188
	v_mad_u64_u32 v[2:3], s[34:35], v245, s25, v[46:47]
	v_lshl_add_u32 v2, v2, 6, v48
	v_ashrrev_i32_e32 v3, 31, v2
	s_waitcnt lgkmcnt(0)
	v_cvt_f32_f16_sdwa v5, v4 dst_sel:DWORD dst_unused:UNUSED_PAD src0_sel:WORD_1
	v_cvt_f32_f16_e32 v4, v4
	v_lshl_add_u64 v[2:3], v[2:3], 3, v[98:99]
	v_pk_add_f32 v[4:5], v[4:5], 0 op_sel_hi:[1,0]
	s_nop 0
	v_div_scale_f32 v7, s[34:35], v6, v6, v5
	v_rcp_f32_e32 v8, v7
	s_nop 0
	v_fma_f32 v9, -v7, v8, 1.0
	v_fmac_f32_e32 v8, v9, v8
	v_div_scale_f32 v9, vcc, v5, v6, v5
	v_mul_f32_e32 v10, v9, v8
	v_fma_f32 v11, -v7, v10, v9
	v_fmac_f32_e32 v10, v11, v8
	v_fma_f32 v7, -v7, v10, v9
	v_div_fmas_f32 v7, v7, v8, v10
	v_div_fixup_f32 v5, v7, v6, v5
	v_div_scale_f32 v7, s[34:35], v6, v6, v4
	v_rcp_f32_e32 v8, v7
	s_nop 0
	v_fma_f32 v9, -v7, v8, 1.0
	v_fmac_f32_e32 v8, v9, v8
	v_div_scale_f32 v9, vcc, v4, v6, v4
	v_mul_f32_e32 v10, v9, v8
	v_fma_f32 v11, -v7, v10, v9
	v_fmac_f32_e32 v10, v11, v8
	v_fma_f32 v7, -v7, v10, v9
	v_div_fmas_f32 v7, v7, v8, v10
	v_div_fixup_f32 v4, v7, v6, v4
	global_store_dwordx2 v[2:3], v[4:5], off
	v_mov_b32_e32 v2, 0
.LBB25_552:                             ;   in Loop: Header=BB25_9 Depth=1
	s_or_b64 exec, exec, s[96:97]
	v_cmp_gt_i32_e32 vcc, 50, v2
	s_mov_b64 s[96:97], -1
	s_and_saveexec_b64 s[34:35], vcc
; %bb.553:                              ;   in Loop: Header=BB25_9 Depth=1
	v_cmp_eq_u32_e32 vcc, 0, v2
	s_orn2_b64 s[96:97], vcc, exec
; %bb.554:                              ;   in Loop: Header=BB25_9 Depth=1
	s_or_b64 exec, exec, s[34:35]
	s_mov_b64 s[34:35], s[6:7]
                                        ; implicit-def: $vgpr2_vgpr3
	s_and_saveexec_b64 s[84:85], s[96:97]
	s_cbranch_execz .LBB25_600
; %bb.555:                              ;   in Loop: Header=BB25_9 Depth=1
	v_mov_b32_e32 v2, 50
	s_and_saveexec_b64 s[96:97], s[82:83]
	s_cbranch_execz .LBB25_557
; %bb.556:                              ;   in Loop: Header=BB25_9 Depth=1
	ds_read_b32 v6, v171 offset:260
	ds_read_b32 v4, v189
	v_mad_u64_u32 v[2:3], s[34:35], v244, s25, v[46:47]
	v_lshl_add_u32 v2, v2, 6, v48
	v_ashrrev_i32_e32 v3, 31, v2
	s_waitcnt lgkmcnt(0)
	v_cvt_f32_f16_sdwa v5, v4 dst_sel:DWORD dst_unused:UNUSED_PAD src0_sel:WORD_1
	v_cvt_f32_f16_e32 v4, v4
	v_lshl_add_u64 v[2:3], v[2:3], 3, v[98:99]
	v_pk_add_f32 v[4:5], v[4:5], 0 op_sel_hi:[1,0]
	s_nop 0
	v_div_scale_f32 v7, s[34:35], v6, v6, v5
	v_rcp_f32_e32 v8, v7
	s_nop 0
	v_fma_f32 v9, -v7, v8, 1.0
	v_fmac_f32_e32 v8, v9, v8
	v_div_scale_f32 v9, vcc, v5, v6, v5
	v_mul_f32_e32 v10, v9, v8
	v_fma_f32 v11, -v7, v10, v9
	v_fmac_f32_e32 v10, v11, v8
	v_fma_f32 v7, -v7, v10, v9
	v_div_fmas_f32 v7, v7, v8, v10
	v_div_fixup_f32 v5, v7, v6, v5
	v_div_scale_f32 v7, s[34:35], v6, v6, v4
	v_rcp_f32_e32 v8, v7
	s_nop 0
	v_fma_f32 v9, -v7, v8, 1.0
	v_fmac_f32_e32 v8, v9, v8
	v_div_scale_f32 v9, vcc, v4, v6, v4
	v_mul_f32_e32 v10, v9, v8
	v_fma_f32 v11, -v7, v10, v9
	v_fmac_f32_e32 v10, v11, v8
	v_fma_f32 v7, -v7, v10, v9
	v_div_fmas_f32 v7, v7, v8, v10
	v_div_fixup_f32 v4, v7, v6, v4
	global_store_dwordx2 v[2:3], v[4:5], off
	v_mov_b32_e32 v2, 0
.LBB25_557:                             ;   in Loop: Header=BB25_9 Depth=1
	s_or_b64 exec, exec, s[96:97]
	v_cmp_gt_i32_e32 vcc, 50, v2
	s_mov_b64 s[96:97], -1
	s_and_saveexec_b64 s[34:35], vcc
; %bb.558:                              ;   in Loop: Header=BB25_9 Depth=1
	v_cmp_eq_u32_e32 vcc, 0, v2
	s_orn2_b64 s[96:97], vcc, exec
; %bb.559:                              ;   in Loop: Header=BB25_9 Depth=1
	s_or_b64 exec, exec, s[34:35]
	s_mov_b64 s[34:35], s[6:7]
                                        ; implicit-def: $vgpr2_vgpr3
	s_and_saveexec_b64 s[82:83], s[96:97]
	s_cbranch_execz .LBB25_599
; %bb.560:                              ;   in Loop: Header=BB25_9 Depth=1
	v_mov_b32_e32 v2, 50
	s_and_saveexec_b64 s[96:97], s[80:81]
	s_cbranch_execz .LBB25_562
; %bb.561:                              ;   in Loop: Header=BB25_9 Depth=1
	v_add_u32_e32 v2, 0x2640, v174
	ds_read_b32 v6, v2 offset:260
	v_mad_u64_u32 v[2:3], s[34:35], v243, s25, v[46:47]
	scratch_load_dword v3, off, off         ; 4-byte Folded Reload
	v_lshl_add_u32 v2, v2, 6, v48
	s_waitcnt vmcnt(0)
	ds_read_b32 v4, v3
	v_ashrrev_i32_e32 v3, 31, v2
	v_lshl_add_u64 v[2:3], v[2:3], 3, v[98:99]
	s_waitcnt lgkmcnt(0)
	v_cvt_f32_f16_sdwa v5, v4 dst_sel:DWORD dst_unused:UNUSED_PAD src0_sel:WORD_1
	v_cvt_f32_f16_e32 v4, v4
	v_pk_add_f32 v[4:5], v[4:5], 0 op_sel_hi:[1,0]
	s_nop 0
	v_div_scale_f32 v7, s[34:35], v6, v6, v5
	v_rcp_f32_e32 v8, v7
	s_nop 0
	v_fma_f32 v9, -v7, v8, 1.0
	v_fmac_f32_e32 v8, v9, v8
	v_div_scale_f32 v9, vcc, v5, v6, v5
	v_mul_f32_e32 v10, v9, v8
	v_fma_f32 v11, -v7, v10, v9
	v_fmac_f32_e32 v10, v11, v8
	v_fma_f32 v7, -v7, v10, v9
	v_div_fmas_f32 v7, v7, v8, v10
	v_div_fixup_f32 v5, v7, v6, v5
	v_div_scale_f32 v7, s[34:35], v6, v6, v4
	v_rcp_f32_e32 v8, v7
	s_nop 0
	v_fma_f32 v9, -v7, v8, 1.0
	v_fmac_f32_e32 v8, v9, v8
	v_div_scale_f32 v9, vcc, v4, v6, v4
	v_mul_f32_e32 v10, v9, v8
	v_fma_f32 v11, -v7, v10, v9
	v_fmac_f32_e32 v10, v11, v8
	v_fma_f32 v7, -v7, v10, v9
	v_div_fmas_f32 v7, v7, v8, v10
	v_div_fixup_f32 v4, v7, v6, v4
	global_store_dwordx2 v[2:3], v[4:5], off
	v_mov_b32_e32 v2, 0
.LBB25_562:                             ;   in Loop: Header=BB25_9 Depth=1
	s_or_b64 exec, exec, s[96:97]
	v_cmp_gt_i32_e32 vcc, 50, v2
	s_mov_b64 s[96:97], -1
	s_and_saveexec_b64 s[34:35], vcc
; %bb.563:                              ;   in Loop: Header=BB25_9 Depth=1
	v_cmp_eq_u32_e32 vcc, 0, v2
	s_orn2_b64 s[96:97], vcc, exec
; %bb.564:                              ;   in Loop: Header=BB25_9 Depth=1
	s_or_b64 exec, exec, s[34:35]
	s_mov_b64 s[34:35], s[6:7]
                                        ; implicit-def: $vgpr2_vgpr3
	s_and_saveexec_b64 s[80:81], s[96:97]
	s_cbranch_execz .LBB25_598
; %bb.565:                              ;   in Loop: Header=BB25_9 Depth=1
	v_mov_b32_e32 v2, 50
	s_and_saveexec_b64 s[96:97], s[78:79]
	s_cbranch_execz .LBB25_567
; %bb.566:                              ;   in Loop: Header=BB25_9 Depth=1
	v_add_u32_e32 v2, 0x2a80, v174
	ds_read_b32 v6, v2 offset:260
	v_mad_u64_u32 v[2:3], s[34:35], v242, s25, v[46:47]
	scratch_load_dword v3, off, off offset:4 ; 4-byte Folded Reload
	v_lshl_add_u32 v2, v2, 6, v48
	s_waitcnt vmcnt(0)
	ds_read_b32 v4, v3
	v_ashrrev_i32_e32 v3, 31, v2
	v_lshl_add_u64 v[2:3], v[2:3], 3, v[98:99]
	s_waitcnt lgkmcnt(0)
	v_cvt_f32_f16_sdwa v5, v4 dst_sel:DWORD dst_unused:UNUSED_PAD src0_sel:WORD_1
	v_cvt_f32_f16_e32 v4, v4
	v_pk_add_f32 v[4:5], v[4:5], 0 op_sel_hi:[1,0]
	s_nop 0
	v_div_scale_f32 v7, s[34:35], v6, v6, v5
	v_rcp_f32_e32 v8, v7
	s_nop 0
	v_fma_f32 v9, -v7, v8, 1.0
	v_fmac_f32_e32 v8, v9, v8
	v_div_scale_f32 v9, vcc, v5, v6, v5
	v_mul_f32_e32 v10, v9, v8
	v_fma_f32 v11, -v7, v10, v9
	v_fmac_f32_e32 v10, v11, v8
	v_fma_f32 v7, -v7, v10, v9
	v_div_fmas_f32 v7, v7, v8, v10
	v_div_fixup_f32 v5, v7, v6, v5
	v_div_scale_f32 v7, s[34:35], v6, v6, v4
	v_rcp_f32_e32 v8, v7
	s_nop 0
	v_fma_f32 v9, -v7, v8, 1.0
	v_fmac_f32_e32 v8, v9, v8
	v_div_scale_f32 v9, vcc, v4, v6, v4
	v_mul_f32_e32 v10, v9, v8
	v_fma_f32 v11, -v7, v10, v9
	v_fmac_f32_e32 v10, v11, v8
	v_fma_f32 v7, -v7, v10, v9
	v_div_fmas_f32 v7, v7, v8, v10
	v_div_fixup_f32 v4, v7, v6, v4
	global_store_dwordx2 v[2:3], v[4:5], off
	v_mov_b32_e32 v2, 0
.LBB25_567:                             ;   in Loop: Header=BB25_9 Depth=1
	s_or_b64 exec, exec, s[96:97]
	v_cmp_gt_i32_e32 vcc, 50, v2
	s_mov_b64 s[96:97], -1
	s_and_saveexec_b64 s[34:35], vcc
; %bb.568:                              ;   in Loop: Header=BB25_9 Depth=1
	v_cmp_eq_u32_e32 vcc, 0, v2
	s_orn2_b64 s[96:97], vcc, exec
; %bb.569:                              ;   in Loop: Header=BB25_9 Depth=1
	s_or_b64 exec, exec, s[34:35]
	s_mov_b64 s[34:35], s[6:7]
                                        ; implicit-def: $vgpr2_vgpr3
	s_and_saveexec_b64 s[78:79], s[96:97]
	s_cbranch_execz .LBB25_597
; %bb.570:                              ;   in Loop: Header=BB25_9 Depth=1
	v_mov_b32_e32 v2, 50
	s_and_saveexec_b64 s[96:97], s[76:77]
	s_cbranch_execz .LBB25_572
; %bb.571:                              ;   in Loop: Header=BB25_9 Depth=1
	v_add_u32_e32 v2, 0x2ec0, v174
	ds_read_b32 v6, v2 offset:260
	v_mad_u64_u32 v[2:3], s[34:35], v241, s25, v[46:47]
	scratch_load_dword v3, off, off offset:8 ; 4-byte Folded Reload
	v_lshl_add_u32 v2, v2, 6, v48
	s_waitcnt vmcnt(0)
	ds_read_b32 v4, v3
	v_ashrrev_i32_e32 v3, 31, v2
	v_lshl_add_u64 v[2:3], v[2:3], 3, v[98:99]
	s_waitcnt lgkmcnt(0)
	v_cvt_f32_f16_sdwa v5, v4 dst_sel:DWORD dst_unused:UNUSED_PAD src0_sel:WORD_1
	v_cvt_f32_f16_e32 v4, v4
	v_pk_add_f32 v[4:5], v[4:5], 0 op_sel_hi:[1,0]
	s_nop 0
	v_div_scale_f32 v7, s[34:35], v6, v6, v5
	v_rcp_f32_e32 v8, v7
	s_nop 0
	v_fma_f32 v9, -v7, v8, 1.0
	v_fmac_f32_e32 v8, v9, v8
	v_div_scale_f32 v9, vcc, v5, v6, v5
	v_mul_f32_e32 v10, v9, v8
	v_fma_f32 v11, -v7, v10, v9
	v_fmac_f32_e32 v10, v11, v8
	v_fma_f32 v7, -v7, v10, v9
	v_div_fmas_f32 v7, v7, v8, v10
	v_div_fixup_f32 v5, v7, v6, v5
	v_div_scale_f32 v7, s[34:35], v6, v6, v4
	v_rcp_f32_e32 v8, v7
	s_nop 0
	v_fma_f32 v9, -v7, v8, 1.0
	v_fmac_f32_e32 v8, v9, v8
	v_div_scale_f32 v9, vcc, v4, v6, v4
	v_mul_f32_e32 v10, v9, v8
	v_fma_f32 v11, -v7, v10, v9
	v_fmac_f32_e32 v10, v11, v8
	v_fma_f32 v7, -v7, v10, v9
	v_div_fmas_f32 v7, v7, v8, v10
	v_div_fixup_f32 v4, v7, v6, v4
	global_store_dwordx2 v[2:3], v[4:5], off
	v_mov_b32_e32 v2, 0
.LBB25_572:                             ;   in Loop: Header=BB25_9 Depth=1
	s_or_b64 exec, exec, s[96:97]
	v_cmp_gt_i32_e32 vcc, 50, v2
	s_mov_b64 s[96:97], -1
	s_and_saveexec_b64 s[34:35], vcc
; %bb.573:                              ;   in Loop: Header=BB25_9 Depth=1
	v_cmp_eq_u32_e32 vcc, 0, v2
	s_orn2_b64 s[96:97], vcc, exec
; %bb.574:                              ;   in Loop: Header=BB25_9 Depth=1
	s_or_b64 exec, exec, s[34:35]
	s_mov_b64 s[34:35], s[6:7]
                                        ; implicit-def: $vgpr2_vgpr3
	s_and_saveexec_b64 s[76:77], s[96:97]
	s_cbranch_execz .LBB25_596
; %bb.575:                              ;   in Loop: Header=BB25_9 Depth=1
	v_mov_b32_e32 v2, 50
	s_and_saveexec_b64 s[96:97], s[74:75]
	s_cbranch_execz .LBB25_577
; %bb.576:                              ;   in Loop: Header=BB25_9 Depth=1
	v_mad_u64_u32 v[2:3], s[34:35], v240, s25, v[46:47]
	scratch_load_dword v3, off, off offset:16 ; 4-byte Folded Reload
	ds_read_b32 v6, v172 offset:260
	v_lshl_add_u32 v2, v2, 6, v48
	s_waitcnt vmcnt(0)
	ds_read_b32 v4, v3
	v_ashrrev_i32_e32 v3, 31, v2
	v_lshl_add_u64 v[2:3], v[2:3], 3, v[98:99]
	s_waitcnt lgkmcnt(0)
	v_cvt_f32_f16_sdwa v5, v4 dst_sel:DWORD dst_unused:UNUSED_PAD src0_sel:WORD_1
	v_cvt_f32_f16_e32 v4, v4
	v_pk_add_f32 v[4:5], v[4:5], 0 op_sel_hi:[1,0]
	s_nop 0
	v_div_scale_f32 v7, s[34:35], v6, v6, v5
	v_rcp_f32_e32 v8, v7
	s_nop 0
	v_fma_f32 v9, -v7, v8, 1.0
	v_fmac_f32_e32 v8, v9, v8
	v_div_scale_f32 v9, vcc, v5, v6, v5
	v_mul_f32_e32 v10, v9, v8
	v_fma_f32 v11, -v7, v10, v9
	v_fmac_f32_e32 v10, v11, v8
	v_fma_f32 v7, -v7, v10, v9
	v_div_fmas_f32 v7, v7, v8, v10
	v_div_fixup_f32 v5, v7, v6, v5
	v_div_scale_f32 v7, s[34:35], v6, v6, v4
	v_rcp_f32_e32 v8, v7
	s_nop 0
	v_fma_f32 v9, -v7, v8, 1.0
	v_fmac_f32_e32 v8, v9, v8
	v_div_scale_f32 v9, vcc, v4, v6, v4
	v_mul_f32_e32 v10, v9, v8
	v_fma_f32 v11, -v7, v10, v9
	v_fmac_f32_e32 v10, v11, v8
	v_fma_f32 v7, -v7, v10, v9
	v_div_fmas_f32 v7, v7, v8, v10
	v_div_fixup_f32 v4, v7, v6, v4
	global_store_dwordx2 v[2:3], v[4:5], off
	v_mov_b32_e32 v2, 0
.LBB25_577:                             ;   in Loop: Header=BB25_9 Depth=1
	s_or_b64 exec, exec, s[96:97]
	v_cmp_gt_i32_e32 vcc, 50, v2
	s_mov_b64 s[96:97], -1
	s_and_saveexec_b64 s[34:35], vcc
; %bb.578:                              ;   in Loop: Header=BB25_9 Depth=1
	v_cmp_eq_u32_e32 vcc, 0, v2
	s_orn2_b64 s[96:97], vcc, exec
; %bb.579:                              ;   in Loop: Header=BB25_9 Depth=1
	s_or_b64 exec, exec, s[34:35]
	s_mov_b64 s[34:35], s[6:7]
                                        ; implicit-def: $vgpr2_vgpr3
	s_and_saveexec_b64 s[74:75], s[96:97]
	s_cbranch_execz .LBB25_595
; %bb.580:                              ;   in Loop: Header=BB25_9 Depth=1
	v_mov_b32_e32 v2, 50
	s_and_saveexec_b64 s[96:97], s[72:73]
	s_cbranch_execz .LBB25_582
; %bb.581:                              ;   in Loop: Header=BB25_9 Depth=1
	v_add_u32_e32 v2, 0x3740, v174
	ds_read_b32 v6, v2 offset:260
	v_mad_u64_u32 v[2:3], s[34:35], v239, s25, v[46:47]
	scratch_load_dword v3, off, off offset:20 ; 4-byte Folded Reload
	v_lshl_add_u32 v2, v2, 6, v48
	s_waitcnt vmcnt(0)
	ds_read_b32 v4, v3
	v_ashrrev_i32_e32 v3, 31, v2
	v_lshl_add_u64 v[2:3], v[2:3], 3, v[98:99]
	s_waitcnt lgkmcnt(0)
	v_cvt_f32_f16_sdwa v5, v4 dst_sel:DWORD dst_unused:UNUSED_PAD src0_sel:WORD_1
	v_cvt_f32_f16_e32 v4, v4
	v_pk_add_f32 v[4:5], v[4:5], 0 op_sel_hi:[1,0]
	s_nop 0
	v_div_scale_f32 v7, s[34:35], v6, v6, v5
	v_rcp_f32_e32 v8, v7
	s_nop 0
	v_fma_f32 v9, -v7, v8, 1.0
	v_fmac_f32_e32 v8, v9, v8
	v_div_scale_f32 v9, vcc, v5, v6, v5
	v_mul_f32_e32 v10, v9, v8
	v_fma_f32 v11, -v7, v10, v9
	v_fmac_f32_e32 v10, v11, v8
	v_fma_f32 v7, -v7, v10, v9
	v_div_fmas_f32 v7, v7, v8, v10
	v_div_fixup_f32 v5, v7, v6, v5
	v_div_scale_f32 v7, s[34:35], v6, v6, v4
	v_rcp_f32_e32 v8, v7
	s_nop 0
	v_fma_f32 v9, -v7, v8, 1.0
	v_fmac_f32_e32 v8, v9, v8
	v_div_scale_f32 v9, vcc, v4, v6, v4
	v_mul_f32_e32 v10, v9, v8
	v_fma_f32 v11, -v7, v10, v9
	v_fmac_f32_e32 v10, v11, v8
	v_fma_f32 v7, -v7, v10, v9
	v_div_fmas_f32 v7, v7, v8, v10
	v_div_fixup_f32 v4, v7, v6, v4
	global_store_dwordx2 v[2:3], v[4:5], off
	v_mov_b32_e32 v2, 0
.LBB25_582:                             ;   in Loop: Header=BB25_9 Depth=1
	s_or_b64 exec, exec, s[96:97]
	v_cmp_gt_i32_e32 vcc, 50, v2
	s_mov_b64 s[96:97], -1
	s_and_saveexec_b64 s[34:35], vcc
; %bb.583:                              ;   in Loop: Header=BB25_9 Depth=1
	v_cmp_eq_u32_e32 vcc, 0, v2
	s_orn2_b64 s[96:97], vcc, exec
; %bb.584:                              ;   in Loop: Header=BB25_9 Depth=1
	s_or_b64 exec, exec, s[34:35]
	s_mov_b64 s[34:35], s[6:7]
                                        ; implicit-def: $vgpr2_vgpr3
	s_and_saveexec_b64 s[72:73], s[96:97]
	s_cbranch_execz .LBB25_594
; %bb.585:                              ;   in Loop: Header=BB25_9 Depth=1
	v_mov_b32_e32 v2, 50
	s_and_saveexec_b64 s[96:97], s[70:71]
	s_cbranch_execz .LBB25_587
; %bb.586:                              ;   in Loop: Header=BB25_9 Depth=1
	v_add_u32_e32 v2, 0x3b80, v174
	ds_read_b32 v6, v2 offset:260
	v_mad_u64_u32 v[2:3], s[34:35], v238, s25, v[46:47]
	scratch_load_dword v3, off, off offset:24 ; 4-byte Folded Reload
	v_lshl_add_u32 v2, v2, 6, v48
	s_waitcnt vmcnt(0)
	ds_read_b32 v4, v3
	v_ashrrev_i32_e32 v3, 31, v2
	v_lshl_add_u64 v[2:3], v[2:3], 3, v[98:99]
	s_waitcnt lgkmcnt(0)
	v_cvt_f32_f16_sdwa v5, v4 dst_sel:DWORD dst_unused:UNUSED_PAD src0_sel:WORD_1
	v_cvt_f32_f16_e32 v4, v4
	v_pk_add_f32 v[4:5], v[4:5], 0 op_sel_hi:[1,0]
	s_nop 0
	v_div_scale_f32 v7, s[34:35], v6, v6, v5
	v_rcp_f32_e32 v8, v7
	s_nop 0
	v_fma_f32 v9, -v7, v8, 1.0
	v_fmac_f32_e32 v8, v9, v8
	v_div_scale_f32 v9, vcc, v5, v6, v5
	v_mul_f32_e32 v10, v9, v8
	v_fma_f32 v11, -v7, v10, v9
	v_fmac_f32_e32 v10, v11, v8
	v_fma_f32 v7, -v7, v10, v9
	v_div_fmas_f32 v7, v7, v8, v10
	v_div_fixup_f32 v5, v7, v6, v5
	v_div_scale_f32 v7, s[34:35], v6, v6, v4
	v_rcp_f32_e32 v8, v7
	s_nop 0
	v_fma_f32 v9, -v7, v8, 1.0
	v_fmac_f32_e32 v8, v9, v8
	v_div_scale_f32 v9, vcc, v4, v6, v4
	v_mul_f32_e32 v10, v9, v8
	v_fma_f32 v11, -v7, v10, v9
	v_fmac_f32_e32 v10, v11, v8
	v_fma_f32 v7, -v7, v10, v9
	v_div_fmas_f32 v7, v7, v8, v10
	v_div_fixup_f32 v4, v7, v6, v4
	global_store_dwordx2 v[2:3], v[4:5], off
	v_mov_b32_e32 v2, 0
.LBB25_587:                             ;   in Loop: Header=BB25_9 Depth=1
	s_or_b64 exec, exec, s[96:97]
	v_cmp_gt_i32_e32 vcc, 50, v2
	s_mov_b64 s[96:97], -1
	s_and_saveexec_b64 s[34:35], vcc
; %bb.588:                              ;   in Loop: Header=BB25_9 Depth=1
	v_cmp_eq_u32_e32 vcc, 0, v2
	s_orn2_b64 s[96:97], vcc, exec
; %bb.589:                              ;   in Loop: Header=BB25_9 Depth=1
	s_or_b64 exec, exec, s[34:35]
	s_mov_b64 s[34:35], s[6:7]
                                        ; implicit-def: $vgpr2_vgpr3
	s_and_saveexec_b64 s[70:71], s[96:97]
	s_cbranch_execz .LBB25_593
; %bb.590:                              ;   in Loop: Header=BB25_9 Depth=1
	s_mov_b64 s[34:35], s[6:7]
                                        ; implicit-def: $vgpr2_vgpr3
	s_and_saveexec_b64 s[96:97], s[4:5]
	s_cbranch_execz .LBB25_592
; %bb.591:                              ;   in Loop: Header=BB25_9 Depth=1
	v_add_u32_e32 v2, 0x3fc0, v174
	ds_read_b32 v4, v2 offset:260
	scratch_load_dword v2, off, off offset:28 ; 4-byte Folded Reload
	s_or_b64 s[34:35], s[6:7], exec
	s_waitcnt vmcnt(0)
	ds_read_b32 v2, v2
	s_waitcnt lgkmcnt(0)
	v_cvt_f32_f16_sdwa v3, v2 dst_sel:DWORD dst_unused:UNUSED_PAD src0_sel:WORD_1
	v_cvt_f32_f16_e32 v2, v2
	v_pk_add_f32 v[2:3], v[2:3], 0 op_sel_hi:[1,0]
	s_nop 0
	v_div_scale_f32 v5, s[4:5], v4, v4, v3
	v_rcp_f32_e32 v6, v5
	s_nop 0
	v_fma_f32 v7, -v5, v6, 1.0
	v_fmac_f32_e32 v6, v7, v6
	v_div_scale_f32 v7, vcc, v3, v4, v3
	v_mul_f32_e32 v8, v7, v6
	v_fma_f32 v9, -v5, v8, v7
	v_fmac_f32_e32 v8, v9, v6
	v_fma_f32 v5, -v5, v8, v7
	v_div_fmas_f32 v5, v5, v6, v8
	v_div_fixup_f32 v3, v5, v4, v3
	v_div_scale_f32 v5, s[4:5], v4, v4, v2
	v_rcp_f32_e32 v6, v5
	s_nop 0
	v_fma_f32 v7, -v5, v6, 1.0
	v_fmac_f32_e32 v6, v7, v6
	v_div_scale_f32 v7, vcc, v2, v4, v2
	v_mul_f32_e32 v8, v7, v6
	v_fma_f32 v9, -v5, v8, v7
	v_fmac_f32_e32 v8, v9, v6
	v_fma_f32 v5, -v5, v8, v7
	v_div_fmas_f32 v5, v5, v6, v8
	v_div_fixup_f32 v2, v5, v4, v2
.LBB25_592:                             ;   in Loop: Header=BB25_9 Depth=1
	s_or_b64 exec, exec, s[96:97]
	s_andn2_b64 s[4:5], s[6:7], exec
	s_and_b64 s[34:35], s[34:35], exec
	s_or_b64 s[34:35], s[4:5], s[34:35]
.LBB25_593:                             ;   in Loop: Header=BB25_9 Depth=1
	s_or_b64 exec, exec, s[70:71]
	s_andn2_b64 s[4:5], s[6:7], exec
	s_and_b64 s[34:35], s[34:35], exec
	s_or_b64 s[34:35], s[4:5], s[34:35]
.LBB25_594:                             ;   in Loop: Header=BB25_9 Depth=1
	s_or_b64 exec, exec, s[72:73]
	s_andn2_b64 s[4:5], s[6:7], exec
	s_and_b64 s[34:35], s[34:35], exec
	s_or_b64 s[34:35], s[4:5], s[34:35]
.LBB25_595:                             ;   in Loop: Header=BB25_9 Depth=1
	s_or_b64 exec, exec, s[74:75]
	s_andn2_b64 s[4:5], s[6:7], exec
	s_and_b64 s[34:35], s[34:35], exec
	s_or_b64 s[34:35], s[4:5], s[34:35]
.LBB25_596:                             ;   in Loop: Header=BB25_9 Depth=1
	s_or_b64 exec, exec, s[76:77]
	s_andn2_b64 s[4:5], s[6:7], exec
	s_and_b64 s[34:35], s[34:35], exec
	s_or_b64 s[34:35], s[4:5], s[34:35]
.LBB25_597:                             ;   in Loop: Header=BB25_9 Depth=1
	s_or_b64 exec, exec, s[78:79]
	s_andn2_b64 s[4:5], s[6:7], exec
	s_and_b64 s[34:35], s[34:35], exec
	s_or_b64 s[34:35], s[4:5], s[34:35]
.LBB25_598:                             ;   in Loop: Header=BB25_9 Depth=1
	s_or_b64 exec, exec, s[80:81]
	s_andn2_b64 s[4:5], s[6:7], exec
	s_and_b64 s[34:35], s[34:35], exec
	s_or_b64 s[34:35], s[4:5], s[34:35]
.LBB25_599:                             ;   in Loop: Header=BB25_9 Depth=1
	s_or_b64 exec, exec, s[82:83]
	s_andn2_b64 s[4:5], s[6:7], exec
	s_and_b64 s[34:35], s[34:35], exec
	s_or_b64 s[34:35], s[4:5], s[34:35]
.LBB25_600:                             ;   in Loop: Header=BB25_9 Depth=1
	s_or_b64 exec, exec, s[84:85]
	s_andn2_b64 s[4:5], s[6:7], exec
	s_and_b64 s[34:35], s[34:35], exec
	s_or_b64 s[34:35], s[4:5], s[34:35]
.LBB25_601:                             ;   in Loop: Header=BB25_9 Depth=1
	s_or_b64 exec, exec, s[86:87]
	s_andn2_b64 s[4:5], s[6:7], exec
	s_and_b64 s[34:35], s[34:35], exec
	s_or_b64 s[34:35], s[4:5], s[34:35]
.LBB25_602:                             ;   in Loop: Header=BB25_9 Depth=1
	s_or_b64 exec, exec, s[88:89]
	s_andn2_b64 s[4:5], s[6:7], exec
	s_and_b64 s[34:35], s[34:35], exec
	s_or_b64 s[34:35], s[4:5], s[34:35]
.LBB25_603:                             ;   in Loop: Header=BB25_9 Depth=1
	s_or_b64 exec, exec, s[90:91]
	s_andn2_b64 s[4:5], s[6:7], exec
	s_and_b64 s[34:35], s[34:35], exec
	s_or_b64 s[34:35], s[4:5], s[34:35]
.LBB25_604:                             ;   in Loop: Header=BB25_9 Depth=1
	s_or_b64 exec, exec, s[92:93]
	s_andn2_b64 s[4:5], s[6:7], exec
	s_and_b64 s[34:35], s[34:35], exec
	s_or_b64 s[34:35], s[4:5], s[34:35]
.LBB25_605:                             ;   in Loop: Header=BB25_9 Depth=1
	s_or_b64 exec, exec, s[94:95]
	s_andn2_b64 s[4:5], s[6:7], exec
	s_and_b64 s[34:35], s[34:35], exec
	s_or_b64 s[34:35], s[4:5], s[34:35]
.LBB25_606:                             ;   in Loop: Header=BB25_9 Depth=1
	s_or_b64 exec, exec, s[56:57]
	s_andn2_b64 s[4:5], s[6:7], exec
	s_and_b64 s[6:7], s[34:35], exec
	s_or_b64 s[6:7], s[4:5], s[6:7]
.LBB25_607:                             ;   in Loop: Header=BB25_9 Depth=1
	s_or_b64 exec, exec, s[98:99]
.LBB25_608:                             ;   in Loop: Header=BB25_9 Depth=1
	s_and_saveexec_b64 s[4:5], s[6:7]
	s_cbranch_execz .LBB25_8
; %bb.609:                              ;   in Loop: Header=BB25_9 Depth=1
	v_mad_u64_u32 v[4:5], s[6:7], v79, s25, v[46:47]
	v_lshl_add_u32 v4, v4, 6, v48
	v_ashrrev_i32_e32 v5, 31, v4
	v_lshl_add_u64 v[4:5], v[4:5], 3, v[98:99]
	global_store_dwordx2 v[4:5], v[2:3], off
	s_branch .LBB25_8
.LBB25_610:
	s_andn2_b64 vcc, exec, s[4:5]
	s_cbranch_vccnz .LBB25_819
; %bb.611:
	v_readlane_b32 s7, v255, 3
	s_abs_i32 s0, s7
	v_cvt_f32_u32_e32 v2, s0
	s_sub_i32 s4, 0, s0
	s_abs_i32 s2, s50
	s_xor_b32 s1, s50, s7
	v_rcp_iflag_f32_e32 v2, v2
	s_ashr_i32 s1, s1, 31
	v_readlane_b32 s17, v255, 2
	v_readlane_b32 s20, v255, 1
	v_mul_f32_e32 v2, 0x4f7ffffe, v2
	v_cvt_u32_f32_e32 v2, v2
	v_mov_b32_e32 v16, s58
	v_readfirstlane_b32 s5, v2
	s_mul_i32 s4, s4, s5
	s_mul_hi_u32 s4, s5, s4
	s_add_i32 s5, s5, s4
	s_mul_hi_u32 s4, s2, s5
	s_mul_i32 s5, s4, s0
	s_sub_i32 s2, s2, s5
	s_add_i32 s6, s4, 1
	s_sub_i32 s5, s2, s0
	s_cmp_ge_u32 s2, s0
	s_cselect_b32 s4, s6, s4
	s_cselect_b32 s2, s5, s2
	s_add_i32 s5, s4, 1
	s_cmp_ge_u32 s2, s0
	s_cselect_b32 s0, s5, s4
	s_abs_i32 s4, s17
	v_cvt_f32_u32_e32 v2, s4
	s_xor_b32 s0, s0, s1
	s_sub_i32 s2, s0, s1
	s_sub_i32 s5, 0, s4
	v_rcp_iflag_f32_e32 v2, v2
	s_mul_i32 s0, s2, s7
	s_sub_i32 s0, s50, s0
	s_abs_i32 s6, s0
	v_mul_f32_e32 v2, 0x4f7ffffe, v2
	v_cvt_u32_f32_e32 v2, v2
	s_xor_b32 s1, s0, s17
	s_ashr_i32 s1, s1, 31
	v_readfirstlane_b32 s7, v2
	s_mul_i32 s5, s5, s7
	s_mul_hi_u32 s5, s7, s5
	s_add_i32 s7, s7, s5
	s_mul_hi_u32 s5, s6, s7
	s_mul_i32 s7, s5, s4
	s_sub_i32 s6, s6, s7
	s_add_i32 s16, s5, 1
	s_sub_i32 s7, s6, s4
	s_cmp_ge_u32 s6, s4
	s_cselect_b32 s5, s16, s5
	s_cselect_b32 s6, s7, s6
	s_add_i32 s7, s5, 1
	s_cmp_ge_u32 s6, s4
	s_cselect_b32 s4, s7, s5
	s_abs_i32 s5, s20
	v_cvt_f32_u32_e32 v2, s5
	s_xor_b32 s4, s4, s1
	s_sub_i32 s6, 0, s5
	s_sub_i32 s16, s4, s1
	v_rcp_iflag_f32_e32 v2, v2
	s_mul_i32 s1, s16, s17
	s_sub_i32 s1, s0, s1
	s_abs_i32 s4, s1
	v_mul_f32_e32 v2, 0x4f7ffffe, v2
	v_cvt_u32_f32_e32 v2, v2
	s_xor_b32 s0, s1, s20
	s_ashr_i32 s0, s0, 31
	v_readfirstlane_b32 s7, v2
	s_mul_i32 s6, s6, s7
	s_mul_hi_u32 s6, s7, s6
	s_add_i32 s7, s7, s6
	s_mul_hi_u32 s6, s4, s7
	s_mul_i32 s7, s6, s5
	s_sub_i32 s4, s4, s7
	s_add_i32 s17, s6, 1
	s_sub_i32 s7, s4, s5
	s_cmp_ge_u32 s4, s5
	s_cselect_b32 s6, s17, s6
	s_cselect_b32 s4, s7, s4
	s_add_i32 s7, s6, 1
	s_cmp_ge_u32 s4, s5
	s_cselect_b32 s4, s7, s6
	s_xor_b32 s4, s4, s0
	s_sub_i32 s0, s4, s0
	s_mul_i32 s4, s0, s20
	s_sub_i32 s1, s1, s4
	s_ashr_i32 s4, s1, 31
	v_readlane_b32 s5, v255, 10
	s_abs_i32 s1, s1
	s_xor_b32 s4, s4, s5
	s_mul_hi_u32 s5, s1, s46
	s_mul_i32 s6, s5, s53
	s_sub_i32 s1, s1, s6
	s_add_i32 s6, s5, 1
	s_sub_i32 s7, s1, s53
	s_cmp_ge_u32 s1, s53
	s_cselect_b32 s5, s6, s5
	s_cselect_b32 s1, s7, s1
	s_add_i32 s6, s5, 1
	s_cmp_ge_u32 s1, s53
	s_cselect_b32 s1, s6, s5
	v_readlane_b32 s6, v255, 12
	s_abs_i32 s17, s6
	v_cvt_f32_u32_e32 v2, s17
	s_xor_b32 s1, s1, s4
	s_sub_i32 s1, s1, s4
	s_cmp_eq_u64 s[18:19], 0
	v_rcp_iflag_f32_e32 v2, v2
	v_readlane_b32 s7, v255, 13
	v_mul_f32_e32 v2, 0x4f7ffffe, v2
	v_cvt_u32_f32_e32 v2, v2
	s_nop 0
	v_readfirstlane_b32 s20, v2
	s_cbranch_scc1 .LBB25_613
; %bb.612:
	v_readlane_b32 s4, v255, 0
	s_mul_i32 s4, s2, s4
	s_add_i32 s4, s1, s4
	s_ashr_i32 s5, s4, 31
	s_lshl_b64 s[4:5], s[4:5], 2
	s_add_u32 s4, s18, s4
	s_addc_u32 s5, s19, s5
	v_mov_b32_e32 v2, 0
	global_load_dword v2, v2, s[4:5]
	s_waitcnt vmcnt(0)
	v_ashrrev_i32_e32 v3, 31, v2
	v_lshrrev_b32_e32 v3, 26, v3
	v_add_u32_e32 v2, v2, v3
	v_ashrrev_i32_e32 v2, 6, v2
	v_min_i32_e32 v16, s58, v2
.LBB25_613:
	s_mul_i32 s4, s16, s3
	s_lshl_b32 s5, s0, 2
	s_add_i32 s0, s5, s4
	s_mul_i32 s4, s2, s49
	s_ashr_i32 s6, s4, 31
	s_add_u32 s4, s8, s4
	s_mul_i32 s0, s0, s48
	s_addc_u32 s7, s9, s6
	s_ashr_i32 s8, s0, 31
	s_add_u32 s6, s4, s0
	s_addc_u32 s7, s7, s8
	v_and_b32_e32 v80, 0x3ff, v0
	s_lshl_b32 s8, s1, 4
	v_bfe_u32 v0, v47, 2, 8
	v_add_u32_e32 v2, s8, v0
	v_or_b32_e32 v0, s5, v46
	v_cmp_le_i32_e64 s[0:1], s24, v2
	v_cmp_le_i32_e64 s[4:5], s3, v0
	s_mov_b32 s9, 0x10001
	v_lshl_add_u32 v81, v80, 2, 0
	v_cmp_gt_i32_e32 vcc, s3, v0
	s_or_b64 s[0:1], s[0:1], s[4:5]
	s_and_saveexec_b64 s[4:5], s[0:1]
	s_xor_b64 s[0:1], exec, s[4:5]
; %bb.614:
	s_movk_i32 s3, 0x110
	v_mad_u32_u24 v0, v150, s3, v81
	v_mov_b32_e32 v2, 0
	ds_write_b32 v0, v2
                                        ; implicit-def: $vgpr2
; %bb.615:
	s_or_saveexec_b64 s[0:1], s[0:1]
	v_mul_lo_u32 v0, v1, s9
	v_readlane_b32 s21, v255, 11
	s_xor_b64 exec, exec, s[0:1]
	s_cbranch_execz .LBB25_617
; %bb.616:
	v_mul_lo_u32 v1, v2, s51
	v_mul_lo_u32 v2, v46, s21
	v_add3_u32 v2, v2, v80, v1
	v_ashrrev_i32_e32 v3, 31, v2
	v_lshl_add_u64 v[2:3], v[2:3], 3, s[6:7]
	global_load_dwordx2 v[2:3], v[2:3], off
	s_movk_i32 s3, 0x110
	s_waitcnt vmcnt(0)
	v_cvt_pk_f16_f32 v1, v2, v3
	v_pk_mul_f16 v1, v1, v0
	v_mad_u32_u24 v2, v150, s3, v81
	ds_write_b32 v2, v1
.LBB25_617:
	s_or_b64 exec, exec, s[0:1]
	v_lshrrev_b32_e32 v1, 2, v153
	v_add_u32_e32 v1, s8, v1
	v_cmp_le_i32_e64 s[0:1], s24, v1
	s_xor_b64 s[4:5], vcc, -1
	s_or_b64 s[0:1], s[0:1], s[4:5]
	s_and_saveexec_b64 s[18:19], s[0:1]
	s_xor_b64 s[0:1], exec, s[18:19]
; %bb.618:
	s_movk_i32 s3, 0x110
	v_mad_u32_u24 v1, v153, s3, v81
	v_mov_b32_e32 v2, 0
	ds_write_b32 v1, v2
                                        ; implicit-def: $vgpr1
; %bb.619:
	s_andn2_saveexec_b64 s[0:1], s[0:1]
	s_cbranch_execz .LBB25_621
; %bb.620:
	v_mul_lo_u32 v1, v1, s51
	v_mul_lo_u32 v2, v46, s21
	v_add3_u32 v2, v2, v80, v1
	v_ashrrev_i32_e32 v3, 31, v2
	v_lshl_add_u64 v[2:3], v[2:3], 3, s[6:7]
	global_load_dwordx2 v[2:3], v[2:3], off
	s_movk_i32 s3, 0x110
	s_waitcnt vmcnt(0)
	v_cvt_pk_f16_f32 v1, v2, v3
	v_pk_mul_f16 v1, v1, v0
	v_mad_u32_u24 v2, v153, s3, v81
	ds_write_b32 v2, v1
.LBB25_621:
	s_or_b64 exec, exec, s[0:1]
	v_lshrrev_b32_e32 v1, 2, v152
	v_add_u32_e32 v1, s8, v1
	v_cmp_le_i32_e32 vcc, s24, v1
	s_or_b64 s[0:1], vcc, s[4:5]
	s_and_saveexec_b64 s[18:19], s[0:1]
	s_xor_b64 s[0:1], exec, s[18:19]
; %bb.622:
	s_movk_i32 s3, 0x110
	v_mad_u32_u24 v1, v152, s3, v81
	v_mov_b32_e32 v2, 0
	ds_write_b32 v1, v2
                                        ; implicit-def: $vgpr1
; %bb.623:
	s_andn2_saveexec_b64 s[0:1], s[0:1]
	s_cbranch_execz .LBB25_625
; %bb.624:
	v_mul_lo_u32 v1, v1, s51
	v_mul_lo_u32 v2, v46, s21
	v_add3_u32 v2, v2, v80, v1
	v_ashrrev_i32_e32 v3, 31, v2
	v_lshl_add_u64 v[2:3], v[2:3], 3, s[6:7]
	global_load_dwordx2 v[2:3], v[2:3], off
	s_movk_i32 s3, 0x110
	s_waitcnt vmcnt(0)
	v_cvt_pk_f16_f32 v1, v2, v3
	v_pk_mul_f16 v1, v1, v0
	v_mad_u32_u24 v2, v152, s3, v81
	ds_write_b32 v2, v1
.LBB25_625:
	s_or_b64 exec, exec, s[0:1]
	v_lshrrev_b32_e32 v1, 2, v151
	v_add_u32_e32 v1, s8, v1
	v_cmp_le_i32_e32 vcc, s24, v1
	s_or_b64 s[0:1], vcc, s[4:5]
	s_and_saveexec_b64 s[18:19], s[0:1]
	s_xor_b64 s[0:1], exec, s[18:19]
; %bb.626:
	s_movk_i32 s3, 0x110
	v_mad_u32_u24 v1, v151, s3, v81
	v_mov_b32_e32 v2, 0
	ds_write_b32 v1, v2
                                        ; implicit-def: $vgpr1
; %bb.627:
	s_andn2_saveexec_b64 s[0:1], s[0:1]
	s_cbranch_execz .LBB25_629
; %bb.628:
	v_mul_lo_u32 v1, v1, s51
	v_mul_lo_u32 v2, v46, s21
	v_add3_u32 v2, v2, v80, v1
	v_ashrrev_i32_e32 v3, 31, v2
	v_lshl_add_u64 v[2:3], v[2:3], 3, s[6:7]
	global_load_dwordx2 v[2:3], v[2:3], off
	s_movk_i32 s3, 0x110
	s_waitcnt vmcnt(0)
	v_cvt_pk_f16_f32 v1, v2, v3
	v_pk_mul_f16 v1, v1, v0
	v_mad_u32_u24 v2, v151, s3, v81
	ds_write_b32 v2, v1
.LBB25_629:
	s_or_b64 exec, exec, s[0:1]
	v_lshrrev_b32_e32 v1, 2, v149
	v_add_u32_e32 v1, s8, v1
	v_cmp_le_i32_e32 vcc, s24, v1
	s_or_b64 s[0:1], vcc, s[4:5]
	s_and_saveexec_b64 s[18:19], s[0:1]
	s_xor_b64 s[0:1], exec, s[18:19]
; %bb.630:
	s_movk_i32 s3, 0x110
	v_mad_u32_u24 v1, v149, s3, v81
	v_mov_b32_e32 v2, 0
	ds_write_b32 v1, v2
                                        ; implicit-def: $vgpr1
; %bb.631:
	s_andn2_saveexec_b64 s[0:1], s[0:1]
	s_cbranch_execz .LBB25_633
; %bb.632:
	v_mul_lo_u32 v1, v1, s51
	v_mul_lo_u32 v2, v46, s21
	v_add3_u32 v2, v2, v80, v1
	v_ashrrev_i32_e32 v3, 31, v2
	v_lshl_add_u64 v[2:3], v[2:3], 3, s[6:7]
	global_load_dwordx2 v[2:3], v[2:3], off
	s_movk_i32 s3, 0x110
	s_waitcnt vmcnt(0)
	v_cvt_pk_f16_f32 v1, v2, v3
	v_pk_mul_f16 v1, v1, v0
	v_mad_u32_u24 v2, v149, s3, v81
	ds_write_b32 v2, v1
.LBB25_633:
	s_or_b64 exec, exec, s[0:1]
	v_lshrrev_b32_e32 v1, 2, v148
	v_add_u32_e32 v1, s8, v1
	v_cmp_le_i32_e32 vcc, s24, v1
	s_or_b64 s[0:1], vcc, s[4:5]
	s_and_saveexec_b64 s[18:19], s[0:1]
	s_xor_b64 s[0:1], exec, s[18:19]
; %bb.634:
	s_movk_i32 s3, 0x110
	v_mad_u32_u24 v1, v148, s3, v81
	v_mov_b32_e32 v2, 0
	ds_write_b32 v1, v2
                                        ; implicit-def: $vgpr1
; %bb.635:
	s_andn2_saveexec_b64 s[0:1], s[0:1]
	s_cbranch_execz .LBB25_637
; %bb.636:
	v_mul_lo_u32 v1, v1, s51
	v_mul_lo_u32 v2, v46, s21
	v_add3_u32 v2, v2, v80, v1
	v_ashrrev_i32_e32 v3, 31, v2
	v_lshl_add_u64 v[2:3], v[2:3], 3, s[6:7]
	global_load_dwordx2 v[2:3], v[2:3], off
	s_movk_i32 s3, 0x110
	s_waitcnt vmcnt(0)
	v_cvt_pk_f16_f32 v1, v2, v3
	v_pk_mul_f16 v1, v1, v0
	v_mad_u32_u24 v2, v148, s3, v81
	ds_write_b32 v2, v1
.LBB25_637:
	s_or_b64 exec, exec, s[0:1]
	v_lshrrev_b32_e32 v1, 2, v147
	v_add_u32_e32 v1, s8, v1
	v_cmp_le_i32_e32 vcc, s24, v1
	s_or_b64 s[0:1], vcc, s[4:5]
	s_and_saveexec_b64 s[18:19], s[0:1]
	s_xor_b64 s[0:1], exec, s[18:19]
; %bb.638:
	s_movk_i32 s3, 0x110
	v_mad_u32_u24 v1, v147, s3, v81
	v_mov_b32_e32 v2, 0
	ds_write_b32 v1, v2
                                        ; implicit-def: $vgpr1
; %bb.639:
	s_andn2_saveexec_b64 s[0:1], s[0:1]
	s_cbranch_execz .LBB25_641
; %bb.640:
	v_mul_lo_u32 v1, v1, s51
	v_mul_lo_u32 v2, v46, s21
	v_add3_u32 v2, v2, v80, v1
	v_ashrrev_i32_e32 v3, 31, v2
	v_lshl_add_u64 v[2:3], v[2:3], 3, s[6:7]
	global_load_dwordx2 v[2:3], v[2:3], off
	s_movk_i32 s3, 0x110
	s_waitcnt vmcnt(0)
	v_cvt_pk_f16_f32 v1, v2, v3
	v_pk_mul_f16 v1, v1, v0
	v_mad_u32_u24 v2, v147, s3, v81
	ds_write_b32 v2, v1
.LBB25_641:
	s_or_b64 exec, exec, s[0:1]
	v_lshrrev_b32_e32 v1, 2, v146
	v_add_u32_e32 v1, s8, v1
	v_cmp_le_i32_e32 vcc, s24, v1
	s_or_b64 s[0:1], vcc, s[4:5]
	s_and_saveexec_b64 s[18:19], s[0:1]
	s_xor_b64 s[0:1], exec, s[18:19]
; %bb.642:
	s_movk_i32 s3, 0x110
	v_mad_u32_u24 v1, v146, s3, v81
	v_mov_b32_e32 v2, 0
	ds_write_b32 v1, v2
                                        ; implicit-def: $vgpr1
; %bb.643:
	s_andn2_saveexec_b64 s[0:1], s[0:1]
	s_cbranch_execz .LBB25_645
; %bb.644:
	v_mul_lo_u32 v1, v1, s51
	v_mul_lo_u32 v2, v46, s21
	v_add3_u32 v2, v2, v80, v1
	v_ashrrev_i32_e32 v3, 31, v2
	v_lshl_add_u64 v[2:3], v[2:3], 3, s[6:7]
	global_load_dwordx2 v[2:3], v[2:3], off
	s_movk_i32 s3, 0x110
	s_waitcnt vmcnt(0)
	v_cvt_pk_f16_f32 v1, v2, v3
	v_pk_mul_f16 v1, v1, v0
	v_mad_u32_u24 v2, v146, s3, v81
	ds_write_b32 v2, v1
.LBB25_645:
	s_or_b64 exec, exec, s[0:1]
	v_lshrrev_b32_e32 v1, 2, v145
	v_add_u32_e32 v1, s8, v1
	v_cmp_le_i32_e32 vcc, s24, v1
	s_or_b64 s[0:1], vcc, s[4:5]
	s_and_saveexec_b64 s[18:19], s[0:1]
	s_xor_b64 s[0:1], exec, s[18:19]
; %bb.646:
	s_movk_i32 s3, 0x110
	v_mad_u32_u24 v1, v145, s3, v81
	v_mov_b32_e32 v2, 0
	ds_write_b32 v1, v2
                                        ; implicit-def: $vgpr1
; %bb.647:
	s_andn2_saveexec_b64 s[0:1], s[0:1]
	s_cbranch_execz .LBB25_649
; %bb.648:
	v_mul_lo_u32 v1, v1, s51
	v_mul_lo_u32 v2, v46, s21
	v_add3_u32 v2, v2, v80, v1
	v_ashrrev_i32_e32 v3, 31, v2
	v_lshl_add_u64 v[2:3], v[2:3], 3, s[6:7]
	global_load_dwordx2 v[2:3], v[2:3], off
	s_movk_i32 s3, 0x110
	s_waitcnt vmcnt(0)
	v_cvt_pk_f16_f32 v1, v2, v3
	v_pk_mul_f16 v1, v1, v0
	v_mad_u32_u24 v2, v145, s3, v81
	ds_write_b32 v2, v1
.LBB25_649:
	s_or_b64 exec, exec, s[0:1]
	v_lshrrev_b32_e32 v1, 2, v144
	v_add_u32_e32 v1, s8, v1
	v_cmp_le_i32_e32 vcc, s24, v1
	s_or_b64 s[0:1], vcc, s[4:5]
	s_and_saveexec_b64 s[18:19], s[0:1]
	s_xor_b64 s[0:1], exec, s[18:19]
; %bb.650:
	s_movk_i32 s3, 0x110
	v_mad_u32_u24 v1, v144, s3, v81
	v_mov_b32_e32 v2, 0
	ds_write_b32 v1, v2
                                        ; implicit-def: $vgpr1
; %bb.651:
	s_andn2_saveexec_b64 s[0:1], s[0:1]
	s_cbranch_execz .LBB25_653
; %bb.652:
	v_mul_lo_u32 v1, v1, s51
	v_mul_lo_u32 v2, v46, s21
	v_add3_u32 v2, v2, v80, v1
	v_ashrrev_i32_e32 v3, 31, v2
	v_lshl_add_u64 v[2:3], v[2:3], 3, s[6:7]
	global_load_dwordx2 v[2:3], v[2:3], off
	s_movk_i32 s3, 0x110
	s_waitcnt vmcnt(0)
	v_cvt_pk_f16_f32 v1, v2, v3
	v_pk_mul_f16 v1, v1, v0
	v_mad_u32_u24 v2, v144, s3, v81
	ds_write_b32 v2, v1
.LBB25_653:
	s_or_b64 exec, exec, s[0:1]
	v_lshrrev_b32_e32 v1, 2, v143
	v_add_u32_e32 v1, s8, v1
	v_cmp_le_i32_e32 vcc, s24, v1
	s_or_b64 s[0:1], vcc, s[4:5]
	s_and_saveexec_b64 s[18:19], s[0:1]
	s_xor_b64 s[0:1], exec, s[18:19]
; %bb.654:
	s_movk_i32 s3, 0x110
	v_mad_u32_u24 v1, v143, s3, v81
	v_mov_b32_e32 v2, 0
	ds_write_b32 v1, v2
                                        ; implicit-def: $vgpr1
; %bb.655:
	s_andn2_saveexec_b64 s[0:1], s[0:1]
	s_cbranch_execz .LBB25_657
; %bb.656:
	v_mul_lo_u32 v1, v1, s51
	v_mul_lo_u32 v2, v46, s21
	v_add3_u32 v2, v2, v80, v1
	v_ashrrev_i32_e32 v3, 31, v2
	v_lshl_add_u64 v[2:3], v[2:3], 3, s[6:7]
	global_load_dwordx2 v[2:3], v[2:3], off
	s_movk_i32 s3, 0x110
	s_waitcnt vmcnt(0)
	v_cvt_pk_f16_f32 v1, v2, v3
	v_pk_mul_f16 v1, v1, v0
	v_mad_u32_u24 v2, v143, s3, v81
	ds_write_b32 v2, v1
.LBB25_657:
	s_or_b64 exec, exec, s[0:1]
	v_lshrrev_b32_e32 v1, 2, v142
	v_add_u32_e32 v1, s8, v1
	v_cmp_le_i32_e32 vcc, s24, v1
	s_or_b64 s[0:1], vcc, s[4:5]
	s_and_saveexec_b64 s[18:19], s[0:1]
	s_xor_b64 s[0:1], exec, s[18:19]
; %bb.658:
	s_movk_i32 s3, 0x110
	v_mad_u32_u24 v1, v142, s3, v81
	v_mov_b32_e32 v2, 0
	ds_write_b32 v1, v2
                                        ; implicit-def: $vgpr1
; %bb.659:
	s_andn2_saveexec_b64 s[0:1], s[0:1]
	s_cbranch_execz .LBB25_661
; %bb.660:
	v_mul_lo_u32 v1, v1, s51
	v_mul_lo_u32 v2, v46, s21
	v_add3_u32 v2, v2, v80, v1
	v_ashrrev_i32_e32 v3, 31, v2
	v_lshl_add_u64 v[2:3], v[2:3], 3, s[6:7]
	global_load_dwordx2 v[2:3], v[2:3], off
	s_movk_i32 s3, 0x110
	s_waitcnt vmcnt(0)
	v_cvt_pk_f16_f32 v1, v2, v3
	v_pk_mul_f16 v1, v1, v0
	v_mad_u32_u24 v2, v142, s3, v81
	ds_write_b32 v2, v1
.LBB25_661:
	s_or_b64 exec, exec, s[0:1]
	v_lshrrev_b32_e32 v1, 2, v141
	v_add_u32_e32 v1, s8, v1
	v_cmp_le_i32_e32 vcc, s24, v1
	s_or_b64 s[0:1], vcc, s[4:5]
	s_and_saveexec_b64 s[18:19], s[0:1]
	s_xor_b64 s[0:1], exec, s[18:19]
; %bb.662:
	s_movk_i32 s3, 0x110
	v_mad_u32_u24 v1, v141, s3, v81
	v_mov_b32_e32 v2, 0
	ds_write_b32 v1, v2
                                        ; implicit-def: $vgpr1
; %bb.663:
	s_andn2_saveexec_b64 s[0:1], s[0:1]
	s_cbranch_execz .LBB25_665
; %bb.664:
	v_mul_lo_u32 v1, v1, s51
	v_mul_lo_u32 v2, v46, s21
	v_add3_u32 v2, v2, v80, v1
	v_ashrrev_i32_e32 v3, 31, v2
	v_lshl_add_u64 v[2:3], v[2:3], 3, s[6:7]
	global_load_dwordx2 v[2:3], v[2:3], off
	s_movk_i32 s3, 0x110
	s_waitcnt vmcnt(0)
	v_cvt_pk_f16_f32 v1, v2, v3
	v_pk_mul_f16 v1, v1, v0
	v_mad_u32_u24 v2, v141, s3, v81
	ds_write_b32 v2, v1
.LBB25_665:
	s_or_b64 exec, exec, s[0:1]
	v_lshrrev_b32_e32 v1, 2, v140
	v_add_u32_e32 v1, s8, v1
	v_cmp_le_i32_e32 vcc, s24, v1
	s_sub_i32 s3, 0, s17
	s_or_b64 s[0:1], vcc, s[4:5]
	s_and_saveexec_b64 s[18:19], s[0:1]
	s_xor_b64 s[0:1], exec, s[18:19]
; %bb.666:
	s_movk_i32 s9, 0x110
	v_mad_u32_u24 v1, v140, s9, v81
	v_mov_b32_e32 v2, 0
	ds_write_b32 v1, v2
                                        ; implicit-def: $vgpr1
; %bb.667:
	s_or_saveexec_b64 s[0:1], s[0:1]
	s_mul_i32 s3, s3, s20
	s_xor_b64 exec, exec, s[0:1]
	s_cbranch_execz .LBB25_669
; %bb.668:
	v_mul_lo_u32 v1, v1, s51
	v_mul_lo_u32 v2, v46, s21
	v_add3_u32 v2, v2, v80, v1
	v_ashrrev_i32_e32 v3, 31, v2
	v_lshl_add_u64 v[2:3], v[2:3], 3, s[6:7]
	global_load_dwordx2 v[2:3], v[2:3], off
	s_movk_i32 s9, 0x110
	s_waitcnt vmcnt(0)
	v_cvt_pk_f16_f32 v1, v2, v3
	v_pk_mul_f16 v1, v1, v0
	v_mad_u32_u24 v2, v140, s9, v81
	ds_write_b32 v2, v1
.LBB25_669:
	s_or_b64 exec, exec, s[0:1]
	v_lshrrev_b32_e32 v1, 2, v139
	v_add_u32_e32 v1, s8, v1
	v_cmp_le_i32_e32 vcc, s24, v1
	s_mul_hi_u32 s9, s20, s3
	s_or_b64 s[0:1], vcc, s[4:5]
	s_and_saveexec_b64 s[18:19], s[0:1]
	s_xor_b64 s[0:1], exec, s[18:19]
; %bb.670:
	s_movk_i32 s3, 0x110
	v_mad_u32_u24 v1, v139, s3, v81
	v_mov_b32_e32 v2, 0
	ds_write_b32 v1, v2
                                        ; implicit-def: $vgpr1
; %bb.671:
	s_or_saveexec_b64 s[0:1], s[0:1]
	s_abs_i32 s3, s2
	s_add_i32 s20, s20, s9
	s_xor_b64 exec, exec, s[0:1]
	s_cbranch_execz .LBB25_673
; %bb.672:
	v_mul_lo_u32 v1, v1, s51
	v_mul_lo_u32 v2, v46, s21
	v_add3_u32 v2, v2, v80, v1
	v_ashrrev_i32_e32 v3, 31, v2
	v_lshl_add_u64 v[2:3], v[2:3], 3, s[6:7]
	global_load_dwordx2 v[2:3], v[2:3], off
	s_movk_i32 s9, 0x110
	s_waitcnt vmcnt(0)
	v_cvt_pk_f16_f32 v1, v2, v3
	v_pk_mul_f16 v1, v1, v0
	v_mad_u32_u24 v2, v139, s9, v81
	ds_write_b32 v2, v1
.LBB25_673:
	s_or_b64 exec, exec, s[0:1]
	v_lshrrev_b32_e32 v1, 2, v138
	v_add_u32_e32 v1, s8, v1
	v_cmp_le_i32_e32 vcc, s24, v1
	s_mul_hi_u32 s9, s3, s20
	s_or_b64 s[0:1], vcc, s[4:5]
	s_and_saveexec_b64 s[4:5], s[0:1]
	s_xor_b64 s[0:1], exec, s[4:5]
; %bb.674:
	s_movk_i32 s4, 0x110
	v_mad_u32_u24 v0, v138, s4, v81
	v_mov_b32_e32 v1, 0
	ds_write_b32 v0, v1
                                        ; implicit-def: $vgpr1
                                        ; implicit-def: $vgpr46
                                        ; implicit-def: $vgpr0
; %bb.675:
	s_or_saveexec_b64 s[0:1], s[0:1]
	s_ashr_i32 s18, s2, 31
	s_xor_b64 exec, exec, s[0:1]
	s_cbranch_execz .LBB25_677
; %bb.676:
	v_mul_lo_u32 v1, v1, s51
	v_mul_lo_u32 v2, v46, s21
	v_add3_u32 v2, v2, v80, v1
	v_ashrrev_i32_e32 v3, 31, v2
	v_lshl_add_u64 v[2:3], v[2:3], 3, s[6:7]
	global_load_dwordx2 v[2:3], v[2:3], off
	s_movk_i32 s4, 0x110
	s_waitcnt vmcnt(0)
	v_cvt_pk_f16_f32 v1, v2, v3
	v_pk_mul_f16 v0, v1, v0
	v_mad_u32_u24 v1, v138, s4, v81
	ds_write_b32 v1, v0
.LBB25_677:
	s_or_b64 exec, exec, s[0:1]
	s_mul_hi_u32 s0, s28, s2
	s_mul_i32 s1, s28, s18
	s_add_i32 s0, s0, s1
	s_mul_i32 s1, s29, s2
	v_readlane_b32 s4, v255, 8
	s_add_i32 s0, s0, s1
	s_mul_i32 s1, s28, s2
	v_readlane_b32 s5, v255, 9
	s_add_u32 s1, s10, s1
	s_mul_i32 s4, s16, s5
	s_addc_u32 s0, s11, s0
	s_ashr_i32 s5, s4, 31
	s_add_u32 s4, s1, s4
	s_mul_i32 s9, s9, s17
	s_addc_u32 s5, s0, s5
	s_sub_i32 s0, s3, s9
	s_sub_i32 s1, s0, s17
	s_cmp_ge_u32 s0, s17
	s_cselect_b32 s0, s1, s0
	s_sub_i32 s1, s0, s17
	s_cmp_ge_u32 s0, s17
	s_cselect_b32 s0, s1, s0
	s_xor_b32 s0, s0, s18
	s_sub_i32 s0, s0, s18
	s_ashr_i32 s1, s0, 31
	s_mul_i32 s1, s44, s1
	s_mul_hi_u32 s3, s44, s0
	s_add_i32 s1, s3, s1
	s_mul_i32 s3, s45, s0
	s_add_i32 s1, s1, s3
	s_mul_i32 s0, s44, s0
	s_add_u32 s6, s14, s0
	s_addc_u32 s7, s15, s1
	s_mul_hi_u32 s0, s42, s2
	s_mul_i32 s1, s42, s18
	s_add_i32 s0, s0, s1
	s_mul_i32 s1, s43, s2
	s_add_i32 s0, s0, s1
	s_mul_i32 s1, s42, s2
	s_add_u32 s1, s12, s1
	s_mul_i32 s16, s16, s31
	s_addc_u32 s0, s13, s0
	s_ashr_i32 s3, s16, 31
	s_add_u32 s2, s1, s16
	v_lshrrev_b32_e32 v19, 3, v80
	s_addc_u32 s3, s0, s3
	s_movk_i32 s0, 0x1100
	v_and_b32_e32 v82, 15, v80
	v_and_b32_e32 v1, 0x7e, v19
	v_mad_u32_u24 v0, v150, s0, 0
	v_mul_u32_u24_e32 v94, 0x110, v82
	v_lshlrev_b32_e32 v83, 2, v1
	v_add3_u32 v0, v0, v94, v83
	s_waitcnt lgkmcnt(0)
	s_barrier
	ds_read2_b64 v[12:15], v0 offset1:4
	ds_read2_b64 v[8:11], v0 offset0:8 offset1:12
	ds_read2_b64 v[4:7], v0 offset0:16 offset1:20
	;; [unrolled: 1-line block ×3, first 2 shown]
	v_add_u32_e32 v102, -1, v16
	v_lshrrev_b32_e32 v16, 5, v80
	v_cmp_lt_i32_e32 vcc, s34, v102
	v_lshl_add_u32 v18, v150, 1, v16
	v_lshlrev_b32_e32 v16, 1, v80
	s_movk_i32 s0, 0x110
	v_and_b32_e32 v20, 62, v16
	v_mov_b32_e32 v74, 0
	s_waitcnt lgkmcnt(0)
	s_barrier
	s_cbranch_vccnz .LBB25_681
; %bb.678:
	v_add_u32_e32 v16, s8, v18
	v_mul_hi_u32 v17, s38, v16
	v_add_u32_e32 v17, v16, v17
	v_lshrrev_b32_e32 v17, s39, v17
	v_mul_lo_u32 v17, v17, s24
	v_sub_u32_e32 v17, v16, v17
	v_add_u32_e32 v16, 8, v16
	v_mad_i64_i32 v[44:45], s[10:11], v17, s40, 0
	v_mul_hi_u32 v17, s38, v16
	v_add_u32_e32 v17, v16, v17
	v_lshrrev_b32_e32 v17, s39, v17
	v_mul_lo_u32 v17, v17, s24
	v_sub_u32_e32 v16, v16, v17
	v_mad_i64_i32 v[48:49], s[10:11], v16, s40, 0
	v_lshrrev_b32_e32 v16, 4, v80
	s_movk_i32 s1, 0x90
	v_mov_b32_e32 v17, 0x480
	v_lshl_add_u32 v86, v150, 2, v16
	v_mad_u32_u24 v97, v18, s1, v17
	v_lshlrev_b32_e32 v16, 2, v80
	v_mul_lo_u32 v50, s36, v86
	s_lshl_b32 s1, s36, 4
	v_and_b32_e32 v46, 60, v16
	v_mov_b32_e32 v16, 0x1100
	v_add_u32_e32 v52, s1, v50
	v_mad_u32_u24 v99, v86, s0, v16
	v_mov_b32_e32 v16, 0x2200
	v_add_u32_e32 v54, s1, v52
	s_ashr_i32 s37, s36, 31
	v_mad_u32_u24 v100, v86, s0, v16
	v_mov_b32_e32 v16, 0x3300
	v_add_u32_e32 v56, s1, v54
	v_mul_u32_u24_e32 v96, 0x90, v18
	v_mul_u32_u24_e32 v98, 0x110, v86
	v_mov_b32_e32 v47, 0
	v_ashrrev_i32_e32 v51, 31, v50
	v_add_u32_e32 v87, 16, v86
	v_ashrrev_i32_e32 v53, 31, v52
	v_add_u32_e32 v88, 32, v86
	;; [unrolled: 2-line block ×3, first 2 shown]
	v_mad_u32_u24 v101, v86, s0, v16
	v_ashrrev_i32_e32 v57, 31, v56
	s_mov_b64 s[0:1], 0
	v_mov_b64_e32 v[16:17], s[36:37]
	s_branch .LBB25_682
.LBB25_679:
                                        ; implicit-def: $sgpr50_sgpr51
	s_load_dwordx2 s[48:49], s[0:1], 0x74
	s_waitcnt lgkmcnt(0)
	v_cvt_f32_u32_e32 v1, s26
	s_branch .LBB25_2
.LBB25_680:
                                        ; implicit-def: $sgpr54_sgpr55
	s_load_dwordx2 s[38:39], s[0:1], 0x5c
	s_branch .LBB25_5
.LBB25_681:
	s_mov_b64 s[0:1], -1
                                        ; implicit-def: $vgpr96
                                        ; implicit-def: $vgpr44_vgpr45
                                        ; implicit-def: $vgpr97
                                        ; implicit-def: $vgpr48_vgpr49
                                        ; implicit-def: $vgpr16_vgpr17
                                        ; implicit-def: $vgpr86
                                        ; implicit-def: $vgpr98
                                        ; implicit-def: $vgpr46
                                        ; implicit-def: $vgpr50_vgpr51
                                        ; implicit-def: $vgpr87
                                        ; implicit-def: $vgpr99
                                        ; implicit-def: $vgpr52_vgpr53
                                        ; implicit-def: $vgpr88
                                        ; implicit-def: $vgpr100
                                        ; implicit-def: $vgpr54_vgpr55
                                        ; implicit-def: $vgpr89
                                        ; implicit-def: $vgpr101
                                        ; implicit-def: $vgpr56_vgpr57
.LBB25_682:
	s_andn2_b64 vcc, exec, s[0:1]
	v_lshlrev_b32_e32 v58, 1, v20
	v_lshrrev_b32_e32 v85, 2, v80
	v_lshl_or_b32 v92, v19, 2, 4
	v_lshlrev_b32_e32 v84, 1, v82
	s_cbranch_vccnz .LBB25_750
; %bb.683:
	v_add_u32_e32 v17, s8, v18
	v_mul_hi_u32 v19, s38, v17
	v_add_u32_e32 v19, v17, v19
	v_lshrrev_b32_e32 v19, s39, v19
	v_mul_lo_u32 v19, v19, s24
	v_sub_u32_e32 v19, v17, v19
	v_add_u32_e32 v17, 8, v17
	v_mad_i64_i32 v[44:45], s[0:1], v19, s40, 0
	v_mul_hi_u32 v19, s38, v17
	v_add_u32_e32 v19, v17, v19
	v_lshrrev_b32_e32 v19, s39, v19
	v_mul_lo_u32 v19, v19, s24
	v_sub_u32_e32 v17, v17, v19
	v_mad_i64_i32 v[48:49], s[0:1], v17, s40, 0
	v_lshrrev_b32_e32 v17, 4, v80
	v_lshl_add_u32 v86, v150, 2, v17
	v_lshlrev_b32_e32 v17, 2, v80
	v_mbcnt_hi_u32_b32 v21, -1, v155
	v_mov_b32_e32 v61, 0
	v_and_b32_e32 v46, 60, v17
	v_and_b32_e32 v22, 64, v21
	v_mov_b32_e32 v59, v61
	v_mul_u32_u24_e32 v98, 0x110, v86
	v_lshlrev_b32_e32 v17, 2, v46
	v_add_u32_e32 v22, 64, v22
	v_xor_b32_e32 v23, 32, v21
	v_lshl_add_u64 v[62:63], s[6:7], 0, v[58:59]
	s_movk_i32 s8, 0x90
	v_mov_b32_e32 v19, 0x480
	s_movk_i32 s0, 0x110
	v_add3_u32 v59, 0, v98, v17
	v_mov_b32_e32 v17, 0x1100
	v_cmp_lt_i32_e32 vcc, v23, v22
	v_mul_u32_u24_e32 v96, 0x90, v18
	v_mad_u32_u24 v97, v18, s8, v19
	v_mad_u32_u24 v99, v86, s0, v17
	v_mov_b32_e32 v17, 0x2200
	v_and_b32_e32 v18, 12, v80
	v_cndmask_b32_e32 v23, v21, v23, vcc
	v_mad_u32_u24 v100, v86, s0, v17
	v_mov_b32_e32 v17, 0x3300
	v_lshl_or_b32 v18, v150, 4, v18
	v_lshlrev_b32_e32 v111, 2, v23
	v_xor_b32_e32 v23, 16, v21
	v_mul_lo_u32 v50, s36, v86
	s_lshl_b32 s1, s36, 4
	v_mad_u32_u24 v101, v86, s0, v17
	v_lshrrev_b32_e32 v18, 2, v18
	v_cmp_lt_i32_e32 vcc, v23, v22
	v_mul_lo_u32 v64, s26, v86
	s_lshl_b32 s0, s26, 4
	v_add_u32_e32 v52, s1, v50
	v_and_b32_e32 v17, 0xfc, v85
	v_mad_u32_u24 v18, v18, s8, 0
	v_cndmask_b32_e32 v21, v21, v23, vcc
	v_add_u32_e32 v66, s0, v64
	v_add_u32_e32 v54, s1, v52
	v_lshl_add_u32 v109, v17, 1, v18
	v_lshlrev_b32_e32 v112, 2, v21
	v_add_u32_e32 v68, s0, v66
	v_or_b32_e32 v21, 3, v85
	v_add_u32_e32 v16, 0, v58
	v_add_u32_e32 v56, s1, v54
	;; [unrolled: 1-line block ×7, first 2 shown]
	v_mul_u32_u24_e32 v17, 0x110, v17
	v_mul_u32_u24_e32 v21, 0x110, v21
	v_readlane_b32 s24, v255, 4
	s_ashr_i32 s37, s36, 31
	v_mov_b32_e32 v47, v61
	v_ashrrev_i32_e32 v51, 31, v50
	v_add_u32_e32 v87, 16, v86
	v_add_u32_e32 v105, 0x1100, v59
	v_ashrrev_i32_e32 v53, 31, v52
	v_add_u32_e32 v88, 32, v86
	v_add_u32_e32 v106, 0x2200, v59
	;; [unrolled: 3-line block ×3, first 2 shown]
	v_ashrrev_i32_e32 v57, 31, v56
	v_add3_u32 v108, 0, v94, v83
	v_ashrrev_i32_e32 v65, 31, v64
	v_ashrrev_i32_e32 v67, 31, v66
	;; [unrolled: 1-line block ×4, first 2 shown]
	v_add3_u32 v113, 0, v17, v84
	v_add3_u32 v114, 0, v21, v84
	s_lshl_b32 s8, s34, 6
	v_mov_b32_e32 v32, 0xfeffffff
	v_add_u32_e32 v115, v16, v96
	v_lshlrev_b32_e32 v60, 2, v46
	s_mov_b32 s10, 0x3f200000
	s_mov_b32 s11, 0x3fb8aa3b
	;; [unrolled: 1-line block ×4, first 2 shown]
	v_mov_b32_e32 v116, 0x3ca908c9
	s_brev_b32 s14, -2
	v_add_u32_e32 v117, 0x4400, v18
	v_add_u32_e32 v118, 0x4400, v19
	;; [unrolled: 1-line block ×3, first 2 shown]
	s_mov_b32 s15, 0xc1a00000
	s_mov_b32 s16, 0x5040100
	v_mov_b32_e32 v120, 0x7f800000
	v_mov_b32_e32 v121, v61
	v_mov_b32_e32 v91, v61
	v_mov_b32_e32 v90, v61
	v_mov_b32_e32 v41, v61
	v_mov_b32_e32 v40, v61
	v_mov_b32_e32 v42, v61
	v_mov_b32_e32 v38, v61
	v_mov_b32_e32 v39, v61
	v_mov_b32_e32 v33, v61
	v_mov_b32_e32 v95, v61
	v_mov_b32_e32 v43, v61
	v_mov_b32_e32 v104, v61
	v_mov_b32_e32 v103, v61
	v_mov_b32_e32 v34, v61
	v_mov_b32_e32 v36, v61
	v_mov_b32_e32 v37, v61
	v_mov_b32_e32 v35, v61
	v_readlane_b32 s17, v255, 6
	v_readlane_b32 s25, v255, 5
	;; [unrolled: 1-line block ×3, first 2 shown]
                                        ; implicit-def: $vgpr16
                                        ; implicit-def: $vgpr16
	;; [unrolled: 1-line block ×3, first 2 shown]
.LBB25_684:                             ; =>This Inner Loop Header: Depth=1
	s_mul_hi_i32 s1, s8, s36
	s_mul_i32 s0, s8, s36
	s_ashr_i32 s9, s8, 31
	s_lshl_b64 s[0:1], s[0:1], 2
	v_lshl_add_u64 v[16:17], s[8:9], 1, v[62:63]
	s_add_u32 s0, s4, s0
	v_lshl_add_u64 v[18:19], v[44:45], 1, v[16:17]
	s_addc_u32 s1, s5, s1
	v_lshl_add_u64 v[16:17], v[48:49], 1, v[16:17]
	global_load_dword v72, v[18:19], off
	global_load_dword v73, v[16:17], off
	v_lshl_add_u64 v[18:19], v[52:53], 2, s[0:1]
	v_lshl_add_u64 v[20:21], v[18:19], 0, v[60:61]
	;; [unrolled: 1-line block ×8, first 2 shown]
	global_load_dwordx4 v[16:19], v[16:17], off
	s_nop 0
	global_load_dwordx4 v[20:23], v[20:21], off
	s_nop 0
	;; [unrolled: 2-line block ×3, first 2 shown]
	global_load_dwordx4 v[28:31], v[28:29], off
	v_add_u32_e32 v93, 0x1000, v108
	v_add_u32_e32 v130, 0x2000, v108
	;; [unrolled: 1-line block ×3, first 2 shown]
	s_waitcnt vmcnt(5)
	ds_write_b32 v115, v72 offset:17408
	s_waitcnt vmcnt(4)
	ds_write_b32 v115, v73 offset:18560
	s_waitcnt vmcnt(3)
	ds_write_b128 v59, v[16:19]
	s_waitcnt vmcnt(2)
	ds_write_b128 v105, v[20:23]
	s_waitcnt vmcnt(1)
	ds_write_b128 v106, v[24:27]
	s_waitcnt vmcnt(0)
	ds_write_b128 v107, v[28:31]
	s_waitcnt lgkmcnt(0)
	s_barrier
	ds_read2_b64 v[16:19], v108 offset1:4
	ds_read2_b64 v[24:27], v93 offset0:32 offset1:36
	ds_read2_b64 v[72:75], v130 offset0:64 offset1:68
	;; [unrolled: 1-line block ×3, first 2 shown]
	s_waitcnt lgkmcnt(3)
	v_mfma_f32_16x16x16_f16 v[20:23], v[16:17], v[12:13], 0
	s_waitcnt lgkmcnt(2)
	v_mfma_f32_16x16x16_f16 v[28:31], v[24:25], v[12:13], 0
	;; [unrolled: 2-line block ×4, first 2 shown]
	v_mfma_f32_16x16x16_f16 v[16:19], v[18:19], v[14:15], v[20:23]
	v_mfma_f32_16x16x16_f16 v[20:23], v[26:27], v[14:15], v[28:31]
	;; [unrolled: 1-line block ×3, first 2 shown]
	ds_read2_b64 v[72:75], v108 offset0:8 offset1:12
	v_mfma_f32_16x16x16_f16 v[28:31], v[124:125], v[14:15], v[126:129]
	s_nop 0
	ds_read2_b64 v[76:79], v93 offset0:40 offset1:44
	ds_read2_b64 v[122:125], v130 offset0:72 offset1:76
	;; [unrolled: 1-line block ×3, first 2 shown]
	s_waitcnt lgkmcnt(3)
	v_mfma_f32_16x16x16_f16 v[16:19], v[72:73], v[8:9], v[16:19]
	s_waitcnt lgkmcnt(2)
	v_mfma_f32_16x16x16_f16 v[20:23], v[76:77], v[8:9], v[20:23]
	;; [unrolled: 2-line block ×3, first 2 shown]
	v_mfma_f32_16x16x16_f16 v[16:19], v[74:75], v[10:11], v[16:19]
	ds_read2_b64 v[72:75], v108 offset0:16 offset1:20
	v_mfma_f32_16x16x16_f16 v[20:23], v[78:79], v[10:11], v[20:23]
	ds_read2_b64 v[76:79], v93 offset0:48 offset1:52
	;; [unrolled: 2-line block ×3, first 2 shown]
	ds_read2_b64 v[134:137], v134 offset0:120 offset1:124
	v_mfma_f32_16x16x16_f16 v[24:27], v[122:123], v[8:9], v[24:27]
	v_mfma_f32_16x16x16_f16 v[24:27], v[124:125], v[10:11], v[24:27]
	ds_read2_b64 v[122:125], v130 offset0:80 offset1:84
	s_waitcnt lgkmcnt(4)
	v_mfma_f32_16x16x16_f16 v[16:19], v[72:73], v[4:5], v[16:19]
	s_waitcnt lgkmcnt(3)
	v_mfma_f32_16x16x16_f16 v[20:23], v[76:77], v[4:5], v[20:23]
	;; [unrolled: 2-line block ×3, first 2 shown]
	v_mfma_f32_16x16x16_f16 v[16:19], v[74:75], v[6:7], v[16:19]
	ds_read2_b64 v[72:75], v108 offset0:24 offset1:28
	v_mfma_f32_16x16x16_f16 v[20:23], v[78:79], v[6:7], v[20:23]
	ds_read2_b64 v[76:79], v93 offset0:56 offset1:60
	;; [unrolled: 2-line block ×3, first 2 shown]
	s_waitcnt lgkmcnt(0)
	s_barrier
	v_mfma_f32_16x16x16_f16 v[24:27], v[122:123], v[4:5], v[24:27]
	v_mfma_f32_16x16x16_f16 v[24:27], v[124:125], v[6:7], v[24:27]
	;; [unrolled: 1-line block ×3, first 2 shown]
                                        ; implicit-def: $vgpr72
	v_mfma_f32_16x16x16_f16 v[122:125], v[76:77], v[0:1], v[20:23]
	v_mfma_f32_16x16x16_f16 v[130:133], v[126:127], v[0:1], v[24:27]
	;; [unrolled: 1-line block ×6, first 2 shown]
	s_nop 5
	v_cmp_nlt_f32_e64 s[0:1], |v20|, s10
	v_mfma_f32_16x16x16_f16 v[16:19], v[136:137], v[2:3], v[156:159]
	s_and_saveexec_b64 s[18:19], s[0:1]
	s_xor_b64 s[0:1], exec, s[18:19]
	s_cbranch_execz .LBB25_686
; %bb.685:                              ;   in Loop: Header=BB25_684 Depth=1
	v_add_f32_e64 v72, |v20|, |v20|
	v_mul_f32_e32 v73, 0x3fb8aa3b, v72
	v_rndne_f32_e32 v74, v73
	v_sub_f32_e32 v75, v73, v74
	v_fma_f32 v73, v72, s11, -v73
	v_fmac_f32_e32 v73, 0x32a5705f, v72
	v_add_f32_e32 v73, v75, v73
	v_cvt_i32_f32_e32 v74, v74
	v_exp_f32_e32 v73, v73
	v_cmp_ngt_f32_e32 vcc, s12, v72
	v_ldexp_f32 v73, v73, v74
	s_nop 0
	v_cndmask_b32_e32 v73, 0, v73, vcc
	v_cmp_nlt_f32_e32 vcc, s13, v72
	s_nop 1
	v_cndmask_b32_e32 v72, v120, v73, vcc
	v_add_f32_e32 v72, 1.0, v72
	v_rcp_f32_e32 v72, v72
	s_nop 0
	v_fma_f32 v72, v72, -2.0, 1.0
.LBB25_686:                             ;   in Loop: Header=BB25_684 Depth=1
	s_andn2_saveexec_b64 s[0:1], s[0:1]
; %bb.687:                              ;   in Loop: Header=BB25_684 Depth=1
	v_mul_f32_e32 v72, v20, v20
	v_fmamk_f32 v73, v72, 0xbbbac73d, v116
	v_fmaak_f32 v73, v72, v73, 0xbd5c1c4e
	v_fmaak_f32 v73, v72, v73, 0x3e088382
	;; [unrolled: 1-line block ×3, first 2 shown]
	v_mul_f32_e64 v73, |v20|, v73
	v_fma_f32 v72, v72, v73, |v20|
; %bb.688:                              ;   in Loop: Header=BB25_684 Depth=1
	s_or_b64 exec, exec, s[0:1]
	v_cmp_nlt_f32_e64 s[0:1], |v21|, s10
                                        ; implicit-def: $vgpr73
	s_and_saveexec_b64 s[18:19], s[0:1]
	s_xor_b64 s[0:1], exec, s[18:19]
	s_cbranch_execz .LBB25_690
; %bb.689:                              ;   in Loop: Header=BB25_684 Depth=1
	v_add_f32_e64 v73, |v21|, |v21|
	v_mul_f32_e32 v74, 0x3fb8aa3b, v73
	v_rndne_f32_e32 v75, v74
	v_sub_f32_e32 v76, v74, v75
	v_fma_f32 v74, v73, s11, -v74
	v_fmac_f32_e32 v74, 0x32a5705f, v73
	v_add_f32_e32 v74, v76, v74
	v_cvt_i32_f32_e32 v75, v75
	v_exp_f32_e32 v74, v74
	v_cmp_ngt_f32_e32 vcc, s12, v73
	v_ldexp_f32 v74, v74, v75
	s_nop 0
	v_cndmask_b32_e32 v74, 0, v74, vcc
	v_cmp_nlt_f32_e32 vcc, s13, v73
	s_nop 1
	v_cndmask_b32_e32 v73, v120, v74, vcc
	v_add_f32_e32 v73, 1.0, v73
	v_rcp_f32_e32 v73, v73
	s_nop 0
	v_fma_f32 v73, v73, -2.0, 1.0
.LBB25_690:                             ;   in Loop: Header=BB25_684 Depth=1
	s_andn2_saveexec_b64 s[0:1], s[0:1]
; %bb.691:                              ;   in Loop: Header=BB25_684 Depth=1
	v_mul_f32_e32 v73, v21, v21
	v_fmamk_f32 v74, v73, 0xbbbac73d, v116
	v_fmaak_f32 v74, v73, v74, 0xbd5c1c4e
	v_fmaak_f32 v74, v73, v74, 0x3e088382
	v_fmaak_f32 v74, v73, v74, 0xbeaaaa99
	v_mul_f32_e64 v74, |v21|, v74
	v_fma_f32 v73, v73, v74, |v21|
; %bb.692:                              ;   in Loop: Header=BB25_684 Depth=1
	s_or_b64 exec, exec, s[0:1]
	v_cmp_nlt_f32_e64 s[0:1], |v22|, s10
                                        ; implicit-def: $vgpr74
	s_and_saveexec_b64 s[18:19], s[0:1]
	s_xor_b64 s[0:1], exec, s[18:19]
	s_cbranch_execz .LBB25_694
; %bb.693:                              ;   in Loop: Header=BB25_684 Depth=1
	v_add_f32_e64 v74, |v22|, |v22|
	v_mul_f32_e32 v75, 0x3fb8aa3b, v74
	v_rndne_f32_e32 v76, v75
	v_sub_f32_e32 v77, v75, v76
	v_fma_f32 v75, v74, s11, -v75
	v_fmac_f32_e32 v75, 0x32a5705f, v74
	v_add_f32_e32 v75, v77, v75
	v_cvt_i32_f32_e32 v76, v76
	v_exp_f32_e32 v75, v75
	v_cmp_ngt_f32_e32 vcc, s12, v74
	v_ldexp_f32 v75, v75, v76
	s_nop 0
	v_cndmask_b32_e32 v75, 0, v75, vcc
	v_cmp_nlt_f32_e32 vcc, s13, v74
	s_nop 1
	v_cndmask_b32_e32 v74, v120, v75, vcc
	v_add_f32_e32 v74, 1.0, v74
	v_rcp_f32_e32 v74, v74
	s_nop 0
	v_fma_f32 v74, v74, -2.0, 1.0
.LBB25_694:                             ;   in Loop: Header=BB25_684 Depth=1
	s_andn2_saveexec_b64 s[0:1], s[0:1]
; %bb.695:                              ;   in Loop: Header=BB25_684 Depth=1
	v_mul_f32_e32 v74, v22, v22
	v_fmamk_f32 v75, v74, 0xbbbac73d, v116
	v_fmaak_f32 v75, v74, v75, 0xbd5c1c4e
	v_fmaak_f32 v75, v74, v75, 0x3e088382
	;; [unrolled: 1-line block ×3, first 2 shown]
	v_mul_f32_e64 v75, |v22|, v75
	v_fma_f32 v74, v74, v75, |v22|
; %bb.696:                              ;   in Loop: Header=BB25_684 Depth=1
	s_or_b64 exec, exec, s[0:1]
	v_cmp_nlt_f32_e64 s[0:1], |v23|, s10
                                        ; implicit-def: $vgpr75
	s_and_saveexec_b64 s[18:19], s[0:1]
	s_xor_b64 s[0:1], exec, s[18:19]
	s_cbranch_execz .LBB25_698
; %bb.697:                              ;   in Loop: Header=BB25_684 Depth=1
	v_add_f32_e64 v75, |v23|, |v23|
	v_mul_f32_e32 v76, 0x3fb8aa3b, v75
	v_rndne_f32_e32 v77, v76
	v_sub_f32_e32 v78, v76, v77
	v_fma_f32 v76, v75, s11, -v76
	v_fmac_f32_e32 v76, 0x32a5705f, v75
	v_add_f32_e32 v76, v78, v76
	v_cvt_i32_f32_e32 v77, v77
	v_exp_f32_e32 v76, v76
	v_cmp_ngt_f32_e32 vcc, s12, v75
	v_ldexp_f32 v76, v76, v77
	s_nop 0
	v_cndmask_b32_e32 v76, 0, v76, vcc
	v_cmp_nlt_f32_e32 vcc, s13, v75
	s_nop 1
	v_cndmask_b32_e32 v75, v120, v76, vcc
	v_add_f32_e32 v75, 1.0, v75
	v_rcp_f32_e32 v75, v75
	s_nop 0
	v_fma_f32 v75, v75, -2.0, 1.0
.LBB25_698:                             ;   in Loop: Header=BB25_684 Depth=1
	s_andn2_saveexec_b64 s[0:1], s[0:1]
; %bb.699:                              ;   in Loop: Header=BB25_684 Depth=1
	v_mul_f32_e32 v75, v23, v23
	v_fmamk_f32 v76, v75, 0xbbbac73d, v116
	v_fmaak_f32 v76, v75, v76, 0xbd5c1c4e
	v_fmaak_f32 v76, v75, v76, 0x3e088382
	;; [unrolled: 1-line block ×3, first 2 shown]
	v_mul_f32_e64 v76, |v23|, v76
	v_fma_f32 v75, v75, v76, |v23|
; %bb.700:                              ;   in Loop: Header=BB25_684 Depth=1
	s_or_b64 exec, exec, s[0:1]
	v_cmp_nlt_f32_e64 s[0:1], |v24|, s10
                                        ; implicit-def: $vgpr76
	s_and_saveexec_b64 s[18:19], s[0:1]
	s_xor_b64 s[0:1], exec, s[18:19]
	s_cbranch_execz .LBB25_702
; %bb.701:                              ;   in Loop: Header=BB25_684 Depth=1
	v_add_f32_e64 v76, |v24|, |v24|
	v_mul_f32_e32 v77, 0x3fb8aa3b, v76
	v_rndne_f32_e32 v78, v77
	v_sub_f32_e32 v79, v77, v78
	v_fma_f32 v77, v76, s11, -v77
	v_fmac_f32_e32 v77, 0x32a5705f, v76
	v_add_f32_e32 v77, v79, v77
	v_cvt_i32_f32_e32 v78, v78
	v_exp_f32_e32 v77, v77
	v_cmp_ngt_f32_e32 vcc, s12, v76
	v_ldexp_f32 v77, v77, v78
	s_nop 0
	v_cndmask_b32_e32 v77, 0, v77, vcc
	v_cmp_nlt_f32_e32 vcc, s13, v76
	s_nop 1
	v_cndmask_b32_e32 v76, v120, v77, vcc
	v_add_f32_e32 v76, 1.0, v76
	v_rcp_f32_e32 v76, v76
	s_nop 0
	v_fma_f32 v76, v76, -2.0, 1.0
.LBB25_702:                             ;   in Loop: Header=BB25_684 Depth=1
	s_andn2_saveexec_b64 s[0:1], s[0:1]
; %bb.703:                              ;   in Loop: Header=BB25_684 Depth=1
	v_mul_f32_e32 v76, v24, v24
	v_fmamk_f32 v77, v76, 0xbbbac73d, v116
	v_fmaak_f32 v77, v76, v77, 0xbd5c1c4e
	v_fmaak_f32 v77, v76, v77, 0x3e088382
	;; [unrolled: 1-line block ×3, first 2 shown]
	v_mul_f32_e64 v77, |v24|, v77
	v_fma_f32 v76, v76, v77, |v24|
; %bb.704:                              ;   in Loop: Header=BB25_684 Depth=1
	s_or_b64 exec, exec, s[0:1]
	v_cmp_nlt_f32_e64 s[0:1], |v25|, s10
                                        ; implicit-def: $vgpr77
	s_and_saveexec_b64 s[18:19], s[0:1]
	s_xor_b64 s[0:1], exec, s[18:19]
	s_cbranch_execz .LBB25_706
; %bb.705:                              ;   in Loop: Header=BB25_684 Depth=1
	v_add_f32_e64 v77, |v25|, |v25|
	v_mul_f32_e32 v78, 0x3fb8aa3b, v77
	v_rndne_f32_e32 v79, v78
	v_sub_f32_e32 v93, v78, v79
	v_fma_f32 v78, v77, s11, -v78
	v_fmac_f32_e32 v78, 0x32a5705f, v77
	v_add_f32_e32 v78, v93, v78
	v_cvt_i32_f32_e32 v79, v79
	v_exp_f32_e32 v78, v78
	v_cmp_ngt_f32_e32 vcc, s12, v77
	v_ldexp_f32 v78, v78, v79
	s_nop 0
	v_cndmask_b32_e32 v78, 0, v78, vcc
	v_cmp_nlt_f32_e32 vcc, s13, v77
	s_nop 1
	v_cndmask_b32_e32 v77, v120, v78, vcc
	v_add_f32_e32 v77, 1.0, v77
	v_rcp_f32_e32 v77, v77
	s_nop 0
	v_fma_f32 v77, v77, -2.0, 1.0
.LBB25_706:                             ;   in Loop: Header=BB25_684 Depth=1
	s_andn2_saveexec_b64 s[0:1], s[0:1]
; %bb.707:                              ;   in Loop: Header=BB25_684 Depth=1
	v_mul_f32_e32 v77, v25, v25
	v_fmamk_f32 v78, v77, 0xbbbac73d, v116
	v_fmaak_f32 v78, v77, v78, 0xbd5c1c4e
	v_fmaak_f32 v78, v77, v78, 0x3e088382
	;; [unrolled: 1-line block ×3, first 2 shown]
	v_mul_f32_e64 v78, |v25|, v78
	v_fma_f32 v77, v77, v78, |v25|
; %bb.708:                              ;   in Loop: Header=BB25_684 Depth=1
	s_or_b64 exec, exec, s[0:1]
	v_cmp_nlt_f32_e64 s[0:1], |v26|, s10
                                        ; implicit-def: $vgpr78
	s_and_saveexec_b64 s[18:19], s[0:1]
	s_xor_b64 s[0:1], exec, s[18:19]
	s_cbranch_execz .LBB25_710
; %bb.709:                              ;   in Loop: Header=BB25_684 Depth=1
	v_add_f32_e64 v78, |v26|, |v26|
	v_mul_f32_e32 v79, 0x3fb8aa3b, v78
	v_rndne_f32_e32 v93, v79
	v_sub_f32_e32 v122, v79, v93
	v_fma_f32 v79, v78, s11, -v79
	v_fmac_f32_e32 v79, 0x32a5705f, v78
	v_add_f32_e32 v79, v122, v79
	v_cvt_i32_f32_e32 v93, v93
	v_exp_f32_e32 v79, v79
	v_cmp_ngt_f32_e32 vcc, s12, v78
	v_ldexp_f32 v79, v79, v93
	s_nop 0
	v_cndmask_b32_e32 v79, 0, v79, vcc
	v_cmp_nlt_f32_e32 vcc, s13, v78
	s_nop 1
	v_cndmask_b32_e32 v78, v120, v79, vcc
	v_add_f32_e32 v78, 1.0, v78
	v_rcp_f32_e32 v78, v78
	s_nop 0
	v_fma_f32 v78, v78, -2.0, 1.0
.LBB25_710:                             ;   in Loop: Header=BB25_684 Depth=1
	s_andn2_saveexec_b64 s[0:1], s[0:1]
; %bb.711:                              ;   in Loop: Header=BB25_684 Depth=1
	v_mul_f32_e32 v78, v26, v26
	v_fmamk_f32 v79, v78, 0xbbbac73d, v116
	v_fmaak_f32 v79, v78, v79, 0xbd5c1c4e
	v_fmaak_f32 v79, v78, v79, 0x3e088382
	;; [unrolled: 1-line block ×3, first 2 shown]
	v_mul_f32_e64 v79, |v26|, v79
	v_fma_f32 v78, v78, v79, |v26|
; %bb.712:                              ;   in Loop: Header=BB25_684 Depth=1
	s_or_b64 exec, exec, s[0:1]
	v_cmp_nlt_f32_e64 s[0:1], |v27|, s10
                                        ; implicit-def: $vgpr79
	s_and_saveexec_b64 s[18:19], s[0:1]
	s_xor_b64 s[0:1], exec, s[18:19]
	s_cbranch_execz .LBB25_714
; %bb.713:                              ;   in Loop: Header=BB25_684 Depth=1
	v_add_f32_e64 v79, |v27|, |v27|
	v_mul_f32_e32 v93, 0x3fb8aa3b, v79
	v_rndne_f32_e32 v122, v93
	v_sub_f32_e32 v123, v93, v122
	v_fma_f32 v93, v79, s11, -v93
	v_fmac_f32_e32 v93, 0x32a5705f, v79
	v_add_f32_e32 v93, v123, v93
	v_cvt_i32_f32_e32 v122, v122
	v_exp_f32_e32 v93, v93
	v_cmp_ngt_f32_e32 vcc, s12, v79
	v_ldexp_f32 v93, v93, v122
	s_nop 0
	v_cndmask_b32_e32 v93, 0, v93, vcc
	v_cmp_nlt_f32_e32 vcc, s13, v79
	s_nop 1
	v_cndmask_b32_e32 v79, v120, v93, vcc
	v_add_f32_e32 v79, 1.0, v79
	v_rcp_f32_e32 v79, v79
	s_nop 0
	v_fma_f32 v79, v79, -2.0, 1.0
.LBB25_714:                             ;   in Loop: Header=BB25_684 Depth=1
	s_andn2_saveexec_b64 s[0:1], s[0:1]
; %bb.715:                              ;   in Loop: Header=BB25_684 Depth=1
	v_mul_f32_e32 v79, v27, v27
	v_fmamk_f32 v93, v79, 0xbbbac73d, v116
	v_fmaak_f32 v93, v79, v93, 0xbd5c1c4e
	v_fmaak_f32 v93, v79, v93, 0x3e088382
	;; [unrolled: 1-line block ×3, first 2 shown]
	v_mul_f32_e64 v93, |v27|, v93
	v_fma_f32 v79, v79, v93, |v27|
; %bb.716:                              ;   in Loop: Header=BB25_684 Depth=1
	s_or_b64 exec, exec, s[0:1]
	v_cmp_nlt_f32_e64 s[0:1], |v28|, s10
                                        ; implicit-def: $vgpr93
	s_and_saveexec_b64 s[18:19], s[0:1]
	s_xor_b64 s[0:1], exec, s[18:19]
	s_cbranch_execz .LBB25_718
; %bb.717:                              ;   in Loop: Header=BB25_684 Depth=1
	v_add_f32_e64 v93, |v28|, |v28|
	v_mul_f32_e32 v122, 0x3fb8aa3b, v93
	v_rndne_f32_e32 v123, v122
	v_sub_f32_e32 v124, v122, v123
	v_fma_f32 v122, v93, s11, -v122
	v_fmac_f32_e32 v122, 0x32a5705f, v93
	v_add_f32_e32 v122, v124, v122
	v_cvt_i32_f32_e32 v123, v123
	v_exp_f32_e32 v122, v122
	v_cmp_ngt_f32_e32 vcc, s12, v93
	v_ldexp_f32 v122, v122, v123
	s_nop 0
	v_cndmask_b32_e32 v122, 0, v122, vcc
	v_cmp_nlt_f32_e32 vcc, s13, v93
	s_nop 1
	v_cndmask_b32_e32 v93, v120, v122, vcc
	v_add_f32_e32 v93, 1.0, v93
	v_rcp_f32_e32 v93, v93
	s_nop 0
	v_fma_f32 v93, v93, -2.0, 1.0
.LBB25_718:                             ;   in Loop: Header=BB25_684 Depth=1
	s_andn2_saveexec_b64 s[0:1], s[0:1]
; %bb.719:                              ;   in Loop: Header=BB25_684 Depth=1
	v_mul_f32_e32 v93, v28, v28
	v_fmamk_f32 v122, v93, 0xbbbac73d, v116
	v_fmaak_f32 v122, v93, v122, 0xbd5c1c4e
	v_fmaak_f32 v122, v93, v122, 0x3e088382
	;; [unrolled: 1-line block ×3, first 2 shown]
	v_mul_f32_e64 v122, |v28|, v122
	v_fma_f32 v93, v93, v122, |v28|
; %bb.720:                              ;   in Loop: Header=BB25_684 Depth=1
	s_or_b64 exec, exec, s[0:1]
	v_cmp_nlt_f32_e64 s[0:1], |v29|, s10
                                        ; implicit-def: $vgpr122
	s_and_saveexec_b64 s[18:19], s[0:1]
	s_xor_b64 s[0:1], exec, s[18:19]
	s_cbranch_execz .LBB25_722
; %bb.721:                              ;   in Loop: Header=BB25_684 Depth=1
	v_add_f32_e64 v122, |v29|, |v29|
	v_mul_f32_e32 v123, 0x3fb8aa3b, v122
	v_rndne_f32_e32 v124, v123
	v_sub_f32_e32 v125, v123, v124
	v_fma_f32 v123, v122, s11, -v123
	v_fmac_f32_e32 v123, 0x32a5705f, v122
	v_add_f32_e32 v123, v125, v123
	v_cvt_i32_f32_e32 v124, v124
	v_exp_f32_e32 v123, v123
	v_cmp_ngt_f32_e32 vcc, s12, v122
	v_ldexp_f32 v123, v123, v124
	s_nop 0
	v_cndmask_b32_e32 v123, 0, v123, vcc
	v_cmp_nlt_f32_e32 vcc, s13, v122
	s_nop 1
	v_cndmask_b32_e32 v122, v120, v123, vcc
	v_add_f32_e32 v122, 1.0, v122
	v_rcp_f32_e32 v122, v122
	s_nop 0
	v_fma_f32 v122, v122, -2.0, 1.0
.LBB25_722:                             ;   in Loop: Header=BB25_684 Depth=1
	s_andn2_saveexec_b64 s[0:1], s[0:1]
; %bb.723:                              ;   in Loop: Header=BB25_684 Depth=1
	v_mul_f32_e32 v122, v29, v29
	v_fmamk_f32 v123, v122, 0xbbbac73d, v116
	v_fmaak_f32 v123, v122, v123, 0xbd5c1c4e
	v_fmaak_f32 v123, v122, v123, 0x3e088382
	v_fmaak_f32 v123, v122, v123, 0xbeaaaa99
	v_mul_f32_e64 v123, |v29|, v123
	v_fma_f32 v122, v122, v123, |v29|
; %bb.724:                              ;   in Loop: Header=BB25_684 Depth=1
	s_or_b64 exec, exec, s[0:1]
	v_cmp_nlt_f32_e64 s[0:1], |v30|, s10
                                        ; implicit-def: $vgpr123
	s_and_saveexec_b64 s[18:19], s[0:1]
	s_xor_b64 s[0:1], exec, s[18:19]
	s_cbranch_execz .LBB25_726
; %bb.725:                              ;   in Loop: Header=BB25_684 Depth=1
	v_add_f32_e64 v123, |v30|, |v30|
	v_mul_f32_e32 v124, 0x3fb8aa3b, v123
	v_rndne_f32_e32 v125, v124
	v_sub_f32_e32 v126, v124, v125
	v_fma_f32 v124, v123, s11, -v124
	v_fmac_f32_e32 v124, 0x32a5705f, v123
	v_add_f32_e32 v124, v126, v124
	v_cvt_i32_f32_e32 v125, v125
	v_exp_f32_e32 v124, v124
	v_cmp_ngt_f32_e32 vcc, s12, v123
	v_ldexp_f32 v124, v124, v125
	s_nop 0
	v_cndmask_b32_e32 v124, 0, v124, vcc
	v_cmp_nlt_f32_e32 vcc, s13, v123
	s_nop 1
	v_cndmask_b32_e32 v123, v120, v124, vcc
	v_add_f32_e32 v123, 1.0, v123
	v_rcp_f32_e32 v123, v123
	s_nop 0
	v_fma_f32 v123, v123, -2.0, 1.0
.LBB25_726:                             ;   in Loop: Header=BB25_684 Depth=1
	s_andn2_saveexec_b64 s[0:1], s[0:1]
; %bb.727:                              ;   in Loop: Header=BB25_684 Depth=1
	v_mul_f32_e32 v123, v30, v30
	v_fmamk_f32 v124, v123, 0xbbbac73d, v116
	v_fmaak_f32 v124, v123, v124, 0xbd5c1c4e
	v_fmaak_f32 v124, v123, v124, 0x3e088382
	;; [unrolled: 1-line block ×3, first 2 shown]
	v_mul_f32_e64 v124, |v30|, v124
	v_fma_f32 v123, v123, v124, |v30|
; %bb.728:                              ;   in Loop: Header=BB25_684 Depth=1
	s_or_b64 exec, exec, s[0:1]
	v_cmp_nlt_f32_e64 s[0:1], |v31|, s10
                                        ; implicit-def: $vgpr124
	s_and_saveexec_b64 s[18:19], s[0:1]
	s_xor_b64 s[0:1], exec, s[18:19]
	s_cbranch_execz .LBB25_730
; %bb.729:                              ;   in Loop: Header=BB25_684 Depth=1
	v_add_f32_e64 v124, |v31|, |v31|
	v_mul_f32_e32 v125, 0x3fb8aa3b, v124
	v_rndne_f32_e32 v126, v125
	v_sub_f32_e32 v127, v125, v126
	v_fma_f32 v125, v124, s11, -v125
	v_fmac_f32_e32 v125, 0x32a5705f, v124
	v_add_f32_e32 v125, v127, v125
	v_cvt_i32_f32_e32 v126, v126
	v_exp_f32_e32 v125, v125
	v_cmp_ngt_f32_e32 vcc, s12, v124
	v_ldexp_f32 v125, v125, v126
	s_nop 0
	v_cndmask_b32_e32 v125, 0, v125, vcc
	v_cmp_nlt_f32_e32 vcc, s13, v124
	s_nop 1
	v_cndmask_b32_e32 v124, v120, v125, vcc
	v_add_f32_e32 v124, 1.0, v124
	v_rcp_f32_e32 v124, v124
	s_nop 0
	v_fma_f32 v124, v124, -2.0, 1.0
.LBB25_730:                             ;   in Loop: Header=BB25_684 Depth=1
	s_andn2_saveexec_b64 s[0:1], s[0:1]
; %bb.731:                              ;   in Loop: Header=BB25_684 Depth=1
	v_mul_f32_e32 v124, v31, v31
	v_fmamk_f32 v125, v124, 0xbbbac73d, v116
	v_fmaak_f32 v125, v124, v125, 0xbd5c1c4e
	v_fmaak_f32 v125, v124, v125, 0x3e088382
	v_fmaak_f32 v125, v124, v125, 0xbeaaaa99
	v_mul_f32_e64 v125, |v31|, v125
	v_fma_f32 v124, v124, v125, |v31|
; %bb.732:                              ;   in Loop: Header=BB25_684 Depth=1
	s_or_b64 exec, exec, s[0:1]
	v_cmp_nlt_f32_e64 s[0:1], |v16|, s10
                                        ; implicit-def: $vgpr125
	s_and_saveexec_b64 s[18:19], s[0:1]
	s_xor_b64 s[0:1], exec, s[18:19]
	s_cbranch_execz .LBB25_734
; %bb.733:                              ;   in Loop: Header=BB25_684 Depth=1
	v_add_f32_e64 v125, |v16|, |v16|
	v_mul_f32_e32 v126, 0x3fb8aa3b, v125
	v_rndne_f32_e32 v127, v126
	v_sub_f32_e32 v128, v126, v127
	v_fma_f32 v126, v125, s11, -v126
	v_fmac_f32_e32 v126, 0x32a5705f, v125
	v_add_f32_e32 v126, v128, v126
	v_cvt_i32_f32_e32 v127, v127
	v_exp_f32_e32 v126, v126
	v_cmp_ngt_f32_e32 vcc, s12, v125
	v_ldexp_f32 v126, v126, v127
	s_nop 0
	v_cndmask_b32_e32 v126, 0, v126, vcc
	v_cmp_nlt_f32_e32 vcc, s13, v125
	s_nop 1
	v_cndmask_b32_e32 v125, v120, v126, vcc
	v_add_f32_e32 v125, 1.0, v125
	v_rcp_f32_e32 v125, v125
	s_nop 0
	v_fma_f32 v125, v125, -2.0, 1.0
.LBB25_734:                             ;   in Loop: Header=BB25_684 Depth=1
	s_andn2_saveexec_b64 s[0:1], s[0:1]
; %bb.735:                              ;   in Loop: Header=BB25_684 Depth=1
	v_mul_f32_e32 v125, v16, v16
	v_fmamk_f32 v126, v125, 0xbbbac73d, v116
	v_fmaak_f32 v126, v125, v126, 0xbd5c1c4e
	v_fmaak_f32 v126, v125, v126, 0x3e088382
	;; [unrolled: 1-line block ×3, first 2 shown]
	v_mul_f32_e64 v126, |v16|, v126
	v_fma_f32 v125, v125, v126, |v16|
; %bb.736:                              ;   in Loop: Header=BB25_684 Depth=1
	s_or_b64 exec, exec, s[0:1]
	v_cmp_nlt_f32_e64 s[0:1], |v17|, s10
                                        ; implicit-def: $vgpr126
	s_and_saveexec_b64 s[18:19], s[0:1]
	s_xor_b64 s[0:1], exec, s[18:19]
	s_cbranch_execz .LBB25_738
; %bb.737:                              ;   in Loop: Header=BB25_684 Depth=1
	v_add_f32_e64 v126, |v17|, |v17|
	v_mul_f32_e32 v127, 0x3fb8aa3b, v126
	v_rndne_f32_e32 v128, v127
	v_sub_f32_e32 v129, v127, v128
	v_fma_f32 v127, v126, s11, -v127
	v_fmac_f32_e32 v127, 0x32a5705f, v126
	v_add_f32_e32 v127, v129, v127
	v_cvt_i32_f32_e32 v128, v128
	v_exp_f32_e32 v127, v127
	v_cmp_ngt_f32_e32 vcc, s12, v126
	v_ldexp_f32 v127, v127, v128
	s_nop 0
	v_cndmask_b32_e32 v127, 0, v127, vcc
	v_cmp_nlt_f32_e32 vcc, s13, v126
	s_nop 1
	v_cndmask_b32_e32 v126, v120, v127, vcc
	v_add_f32_e32 v126, 1.0, v126
	v_rcp_f32_e32 v126, v126
	s_nop 0
	v_fma_f32 v126, v126, -2.0, 1.0
.LBB25_738:                             ;   in Loop: Header=BB25_684 Depth=1
	s_andn2_saveexec_b64 s[0:1], s[0:1]
; %bb.739:                              ;   in Loop: Header=BB25_684 Depth=1
	v_mul_f32_e32 v126, v17, v17
	v_fmamk_f32 v127, v126, 0xbbbac73d, v116
	v_fmaak_f32 v127, v126, v127, 0xbd5c1c4e
	v_fmaak_f32 v127, v126, v127, 0x3e088382
	;; [unrolled: 1-line block ×3, first 2 shown]
	v_mul_f32_e64 v127, |v17|, v127
	v_fma_f32 v126, v126, v127, |v17|
; %bb.740:                              ;   in Loop: Header=BB25_684 Depth=1
	s_or_b64 exec, exec, s[0:1]
	v_cmp_nlt_f32_e64 s[0:1], |v18|, s10
                                        ; implicit-def: $vgpr127
	s_and_saveexec_b64 s[18:19], s[0:1]
	s_xor_b64 s[0:1], exec, s[18:19]
	s_cbranch_execz .LBB25_742
; %bb.741:                              ;   in Loop: Header=BB25_684 Depth=1
	v_add_f32_e64 v127, |v18|, |v18|
	v_mul_f32_e32 v128, 0x3fb8aa3b, v127
	v_rndne_f32_e32 v129, v128
	v_sub_f32_e32 v130, v128, v129
	v_fma_f32 v128, v127, s11, -v128
	v_fmac_f32_e32 v128, 0x32a5705f, v127
	v_add_f32_e32 v128, v130, v128
	v_cvt_i32_f32_e32 v129, v129
	v_exp_f32_e32 v128, v128
	v_cmp_ngt_f32_e32 vcc, s12, v127
	v_ldexp_f32 v128, v128, v129
	s_nop 0
	v_cndmask_b32_e32 v128, 0, v128, vcc
	v_cmp_nlt_f32_e32 vcc, s13, v127
	s_nop 1
	v_cndmask_b32_e32 v127, v120, v128, vcc
	v_add_f32_e32 v127, 1.0, v127
	v_rcp_f32_e32 v127, v127
	s_nop 0
	v_fma_f32 v127, v127, -2.0, 1.0
.LBB25_742:                             ;   in Loop: Header=BB25_684 Depth=1
	s_andn2_saveexec_b64 s[0:1], s[0:1]
; %bb.743:                              ;   in Loop: Header=BB25_684 Depth=1
	v_mul_f32_e32 v127, v18, v18
	v_fmamk_f32 v128, v127, 0xbbbac73d, v116
	v_fmaak_f32 v128, v127, v128, 0xbd5c1c4e
	v_fmaak_f32 v128, v127, v128, 0x3e088382
	;; [unrolled: 1-line block ×3, first 2 shown]
	v_mul_f32_e64 v128, |v18|, v128
	v_fma_f32 v127, v127, v128, |v18|
; %bb.744:                              ;   in Loop: Header=BB25_684 Depth=1
	s_or_b64 exec, exec, s[0:1]
	v_cmp_nlt_f32_e64 s[0:1], |v19|, s10
                                        ; implicit-def: $vgpr128
	s_and_saveexec_b64 s[18:19], s[0:1]
	s_xor_b64 s[0:1], exec, s[18:19]
	s_cbranch_execz .LBB25_746
; %bb.745:                              ;   in Loop: Header=BB25_684 Depth=1
	v_add_f32_e64 v128, |v19|, |v19|
	v_mul_f32_e32 v129, 0x3fb8aa3b, v128
	v_rndne_f32_e32 v130, v129
	v_sub_f32_e32 v131, v129, v130
	v_fma_f32 v129, v128, s11, -v129
	v_fmac_f32_e32 v129, 0x32a5705f, v128
	v_add_f32_e32 v129, v131, v129
	v_cvt_i32_f32_e32 v130, v130
	v_exp_f32_e32 v129, v129
	v_cmp_ngt_f32_e32 vcc, s12, v128
	v_ldexp_f32 v129, v129, v130
	s_nop 0
	v_cndmask_b32_e32 v129, 0, v129, vcc
	v_cmp_nlt_f32_e32 vcc, s13, v128
	s_nop 1
	v_cndmask_b32_e32 v128, v120, v129, vcc
	v_add_f32_e32 v128, 1.0, v128
	v_rcp_f32_e32 v128, v128
	s_nop 0
	v_fma_f32 v128, v128, -2.0, 1.0
.LBB25_746:                             ;   in Loop: Header=BB25_684 Depth=1
	s_andn2_saveexec_b64 s[0:1], s[0:1]
; %bb.747:                              ;   in Loop: Header=BB25_684 Depth=1
	v_mul_f32_e32 v128, v19, v19
	v_fmamk_f32 v129, v128, 0xbbbac73d, v116
	v_fmaak_f32 v129, v128, v129, 0xbd5c1c4e
	v_fmaak_f32 v129, v128, v129, 0x3e088382
	;; [unrolled: 1-line block ×3, first 2 shown]
	v_mul_f32_e64 v129, |v19|, v129
	v_fma_f32 v128, v128, v129, |v19|
; %bb.748:                              ;   in Loop: Header=BB25_684 Depth=1
	s_or_b64 exec, exec, s[0:1]
	v_bfi_b32 v125, s14, v125, v16
	v_bfi_b32 v126, s14, v126, v17
	;; [unrolled: 1-line block ×7, first 2 shown]
	ds_read_b32 v26, v109 offset:17408
	ds_read_b32 v72, v110 offset:17408
	ds_read2_b32 v[16:17], v117 offset1:1
	v_bfi_b32 v23, s14, v75, v23
	v_bfi_b32 v21, s14, v73, v21
	;; [unrolled: 1-line block ×4, first 2 shown]
	s_waitcnt lgkmcnt(2)
	v_fma_mix_f32 v74, s33, v20, v26 op_sel_hi:[0,0,1]
	v_fma_mix_f32 v26, s33, v21, v26 op_sel:[0,0,1] op_sel_hi:[0,0,1]
	s_waitcnt lgkmcnt(1)
	v_fma_mix_f32 v22, s33, v22, v72 op_sel_hi:[0,0,1]
	v_fma_mix_f32 v23, s33, v23, v72 op_sel:[0,0,1] op_sel_hi:[0,0,1]
	s_waitcnt lgkmcnt(0)
	v_fma_mix_f32 v72, s33, v18, v16 op_sel_hi:[0,0,1]
	ds_read2_b32 v[18:19], v118 offset1:1
	ds_read2_b32 v[20:21], v119 offset1:1
	v_bfi_b32 v31, s14, v124, v31
	v_bfi_b32 v28, s14, v93, v28
	;; [unrolled: 1-line block ×5, first 2 shown]
	v_fma_mix_f32 v24, s33, v24, v16 op_sel:[0,0,1] op_sel_hi:[0,0,1]
	v_fma_mix_f32 v25, s33, v25, v17 op_sel_hi:[0,0,1]
	v_fma_mix_f32 v27, s33, v27, v17 op_sel:[0,0,1] op_sel_hi:[0,0,1]
	s_waitcnt lgkmcnt(1)
	v_fma_mix_f32 v28, s33, v28, v18 op_sel_hi:[0,0,1]
	v_fma_mix_f32 v29, s33, v29, v18 op_sel:[0,0,1] op_sel_hi:[0,0,1]
	v_fma_mix_f32 v30, s33, v30, v19 op_sel_hi:[0,0,1]
	v_fma_mix_f32 v19, s33, v31, v19 op_sel:[0,0,1] op_sel_hi:[0,0,1]
	s_waitcnt lgkmcnt(0)
	v_fma_mix_f32 v31, s33, v125, v20 op_sel_hi:[0,0,1]
	v_fma_mix_f32 v18, s33, v126, v20 op_sel:[0,0,1] op_sel_hi:[0,0,1]
	v_fma_mix_f32 v17, s33, v127, v21 op_sel_hi:[0,0,1]
	v_fma_mix_f32 v16, s33, v73, v21 op_sel:[0,0,1] op_sel_hi:[0,0,1]
	v_add_f32_e32 v20, 0x40051340, v74
	v_add_f32_e32 v21, 0x40051340, v26
	v_max3_f32 v20, v32, v20, v21
	v_add_f32_e32 v21, 0x40051340, v22
	v_add_f32_e32 v73, 0x40051340, v23
	v_max3_f32 v20, v20, v21, v73
	;; [unrolled: 3-line block ×8, first 2 shown]
	ds_bpermute_b32 v21, v111, v20
	s_mul_hi_i32 s1, s8, s26
	s_mul_i32 s0, s8, s26
	s_lshl_b64 s[0:1], s[0:1], 2
	s_add_u32 s0, s2, s0
	s_waitcnt lgkmcnt(0)
	v_max_f32_e32 v21, v21, v21
	v_max_f32_e32 v20, v20, v21
	ds_bpermute_b32 v21, v112, v20
	s_addc_u32 s1, s3, s1
	s_add_i32 s34, s34, 1
	s_add_i32 s8, s8, 64
	s_waitcnt lgkmcnt(0)
	v_max_f32_e32 v21, v21, v21
	v_max_f32_e32 v93, v20, v21
	v_sub_f32_e32 v20, v74, v93
	v_mul_f32_e32 v21, 0x3fb8aa3b, v20
	v_fma_f32 v73, v20, s11, -v21
	v_rndne_f32_e32 v74, v21
	v_fmac_f32_e32 v73, 0x32a5705f, v20
	v_sub_f32_e32 v21, v21, v74
	v_add_f32_e32 v21, v21, v73
	v_exp_f32_e32 v21, v21
	v_cvt_i32_f32_e32 v73, v74
	v_sub_f32_e32 v26, v26, v93
	v_cmp_ngt_f32_e32 vcc, s12, v20
	v_sub_f32_e32 v19, v19, v93
	v_ldexp_f32 v21, v21, v73
	v_mul_f32_e32 v73, 0x3fb8aa3b, v26
	v_fma_f32 v74, v26, s11, -v73
	v_rndne_f32_e32 v75, v73
	v_fmac_f32_e32 v74, 0x32a5705f, v26
	v_sub_f32_e32 v73, v73, v75
	v_add_f32_e32 v73, v73, v74
	v_exp_f32_e32 v73, v73
	v_cvt_i32_f32_e32 v74, v75
	v_cndmask_b32_e32 v21, 0, v21, vcc
	v_cmp_nlt_f32_e32 vcc, s13, v20
	v_sub_f32_e32 v77, v31, v93
	v_ldexp_f32 v20, v73, v74
	v_cndmask_b32_e32 v131, v120, v21, vcc
	v_sub_f32_e32 v21, v22, v93
	v_mul_f32_e32 v22, 0x3fb8aa3b, v21
	v_fma_f32 v73, v21, s11, -v22
	v_rndne_f32_e32 v74, v22
	v_fmac_f32_e32 v73, 0x32a5705f, v21
	v_sub_f32_e32 v22, v22, v74
	v_add_f32_e32 v22, v22, v73
	v_exp_f32_e32 v22, v22
	v_cvt_i32_f32_e32 v73, v74
	v_cmp_ngt_f32_e32 vcc, s12, v26
	v_mul_f32_e32 v78, 0x3fb8aa3b, v77
	v_fma_f32 v79, v77, s11, -v78
	v_cndmask_b32_e32 v20, 0, v20, vcc
	v_cmp_nlt_f32_e32 vcc, s13, v26
	v_rndne_f32_e32 v122, v78
	v_fmac_f32_e32 v79, 0x32a5705f, v77
	v_cndmask_b32_e32 v132, v120, v20, vcc
	v_ldexp_f32 v20, v22, v73
	v_sub_f32_e32 v22, v23, v93
	v_mul_f32_e32 v23, 0x3fb8aa3b, v22
	v_fma_f32 v26, v22, s11, -v23
	v_rndne_f32_e32 v73, v23
	v_fmac_f32_e32 v26, 0x32a5705f, v22
	v_sub_f32_e32 v23, v23, v73
	v_add_f32_e32 v23, v23, v26
	v_exp_f32_e32 v23, v23
	v_cvt_i32_f32_e32 v26, v73
	v_cmp_ngt_f32_e32 vcc, s12, v21
	v_sub_f32_e32 v78, v78, v122
	v_add_f32_e32 v78, v78, v79
	v_cndmask_b32_e32 v20, 0, v20, vcc
	v_cmp_nlt_f32_e32 vcc, s13, v21
	v_sub_f32_e32 v21, v72, v93
	v_exp_f32_e32 v78, v78
	v_cndmask_b32_e32 v133, v120, v20, vcc
	v_ldexp_f32 v20, v23, v26
	v_mul_f32_e32 v23, 0x3fb8aa3b, v21
	v_fma_f32 v26, v21, s11, -v23
	v_rndne_f32_e32 v72, v23
	v_fmac_f32_e32 v26, 0x32a5705f, v21
	v_sub_f32_e32 v23, v23, v72
	v_add_f32_e32 v23, v23, v26
	v_exp_f32_e32 v23, v23
	v_cvt_i32_f32_e32 v26, v72
	v_cmp_ngt_f32_e32 vcc, s12, v22
	v_cvt_i32_f32_e32 v79, v122
	v_sub_f32_e32 v18, v18, v93
	v_cndmask_b32_e32 v20, 0, v20, vcc
	v_cmp_nlt_f32_e32 vcc, s13, v22
	v_sub_f32_e32 v22, v24, v93
	v_sub_f32_e32 v17, v17, v93
	v_cndmask_b32_e32 v136, v120, v20, vcc
	v_ldexp_f32 v20, v23, v26
	v_mul_f32_e32 v23, 0x3fb8aa3b, v22
	v_fma_f32 v24, v22, s11, -v23
	v_rndne_f32_e32 v26, v23
	v_fmac_f32_e32 v24, 0x32a5705f, v22
	v_sub_f32_e32 v23, v23, v26
	v_add_f32_e32 v23, v23, v24
	v_exp_f32_e32 v23, v23
	v_cvt_i32_f32_e32 v24, v26
	v_cmp_ngt_f32_e32 vcc, s12, v21
	v_sub_f32_e32 v16, v16, v93
	v_sub_f32_e32 v32, v32, v93
	v_cndmask_b32_e32 v20, 0, v20, vcc
	v_cmp_nlt_f32_e32 vcc, s13, v21
	v_sub_f32_e32 v21, v25, v93
	s_nop 0
	v_cndmask_b32_e32 v156, v120, v20, vcc
	v_ldexp_f32 v20, v23, v24
	v_mul_f32_e32 v23, 0x3fb8aa3b, v21
	v_fma_f32 v24, v21, s11, -v23
	v_rndne_f32_e32 v25, v23
	v_fmac_f32_e32 v24, 0x32a5705f, v21
	v_sub_f32_e32 v23, v23, v25
	v_add_f32_e32 v23, v23, v24
	v_exp_f32_e32 v23, v23
	v_cvt_i32_f32_e32 v24, v25
	v_cmp_ngt_f32_e32 vcc, s12, v22
	s_nop 1
	v_cndmask_b32_e32 v20, 0, v20, vcc
	v_cmp_nlt_f32_e32 vcc, s13, v22
	v_sub_f32_e32 v22, v27, v93
	s_nop 0
	v_cndmask_b32_e32 v127, v120, v20, vcc
	v_ldexp_f32 v20, v23, v24
	v_mul_f32_e32 v23, 0x3fb8aa3b, v22
	v_fma_f32 v24, v22, s11, -v23
	v_rndne_f32_e32 v25, v23
	v_fmac_f32_e32 v24, 0x32a5705f, v22
	v_sub_f32_e32 v23, v23, v25
	v_add_f32_e32 v23, v23, v24
	v_exp_f32_e32 v23, v23
	v_cvt_i32_f32_e32 v24, v25
	v_cmp_ngt_f32_e32 vcc, s12, v21
	s_nop 1
	;; [unrolled: 16-line block ×5, first 2 shown]
	v_cndmask_b32_e32 v20, 0, v20, vcc
	v_cmp_nlt_f32_e32 vcc, s13, v22
	v_mul_f32_e32 v22, 0x3fb8aa3b, v19
	s_nop 0
	v_cndmask_b32_e32 v126, v120, v20, vcc
	v_ldexp_f32 v20, v23, v24
	v_fma_f32 v23, v19, s11, -v22
	v_rndne_f32_e32 v24, v22
	v_fmac_f32_e32 v23, 0x32a5705f, v19
	v_sub_f32_e32 v22, v22, v24
	v_add_f32_e32 v22, v22, v23
	v_exp_f32_e32 v22, v22
	v_cvt_i32_f32_e32 v23, v24
	v_cmp_ngt_f32_e32 vcc, s12, v21
	v_ldexp_f32 v76, v22, v23
	v_lshl_add_u64 v[22:23], v[66:67], 2, s[0:1]
	v_cndmask_b32_e32 v20, 0, v20, vcc
	v_cmp_nlt_f32_e32 vcc, s13, v21
	v_lshl_add_u64 v[24:25], v[22:23], 0, v[60:61]
	v_lshl_add_u64 v[22:23], v[68:69], 2, s[0:1]
	v_cndmask_b32_e32 v128, v120, v20, vcc
	v_lshl_add_u64 v[20:21], v[64:65], 2, s[0:1]
	v_lshl_add_u64 v[28:29], v[22:23], 0, v[60:61]
	;; [unrolled: 1-line block ×5, first 2 shown]
	global_load_dwordx4 v[20:23], v[20:21], off
	s_nop 0
	global_load_dwordx4 v[24:27], v[24:25], off
	s_nop 0
	;; [unrolled: 2-line block ×3, first 2 shown]
	global_load_dwordx4 v[72:75], v[72:73], off
	v_cmp_ngt_f32_e32 vcc, s12, v19
	v_cmp_ngt_f32_e64 s[0:1], s12, v32
	s_waitcnt vmcnt(3)
	ds_write_b128 v59, v[20:23]
	s_waitcnt vmcnt(2)
	ds_write_b128 v105, v[24:27]
	;; [unrolled: 2-line block ×4, first 2 shown]
	v_cndmask_b32_e32 v76, 0, v76, vcc
	v_cmp_nlt_f32_e32 vcc, s13, v19
	v_ldexp_f32 v19, v78, v79
	s_waitcnt lgkmcnt(0)
	v_cndmask_b32_e32 v134, v120, v76, vcc
	v_mul_f32_e32 v76, 0x3fb8aa3b, v18
	v_fma_f32 v78, v18, s11, -v76
	v_rndne_f32_e32 v79, v76
	v_fmac_f32_e32 v78, 0x32a5705f, v18
	v_sub_f32_e32 v76, v76, v79
	v_add_f32_e32 v76, v76, v78
	v_exp_f32_e32 v76, v76
	v_cvt_i32_f32_e32 v78, v79
	v_cmp_ngt_f32_e32 vcc, s12, v77
	s_barrier
	s_nop 0
	v_cndmask_b32_e32 v19, 0, v19, vcc
	v_cmp_nlt_f32_e32 vcc, s13, v77
	ds_read_u16 v20, v113 offset:272
	ds_read_u16 v21, v113 offset:544
	ds_read_u16 v22, v114
	ds_read_u16 v23, v113
	v_cndmask_b32_e32 v135, v120, v19, vcc
	v_ldexp_f32 v19, v76, v78
	v_mul_f32_e32 v76, 0x3fb8aa3b, v17
	v_fma_f32 v77, v17, s11, -v76
	v_rndne_f32_e32 v78, v76
	v_fmac_f32_e32 v77, 0x32a5705f, v17
	v_sub_f32_e32 v76, v76, v78
	v_add_f32_e32 v76, v76, v77
	v_exp_f32_e32 v76, v76
	v_cvt_i32_f32_e32 v77, v78
	v_cmp_ngt_f32_e32 vcc, s12, v18
	s_waitcnt lgkmcnt(1)
	v_perm_b32 v21, v22, v21, s16
	s_waitcnt lgkmcnt(0)
	v_perm_b32 v20, v20, v23, s16
	v_cndmask_b32_e32 v19, 0, v19, vcc
	v_cmp_nlt_f32_e32 vcc, s13, v18
	v_ldexp_f32 v18, v76, v77
	v_cvt_pk_f16_f32 v79, v133, v136
	v_cndmask_b32_e32 v137, v120, v19, vcc
	v_cmp_ngt_f32_e32 vcc, s12, v17
	v_cvt_pk_f16_f32 v75, v128, v134
	v_cvt_pk_f16_f32 v74, v125, v126
	v_cndmask_b32_e32 v18, 0, v18, vcc
	v_cmp_nlt_f32_e32 vcc, s13, v17
	v_mul_f32_e32 v17, 0x3fb8aa3b, v16
	v_fma_f32 v19, v16, s11, -v17
	v_rndne_f32_e32 v76, v17
	v_fmac_f32_e32 v19, 0x32a5705f, v16
	v_sub_f32_e32 v17, v17, v76
	v_add_f32_e32 v17, v17, v19
	v_cvt_i32_f32_e32 v19, v76
	v_mul_f32_e32 v76, 0x3fb8aa3b, v32
	v_fma_f32 v77, v32, s11, -v76
	v_rndne_f32_e32 v78, v76
	v_fmac_f32_e32 v77, 0x32a5705f, v32
	v_sub_f32_e32 v76, v76, v78
	v_add_f32_e32 v76, v76, v77
	v_exp_f32_e32 v76, v76
	v_cvt_i32_f32_e32 v77, v78
	v_cndmask_b32_e32 v122, v120, v18, vcc
	v_exp_f32_e32 v17, v17
	v_cmp_ngt_f32_e32 vcc, s12, v16
	v_ldexp_f32 v18, v76, v77
	v_cndmask_b32_e64 v18, 0, v18, s[0:1]
	v_cmp_nlt_f32_e64 s[0:1], s13, v32
	v_ldexp_f32 v17, v17, v19
	v_cndmask_b32_e32 v17, 0, v17, vcc
	v_cndmask_b32_e64 v18, v120, v18, s[0:1]
	v_cmp_le_f32_e64 s[0:1], s15, v32
	v_cmp_nlt_f32_e32 vcc, s13, v16
	v_cvt_pk_f16_f32 v78, v131, v132
	v_cndmask_b32_e64 v123, 0, v18, s[0:1]
	v_cvt_f16_f32_e32 v18, v123
	v_cndmask_b32_e32 v124, v120, v17, vcc
	v_cvt_pk_f16_f32 v77, v129, v130
	v_cvt_pk_f16_f32 v76, v156, v127
	v_mul_u32_u24_e32 v157, 0x10001, v18
	v_pk_mul_f16 v17, v37, v157
	v_pk_mul_f16 v19, v35, v157
	v_cvt_f32_f16_e32 v16, v17
	v_cvt_f32_f16_sdwa v17, v17 dst_sel:DWORD dst_unused:UNUSED_PAD src0_sel:WORD_1
	v_cvt_f32_f16_e32 v18, v19
	v_cvt_f32_f16_sdwa v19, v19 dst_sel:DWORD dst_unused:UNUSED_PAD src0_sel:WORD_1
	v_pk_mul_f16 v22, v34, v157
	v_cvt_pk_f16_f32 v73, v122, v124
	v_mfma_f32_16x16x16_f16 v[16:19], v[20:21], v[78:79], v[16:19]
	ds_read_u16 v20, v113 offset:4352
	ds_read_u16 v21, v113 offset:4896
	;; [unrolled: 1-line block ×4, first 2 shown]
	v_cvt_pk_f16_f32 v72, v135, v137
	v_pk_mul_f16 v41, v41, v157
	s_nop 1
	v_cvt_f16_f32_e32 v16, v16
	v_cvt_f16_f32_e32 v17, v17
	;; [unrolled: 1-line block ×4, first 2 shown]
	s_waitcnt lgkmcnt(1)
	v_perm_b32 v21, v23, v21, s16
	s_waitcnt lgkmcnt(0)
	v_perm_b32 v20, v24, v20, s16
	v_cvt_f32_f16_e32 v16, v16
	v_cvt_f32_f16_e32 v17, v17
	;; [unrolled: 1-line block ×4, first 2 shown]
	v_pk_mul_f16 v23, v36, v157
	v_pk_mul_f16 v91, v91, v157
	v_mfma_f32_16x16x16_f16 v[16:19], v[20:21], v[76:77], v[16:19]
	ds_read_u16 v20, v113 offset:8704
	ds_read_u16 v21, v113 offset:9248
	;; [unrolled: 1-line block ×4, first 2 shown]
	v_cmp_lt_i32_e32 vcc, s34, v102
	s_and_b64 vcc, exec, vcc
	s_nop 1
	v_cvt_f16_f32_e32 v16, v16
	v_cvt_f16_f32_e32 v17, v17
	;; [unrolled: 1-line block ×4, first 2 shown]
	s_waitcnt lgkmcnt(1)
	v_perm_b32 v21, v24, v21, s16
	s_waitcnt lgkmcnt(0)
	v_perm_b32 v20, v25, v20, s16
	v_cvt_f32_f16_e32 v16, v16
	v_cvt_f32_f16_e32 v17, v17
	;; [unrolled: 1-line block ×4, first 2 shown]
	ds_read_u16 v24, v114 offset:32
	s_nop 0
	v_mfma_f32_16x16x16_f16 v[16:19], v[20:21], v[74:75], v[16:19]
	ds_read_u16 v20, v113 offset:13056
	ds_read_u16 v21, v113 offset:13600
	;; [unrolled: 1-line block ×4, first 2 shown]
	s_nop 3
	v_cvt_f16_f32_e32 v16, v16
	v_cvt_f16_f32_e32 v17, v17
	;; [unrolled: 1-line block ×4, first 2 shown]
	s_waitcnt lgkmcnt(1)
	v_perm_b32 v21, v25, v21, s16
	s_waitcnt lgkmcnt(0)
	v_perm_b32 v20, v26, v20, s16
	ds_read_u16 v26, v113 offset:32
	ds_read_u16 v25, v113 offset:576
	ds_read_u16 v27, v113 offset:304
	v_cvt_f32_f16_e32 v16, v16
	v_cvt_f32_f16_e32 v17, v17
	;; [unrolled: 1-line block ×4, first 2 shown]
	s_waitcnt lgkmcnt(1)
	v_perm_b32 v25, v24, v25, s16
	s_waitcnt lgkmcnt(0)
	v_perm_b32 v24, v27, v26, s16
	v_mfma_f32_16x16x16_f16 v[16:19], v[20:21], v[72:73], v[16:19]
	v_cvt_f32_f16_e32 v20, v22
	v_cvt_f32_f16_sdwa v21, v22 dst_sel:DWORD dst_unused:UNUSED_PAD src0_sel:WORD_1
	v_cvt_f32_f16_e32 v22, v23
	v_cvt_f32_f16_sdwa v23, v23 dst_sel:DWORD dst_unused:UNUSED_PAD src0_sel:WORD_1
	s_nop 1
	v_mfma_f32_16x16x16_f16 v[20:23], v[24:25], v[78:79], v[20:23]
	ds_read_u16 v24, v113 offset:4384
	ds_read_u16 v25, v113 offset:4928
	;; [unrolled: 1-line block ×4, first 2 shown]
	s_nop 3
	v_cvt_f16_f32_e32 v20, v20
	v_cvt_f16_f32_e32 v21, v21
	;; [unrolled: 1-line block ×4, first 2 shown]
	s_waitcnt lgkmcnt(1)
	v_perm_b32 v25, v26, v25, s16
	s_waitcnt lgkmcnt(0)
	v_perm_b32 v24, v27, v24, s16
	v_cvt_f32_f16_e32 v20, v20
	v_cvt_f32_f16_e32 v21, v21
	v_cvt_f32_f16_e32 v22, v22
	v_cvt_f32_f16_e32 v23, v23
	s_nop 1
	v_mfma_f32_16x16x16_f16 v[20:23], v[24:25], v[76:77], v[20:23]
	ds_read_u16 v24, v113 offset:8736
	ds_read_u16 v25, v113 offset:9280
	;; [unrolled: 1-line block ×4, first 2 shown]
	s_nop 3
	v_cvt_f16_f32_e32 v20, v20
	v_cvt_f16_f32_e32 v21, v21
	;; [unrolled: 1-line block ×4, first 2 shown]
	s_waitcnt lgkmcnt(1)
	v_perm_b32 v25, v26, v25, s16
	s_waitcnt lgkmcnt(0)
	v_perm_b32 v24, v27, v24, s16
	v_cvt_f32_f16_e32 v20, v20
	v_cvt_f32_f16_e32 v21, v21
	;; [unrolled: 1-line block ×4, first 2 shown]
	s_nop 1
	v_mfma_f32_16x16x16_f16 v[20:23], v[24:25], v[74:75], v[20:23]
	ds_read_u16 v24, v113 offset:13088
	ds_read_u16 v25, v113 offset:13632
	;; [unrolled: 1-line block ×8, first 2 shown]
	v_cvt_f16_f32_e32 v20, v20
	v_cvt_f16_f32_e32 v21, v21
	;; [unrolled: 1-line block ×4, first 2 shown]
	s_waitcnt lgkmcnt(5)
	v_perm_b32 v25, v26, v25, s16
	s_waitcnt lgkmcnt(4)
	v_perm_b32 v24, v27, v24, s16
	v_cvt_f32_f16_e32 v20, v20
	v_cvt_f32_f16_e32 v21, v21
	;; [unrolled: 1-line block ×4, first 2 shown]
	v_pk_mul_f16 v26, v104, v157
	v_pk_mul_f16 v27, v103, v157
	s_waitcnt lgkmcnt(1)
	v_perm_b32 v29, v30, v29, s16
	s_waitcnt lgkmcnt(0)
	v_perm_b32 v28, v31, v28, s16
	v_mfma_f32_16x16x16_f16 v[20:23], v[24:25], v[72:73], v[20:23]
	v_cvt_f32_f16_e32 v24, v26
	v_cvt_f32_f16_sdwa v25, v26 dst_sel:DWORD dst_unused:UNUSED_PAD src0_sel:WORD_1
	v_cvt_f32_f16_e32 v26, v27
	v_cvt_f32_f16_sdwa v27, v27 dst_sel:DWORD dst_unused:UNUSED_PAD src0_sel:WORD_1
	s_nop 1
	v_mfma_f32_16x16x16_f16 v[24:27], v[28:29], v[78:79], v[24:27]
	ds_read_u16 v28, v113 offset:4416
	ds_read_u16 v29, v113 offset:4960
	;; [unrolled: 1-line block ×4, first 2 shown]
	s_nop 3
	v_cvt_f16_f32_e32 v24, v24
	v_cvt_f16_f32_e32 v25, v25
	;; [unrolled: 1-line block ×4, first 2 shown]
	s_waitcnt lgkmcnt(1)
	v_perm_b32 v29, v30, v29, s16
	s_waitcnt lgkmcnt(0)
	v_perm_b32 v28, v31, v28, s16
	v_cvt_f32_f16_e32 v24, v24
	v_cvt_f32_f16_e32 v25, v25
	;; [unrolled: 1-line block ×4, first 2 shown]
	s_nop 1
	v_mfma_f32_16x16x16_f16 v[24:27], v[28:29], v[76:77], v[24:27]
	ds_read_u16 v28, v113 offset:8768
	ds_read_u16 v29, v113 offset:9312
	;; [unrolled: 1-line block ×4, first 2 shown]
	s_nop 3
	v_cvt_f16_f32_e32 v24, v24
	v_cvt_f16_f32_e32 v25, v25
	;; [unrolled: 1-line block ×4, first 2 shown]
	s_waitcnt lgkmcnt(1)
	v_perm_b32 v29, v30, v29, s16
	s_waitcnt lgkmcnt(0)
	v_perm_b32 v28, v31, v28, s16
	v_cvt_f32_f16_e32 v24, v24
	v_cvt_f32_f16_e32 v25, v25
	;; [unrolled: 1-line block ×4, first 2 shown]
	s_nop 1
	v_mfma_f32_16x16x16_f16 v[24:27], v[28:29], v[74:75], v[24:27]
	ds_read_u16 v28, v113 offset:13120
	ds_read_u16 v29, v113 offset:13664
	;; [unrolled: 1-line block ×8, first 2 shown]
	v_cvt_f16_f32_e32 v24, v24
	v_cvt_f16_f32_e32 v25, v25
	;; [unrolled: 1-line block ×4, first 2 shown]
	s_waitcnt lgkmcnt(5)
	v_perm_b32 v29, v30, v29, s16
	s_waitcnt lgkmcnt(4)
	v_perm_b32 v28, v31, v28, s16
	v_cvt_f32_f16_e32 v24, v24
	v_cvt_f32_f16_e32 v25, v25
	v_cvt_f32_f16_e32 v26, v26
	v_cvt_f32_f16_e32 v27, v27
	v_pk_mul_f16 v30, v95, v157
	v_pk_mul_f16 v31, v43, v157
	s_waitcnt lgkmcnt(1)
	v_perm_b32 v35, v35, v34, s16
	s_waitcnt lgkmcnt(0)
	v_perm_b32 v34, v36, v32, s16
	v_mfma_f32_16x16x16_f16 v[24:27], v[28:29], v[72:73], v[24:27]
	v_cvt_f32_f16_e32 v28, v30
	v_cvt_f32_f16_sdwa v29, v30 dst_sel:DWORD dst_unused:UNUSED_PAD src0_sel:WORD_1
	v_cvt_f32_f16_e32 v30, v31
	v_cvt_f32_f16_sdwa v31, v31 dst_sel:DWORD dst_unused:UNUSED_PAD src0_sel:WORD_1
	s_nop 1
	v_mfma_f32_16x16x16_f16 v[28:31], v[34:35], v[78:79], v[28:31]
	ds_read_u16 v32, v113 offset:4448
	ds_read_u16 v34, v113 offset:4992
	ds_read_u16 v35, v114 offset:4448
	ds_read_u16 v36, v113 offset:4720
	s_nop 3
	v_cvt_f16_f32_e32 v28, v28
	v_cvt_f16_f32_e32 v29, v29
	v_cvt_f16_f32_e32 v30, v30
	v_cvt_f16_f32_e32 v31, v31
	s_waitcnt lgkmcnt(1)
	v_perm_b32 v35, v35, v34, s16
	s_waitcnt lgkmcnt(0)
	v_perm_b32 v34, v36, v32, s16
	v_cvt_f32_f16_e32 v28, v28
	v_cvt_f32_f16_e32 v29, v29
	v_cvt_f32_f16_e32 v30, v30
	v_cvt_f32_f16_e32 v31, v31
	s_nop 1
	v_mfma_f32_16x16x16_f16 v[28:31], v[34:35], v[76:77], v[28:31]
	ds_read_u16 v32, v113 offset:8800
	ds_read_u16 v34, v113 offset:9344
	ds_read_u16 v35, v114 offset:8800
	ds_read_u16 v36, v113 offset:9072
	s_nop 3
	v_cvt_f16_f32_e32 v28, v28
	v_cvt_f16_f32_e32 v29, v29
	v_cvt_f16_f32_e32 v30, v30
	v_cvt_f16_f32_e32 v31, v31
	s_waitcnt lgkmcnt(1)
	v_perm_b32 v35, v35, v34, s16
	s_waitcnt lgkmcnt(0)
	v_perm_b32 v34, v36, v32, s16
	v_cvt_f32_f16_e32 v28, v28
	v_cvt_f32_f16_e32 v29, v29
	v_cvt_f32_f16_e32 v30, v30
	v_cvt_f32_f16_e32 v31, v31
	;; [unrolled: 19-line block ×3, first 2 shown]
	v_pk_mul_f16 v36, v39, v157
	v_pk_mul_f16 v39, v33, v157
	v_mfma_f32_16x16x16_f16 v[28:31], v[34:35], v[72:73], v[28:31]
	ds_read_u16 v35, v113 offset:128
	ds_read_u16 v37, v113 offset:672
	;; [unrolled: 1-line block ×4, first 2 shown]
	v_cvt_f32_f16_e32 v32, v36
	v_cvt_f32_f16_sdwa v33, v36 dst_sel:DWORD dst_unused:UNUSED_PAD src0_sel:WORD_1
	v_cvt_f32_f16_e32 v34, v39
	s_waitcnt lgkmcnt(1)
	v_perm_b32 v37, v43, v37, s16
	s_waitcnt lgkmcnt(0)
	v_perm_b32 v36, v95, v35, s16
	v_cvt_f32_f16_sdwa v35, v39 dst_sel:DWORD dst_unused:UNUSED_PAD src0_sel:WORD_1
	v_pk_mul_f16 v95, v38, v157
	s_nop 0
	v_mfma_f32_16x16x16_f16 v[32:35], v[36:37], v[78:79], v[32:35]
	ds_read_u16 v36, v113 offset:4480
	ds_read_u16 v37, v113 offset:5024
	;; [unrolled: 1-line block ×4, first 2 shown]
	v_cvt_f32_f16_e32 v38, v95
	s_nop 2
	v_cvt_f16_f32_e32 v32, v32
	v_cvt_f16_f32_e32 v33, v33
	;; [unrolled: 1-line block ×4, first 2 shown]
	s_waitcnt lgkmcnt(1)
	v_perm_b32 v37, v39, v37, s16
	s_waitcnt lgkmcnt(0)
	v_perm_b32 v36, v43, v36, s16
	v_cvt_f32_f16_e32 v32, v32
	v_cvt_f32_f16_e32 v33, v33
	;; [unrolled: 1-line block ×4, first 2 shown]
	s_nop 1
	v_mfma_f32_16x16x16_f16 v[32:35], v[36:37], v[76:77], v[32:35]
	ds_read_u16 v36, v113 offset:8832
	ds_read_u16 v37, v113 offset:9376
	;; [unrolled: 1-line block ×4, first 2 shown]
	s_nop 3
	v_cvt_f16_f32_e32 v32, v32
	v_cvt_f16_f32_e32 v33, v33
	v_cvt_f16_f32_e32 v34, v34
	v_cvt_f16_f32_e32 v35, v35
	s_waitcnt lgkmcnt(1)
	v_perm_b32 v37, v39, v37, s16
	s_waitcnt lgkmcnt(0)
	v_perm_b32 v36, v43, v36, s16
	v_cvt_f32_f16_e32 v32, v32
	v_cvt_f32_f16_e32 v33, v33
	;; [unrolled: 1-line block ×4, first 2 shown]
	s_nop 1
	v_mfma_f32_16x16x16_f16 v[32:35], v[36:37], v[74:75], v[32:35]
	ds_read_u16 v36, v113 offset:13184
	ds_read_u16 v37, v113 offset:13728
	;; [unrolled: 1-line block ×4, first 2 shown]
	s_nop 3
	v_cvt_f16_f32_e32 v32, v32
	v_cvt_f16_f32_e32 v33, v33
	;; [unrolled: 1-line block ×4, first 2 shown]
	s_waitcnt lgkmcnt(1)
	v_perm_b32 v37, v39, v37, s16
	s_waitcnt lgkmcnt(0)
	v_perm_b32 v36, v43, v36, s16
	v_pk_mul_f16 v39, v42, v157
	ds_read_u16 v42, v113 offset:160
	ds_read_u16 v43, v113 offset:704
	;; [unrolled: 1-line block ×4, first 2 shown]
	v_cvt_f32_f16_e32 v32, v32
	v_cvt_f32_f16_e32 v33, v33
	;; [unrolled: 1-line block ×4, first 2 shown]
	s_waitcnt lgkmcnt(1)
	v_perm_b32 v43, v103, v43, s16
	s_waitcnt lgkmcnt(0)
	v_perm_b32 v42, v104, v42, s16
	v_mfma_f32_16x16x16_f16 v[32:35], v[36:37], v[72:73], v[32:35]
	v_cvt_f32_f16_e32 v36, v39
	v_cvt_f32_f16_sdwa v37, v39 dst_sel:DWORD dst_unused:UNUSED_PAD src0_sel:WORD_1
	v_cvt_f32_f16_sdwa v39, v95 dst_sel:DWORD dst_unused:UNUSED_PAD src0_sel:WORD_1
	s_nop 1
	v_mfma_f32_16x16x16_f16 v[36:39], v[42:43], v[78:79], v[36:39]
	ds_read_u16 v42, v113 offset:4512
	ds_read_u16 v43, v113 offset:5056
	ds_read_u16 v95, v114 offset:4512
	ds_read_u16 v103, v113 offset:4784
	s_nop 3
	v_cvt_f16_f32_e32 v36, v36
	v_cvt_f16_f32_e32 v37, v37
	v_cvt_f16_f32_e32 v38, v38
	v_cvt_f16_f32_e32 v39, v39
	s_waitcnt lgkmcnt(1)
	v_perm_b32 v43, v95, v43, s16
	s_waitcnt lgkmcnt(0)
	v_perm_b32 v42, v103, v42, s16
	v_cvt_f32_f16_e32 v36, v36
	v_cvt_f32_f16_e32 v37, v37
	v_cvt_f32_f16_e32 v38, v38
	v_cvt_f32_f16_e32 v39, v39
	s_nop 1
	v_mfma_f32_16x16x16_f16 v[36:39], v[42:43], v[76:77], v[36:39]
	ds_read_u16 v42, v113 offset:8864
	ds_read_u16 v43, v113 offset:9408
	ds_read_u16 v95, v114 offset:8864
	ds_read_u16 v103, v113 offset:9136
	s_nop 3
	v_cvt_f16_f32_e32 v36, v36
	v_cvt_f16_f32_e32 v37, v37
	v_cvt_f16_f32_e32 v38, v38
	v_cvt_f16_f32_e32 v39, v39
	s_waitcnt lgkmcnt(1)
	v_perm_b32 v43, v95, v43, s16
	s_waitcnt lgkmcnt(0)
	v_perm_b32 v42, v103, v42, s16
	v_cvt_f32_f16_e32 v36, v36
	v_cvt_f32_f16_e32 v37, v37
	v_cvt_f32_f16_e32 v38, v38
	v_cvt_f32_f16_e32 v39, v39
	s_nop 1
	v_mfma_f32_16x16x16_f16 v[36:39], v[42:43], v[74:75], v[36:39]
	ds_read_u16 v42, v113 offset:13216
	ds_read_u16 v43, v113 offset:13760
	ds_read_u16 v95, v114 offset:13216
	ds_read_u16 v103, v113 offset:13488
	s_nop 3
	v_cvt_f16_f32_e32 v36, v36
	v_cvt_f16_f32_e32 v37, v37
	v_cvt_f16_f32_e32 v38, v38
	v_cvt_f16_f32_e32 v39, v39
	s_waitcnt lgkmcnt(1)
	v_perm_b32 v43, v95, v43, s16
	s_waitcnt lgkmcnt(0)
	v_perm_b32 v42, v103, v42, s16
	v_cvt_f32_f16_e32 v36, v36
	v_cvt_f32_f16_e32 v37, v37
	v_cvt_f32_f16_e32 v38, v38
	v_cvt_f32_f16_e32 v39, v39
	v_pk_mul_f16 v95, v40, v157
	v_cvt_f32_f16_e32 v40, v41
	v_mfma_f32_16x16x16_f16 v[36:39], v[42:43], v[72:73], v[36:39]
	ds_read_u16 v43, v113 offset:192
	ds_read_u16 v103, v113 offset:736
	;; [unrolled: 1-line block ×4, first 2 shown]
	v_cvt_f32_f16_sdwa v41, v41 dst_sel:DWORD dst_unused:UNUSED_PAD src0_sel:WORD_1
	v_cvt_f32_f16_e32 v42, v95
	s_nop 1
	v_cvt_pk_f16_f32 v38, v38, v39
	s_waitcnt lgkmcnt(1)
	v_perm_b32 v159, v104, v103, s16
	s_waitcnt lgkmcnt(0)
	v_perm_b32 v158, v158, v43, s16
	v_cvt_f32_f16_sdwa v43, v95 dst_sel:DWORD dst_unused:UNUSED_PAD src0_sel:WORD_1
	v_cvt_pk_f16_f32 v39, v32, v33
	v_cvt_pk_f16_f32 v33, v34, v35
	v_mfma_f32_16x16x16_f16 v[40:43], v[158:159], v[78:79], v[40:43]
	ds_read_u16 v95, v113 offset:4544
	ds_read_u16 v103, v113 offset:5088
	;; [unrolled: 1-line block ×4, first 2 shown]
	v_cvt_pk_f16_f32 v34, v20, v21
	v_cvt_pk_f16_f32 v35, v18, v19
	s_nop 1
	v_cvt_f16_f32_e32 v40, v40
	v_cvt_f16_f32_e32 v41, v41
	v_cvt_f16_f32_e32 v42, v42
	v_cvt_f16_f32_e32 v43, v43
	s_waitcnt lgkmcnt(1)
	v_perm_b32 v159, v104, v103, s16
	s_waitcnt lgkmcnt(0)
	v_perm_b32 v158, v158, v95, s16
	v_cvt_f32_f16_e32 v40, v40
	v_cvt_f32_f16_e32 v41, v41
	;; [unrolled: 1-line block ×4, first 2 shown]
	s_nop 1
	v_mfma_f32_16x16x16_f16 v[40:43], v[158:159], v[76:77], v[40:43]
	ds_read_u16 v95, v113 offset:8896
	ds_read_u16 v103, v113 offset:9440
	ds_read_u16 v104, v114 offset:8896
	ds_read_u16 v158, v113 offset:9168
	s_nop 3
	v_cvt_f16_f32_e32 v40, v40
	v_cvt_f16_f32_e32 v41, v41
	;; [unrolled: 1-line block ×4, first 2 shown]
	s_waitcnt lgkmcnt(1)
	v_perm_b32 v159, v104, v103, s16
	s_waitcnt lgkmcnt(0)
	v_perm_b32 v158, v158, v95, s16
	v_cvt_f32_f16_e32 v40, v40
	v_cvt_f32_f16_e32 v41, v41
	;; [unrolled: 1-line block ×4, first 2 shown]
	v_add_f32_e32 v95, v131, v132
	ds_read_u16 v103, v113 offset:13248
	ds_read_u16 v104, v113 offset:13792
	;; [unrolled: 1-line block ×4, first 2 shown]
	v_mfma_f32_16x16x16_f16 v[40:43], v[158:159], v[74:75], v[40:43]
	v_add_f32_e32 v95, v133, v95
	s_waitcnt lgkmcnt(1)
	v_perm_b32 v133, v131, v104, s16
	s_waitcnt lgkmcnt(0)
	v_perm_b32 v132, v132, v103, s16
	v_pk_mul_f16 v103, v90, v157
	s_nop 1
	v_cvt_f16_f32_e32 v40, v40
	v_cvt_f16_f32_e32 v41, v41
	;; [unrolled: 1-line block ×4, first 2 shown]
	v_cvt_f32_f16_e32 v40, v40
	v_cvt_f32_f16_e32 v41, v41
	;; [unrolled: 1-line block ×4, first 2 shown]
	v_add_f32_e32 v95, v136, v95
	v_add_f32_e32 v95, v156, v95
	v_mfma_f32_16x16x16_f16 v[40:43], v[132:133], v[72:73], v[40:43]
	ds_read_u16 v90, v113 offset:224
	ds_read_u16 v104, v113 offset:768
	;; [unrolled: 1-line block ×4, first 2 shown]
	v_cvt_f32_f16_e32 v156, v91
	v_cvt_f32_f16_sdwa v157, v91 dst_sel:DWORD dst_unused:UNUSED_PAD src0_sel:WORD_1
	v_cvt_f32_f16_e32 v158, v103
	s_waitcnt lgkmcnt(1)
	v_perm_b32 v91, v131, v104, s16
	s_waitcnt lgkmcnt(0)
	v_perm_b32 v90, v132, v90, s16
	v_cvt_f32_f16_sdwa v159, v103 dst_sel:DWORD dst_unused:UNUSED_PAD src0_sel:WORD_1
	v_add_f32_e32 v95, v127, v95
	v_add_f32_e32 v95, v129, v95
	;; [unrolled: 1-line block ×3, first 2 shown]
	v_mfma_f32_16x16x16_f16 v[130:133], v[90:91], v[78:79], v[156:159]
	ds_read_u16 v103, v113 offset:4576
	ds_read_u16 v104, v113 offset:5120
	ds_read_u16 v127, v114 offset:4576
	ds_read_u16 v129, v113 offset:4848
	v_cvt_pk_f16_f32 v41, v40, v41
	v_cvt_pk_f16_f32 v40, v42, v43
	s_nop 1
	v_cvt_f16_f32_e32 v78, v130
	v_cvt_f16_f32_e32 v79, v131
	;; [unrolled: 1-line block ×4, first 2 shown]
	v_cvt_f32_f16_e32 v130, v78
	v_cvt_f32_f16_e32 v131, v79
	s_waitcnt lgkmcnt(1)
	v_perm_b32 v79, v127, v104, s16
	s_waitcnt lgkmcnt(0)
	v_perm_b32 v78, v129, v103, s16
	v_cvt_f32_f16_e32 v132, v90
	v_cvt_f32_f16_e32 v133, v91
	v_add_f32_e32 v90, v125, v95
	v_add_f32_e32 v90, v126, v90
	v_mfma_f32_16x16x16_f16 v[76:79], v[78:79], v[76:77], v[130:133]
	v_add_f32_e32 v90, v128, v90
	v_cvt_pk_f16_f32 v42, v36, v37
	v_cvt_pk_f16_f32 v43, v30, v31
	;; [unrolled: 1-line block ×3, first 2 shown]
	s_nop 3
	v_cvt_f16_f32_e32 v91, v79
	ds_read_u16 v95, v113 offset:8928
	ds_read_u16 v79, v113 offset:9472
	;; [unrolled: 1-line block ×4, first 2 shown]
	v_cvt_f16_f32_e32 v78, v78
	v_cvt_f16_f32_e32 v76, v76
	;; [unrolled: 1-line block ×3, first 2 shown]
	s_waitcnt lgkmcnt(1)
	v_perm_b32 v79, v103, v79, s16
	v_cvt_f32_f16_e32 v128, v78
	s_waitcnt lgkmcnt(0)
	v_perm_b32 v78, v104, v95, s16
	v_cvt_f32_f16_e32 v126, v76
	v_cvt_f32_f16_e32 v127, v77
	;; [unrolled: 1-line block ×3, first 2 shown]
	v_add_f32_e32 v76, v134, v90
	v_add_f32_e32 v76, v135, v76
	v_mfma_f32_16x16x16_f16 v[126:129], v[78:79], v[74:75], v[126:129]
	ds_read_u16 v75, v113 offset:13280
	ds_read_u16 v90, v113 offset:13824
	;; [unrolled: 1-line block ×4, first 2 shown]
	v_add_f32_e32 v76, v137, v76
	v_cvt_pk_f16_f32 v104, v24, v25
	s_nop 1
	v_cvt_f16_f32_e32 v78, v127
	v_cvt_f16_f32_e32 v79, v128
	;; [unrolled: 1-line block ×4, first 2 shown]
	v_cvt_f32_f16_e32 v127, v78
	v_cvt_f32_f16_e32 v128, v79
	s_waitcnt lgkmcnt(1)
	v_perm_b32 v79, v91, v90, s16
	s_waitcnt lgkmcnt(0)
	v_perm_b32 v78, v95, v75, s16
	v_cvt_f32_f16_e32 v126, v77
	v_cvt_f32_f16_e32 v129, v74
	v_add_f32_e32 v74, v122, v76
	v_add_f32_e32 v74, v124, v74
	v_mfma_f32_16x16x16_f16 v[76:79], v[78:79], v[72:73], v[126:129]
	v_fmac_f32_e32 v74, v121, v123
	v_cvt_pk_f16_f32 v95, v28, v29
	v_cvt_pk_f16_f32 v103, v26, v27
	;; [unrolled: 1-line block ×3, first 2 shown]
	s_nop 3
	v_cvt_pk_f16_f32 v91, v76, v77
	v_cvt_pk_f16_f32 v90, v78, v79
	s_barrier
	s_cbranch_vccz .LBB25_751
; %bb.749:                              ;   in Loop: Header=BB25_684 Depth=1
	v_mov_b32_e32 v121, v74
	v_mov_b32_e32 v32, v93
	s_branch .LBB25_684
.LBB25_750:
	v_readlane_b32 s24, v255, 4
	v_mov_b32_e32 v93, 0xfeffffff
	v_mov_b32_e32 v35, 0
	;; [unrolled: 1-line block ×17, first 2 shown]
	v_readlane_b32 s17, v255, 6
	v_readlane_b32 s25, v255, 5
	;; [unrolled: 1-line block ×3, first 2 shown]
	s_branch .LBB25_752
.LBB25_751:
	v_mov_b64_e32 v[16:17], s[36:37]
.LBB25_752:
	s_lshl_b32 s0, s34, 6
	s_ashr_i32 s1, s0, 31
	s_lshl_b64 s[8:9], s[0:1], 1
	s_add_u32 s6, s6, s8
	s_addc_u32 s7, s7, s9
	v_mov_b32_e32 v59, 0
	v_lshl_add_u64 v[18:19], s[6:7], 0, v[58:59]
	v_lshl_add_u64 v[20:21], v[44:45], 1, v[18:19]
	v_lshl_add_u64 v[18:19], v[48:49], 1, v[18:19]
	global_load_dword v32, v[20:21], off
	global_load_dword v59, v[18:19], off
	v_mul_lo_u32 v18, v16, s1
	v_mul_hi_u32 v19, v16, s0
	v_add_u32_e32 v18, v19, v18
	v_mul_lo_u32 v17, v17, s0
	v_add_u32_e32 v17, v18, v17
	v_mul_lo_u32 v16, v16, s0
	v_lshlrev_b64 v[16:17], 2, v[16:17]
	v_lshl_add_u64 v[18:19], s[4:5], 0, v[16:17]
	v_lshl_add_u64 v[20:21], v[50:51], 2, v[18:19]
	v_lshlrev_b64 v[16:17], 2, v[46:47]
	v_lshl_add_u64 v[22:23], v[52:53], 2, v[18:19]
	v_lshl_add_u64 v[20:21], v[20:21], 0, v[16:17]
	;; [unrolled: 1-line block ×7, first 2 shown]
	global_load_dwordx4 v[22:25], v[20:21], off
	global_load_dwordx4 v[26:29], v[30:31], off
	;; [unrolled: 1-line block ×4, first 2 shown]
	v_add_u32_e32 v18, 0, v58
	v_lshlrev_b32_e32 v21, 2, v46
	v_add3_u32 v30, 0, v94, v83
	v_add_u32_e32 v31, v18, v96
	v_add_u32_e32 v44, v18, v97
	v_add3_u32 v18, 0, v98, v21
	v_add3_u32 v19, 0, v99, v21
	;; [unrolled: 1-line block ×4, first 2 shown]
	v_add_u32_e32 v68, 0x3000, v30
	s_mov_b32 s1, 0x3f200000
	s_waitcnt vmcnt(5)
	ds_write_b32 v31, v32 offset:17408
	s_waitcnt vmcnt(4)
	ds_write_b32 v44, v59 offset:17408
	s_waitcnt vmcnt(3)
	ds_write_b128 v18, v[22:25]
	s_waitcnt vmcnt(2)
	ds_write_b128 v19, v[26:29]
	;; [unrolled: 2-line block ×4, first 2 shown]
	v_add_u32_e32 v31, 0x1000, v30
	v_add_u32_e32 v32, 0x2000, v30
	s_waitcnt lgkmcnt(0)
	s_barrier
	ds_read2_b64 v[22:25], v30 offset1:4
	ds_read2_b64 v[44:47], v31 offset0:32 offset1:36
	ds_read2_b64 v[52:55], v32 offset0:64 offset1:68
	;; [unrolled: 1-line block ×3, first 2 shown]
	s_waitcnt lgkmcnt(3)
	v_mfma_f32_16x16x16_f16 v[26:29], v[22:23], v[12:13], 0
	s_waitcnt lgkmcnt(2)
	v_mfma_f32_16x16x16_f16 v[48:51], v[44:45], v[12:13], 0
	;; [unrolled: 2-line block ×4, first 2 shown]
	v_mfma_f32_16x16x16_f16 v[22:25], v[24:25], v[14:15], v[26:29]
	v_mfma_f32_16x16x16_f16 v[26:29], v[46:47], v[14:15], v[48:51]
	;; [unrolled: 1-line block ×3, first 2 shown]
	s_nop 1
	ds_read2_b64 v[48:51], v30 offset0:8 offset1:12
	ds_read2_b64 v[52:55], v31 offset0:40 offset1:44
	v_mfma_f32_16x16x16_f16 v[12:15], v[62:63], v[14:15], v[64:67]
	ds_read2_b64 v[56:59], v32 offset0:72 offset1:76
	ds_read2_b64 v[60:63], v68 offset0:104 offset1:108
	s_waitcnt lgkmcnt(3)
	v_mfma_f32_16x16x16_f16 v[22:25], v[48:49], v[8:9], v[22:25]
	s_waitcnt lgkmcnt(2)
	v_mfma_f32_16x16x16_f16 v[26:29], v[52:53], v[8:9], v[26:29]
	;; [unrolled: 2-line block ×4, first 2 shown]
	v_mfma_f32_16x16x16_f16 v[22:25], v[50:51], v[10:11], v[22:25]
	ds_read2_b64 v[48:51], v31 offset0:48 offset1:52
	v_mfma_f32_16x16x16_f16 v[26:29], v[54:55], v[10:11], v[26:29]
	ds_read2_b64 v[52:55], v32 offset0:80 offset1:84
	;; [unrolled: 2-line block ×3, first 2 shown]
	v_mfma_f32_16x16x16_f16 v[8:11], v[62:63], v[10:11], v[12:15]
	s_nop 2
	ds_read2_b64 v[12:15], v30 offset0:16 offset1:20
	s_waitcnt lgkmcnt(0)
	v_mfma_f32_16x16x16_f16 v[22:25], v[12:13], v[4:5], v[22:25]
	v_mfma_f32_16x16x16_f16 v[26:29], v[48:49], v[4:5], v[26:29]
	;; [unrolled: 1-line block ×6, first 2 shown]
	ds_read2_b64 v[48:51], v32 offset0:88 offset1:92
	v_mfma_f32_16x16x16_f16 v[26:29], v[54:55], v[6:7], v[44:47]
	ds_read2_b64 v[52:55], v68 offset0:120 offset1:124
	v_mfma_f32_16x16x16_f16 v[4:7], v[58:59], v[6:7], v[8:11]
	s_nop 0
	ds_read2_b64 v[44:47], v31 offset0:56 offset1:60
	s_nop 0
	ds_read2_b64 v[8:11], v30 offset0:24 offset1:28
	s_waitcnt lgkmcnt(0)
	v_mfma_f32_16x16x16_f16 v[12:15], v[8:9], v[0:1], v[12:15]
	s_barrier
	v_mfma_f32_16x16x16_f16 v[22:25], v[44:45], v[0:1], v[22:25]
	v_mfma_f32_16x16x16_f16 v[26:29], v[48:49], v[0:1], v[26:29]
	;; [unrolled: 1-line block ×5, first 2 shown]
                                        ; implicit-def: $vgpr22
	v_mfma_f32_16x16x16_f16 v[12:15], v[50:51], v[2:3], v[26:29]
	s_nop 5
	v_cmp_nlt_f32_e64 s[4:5], |v4|, s1
	v_mfma_f32_16x16x16_f16 v[0:3], v[54:55], v[2:3], v[56:59]
	s_and_saveexec_b64 s[6:7], s[4:5]
	s_xor_b64 s[4:5], exec, s[6:7]
	s_cbranch_execz .LBB25_754
; %bb.753:
	v_add_f32_e64 v22, |v4|, |v4|
	v_mul_f32_e32 v23, 0x3fb8aa3b, v22
	s_mov_b32 s1, 0x3fb8aa3b
	v_rndne_f32_e32 v24, v23
	v_sub_f32_e32 v25, v23, v24
	v_fma_f32 v23, v22, s1, -v23
	v_fmamk_f32 v23, v22, 0x32a5705f, v23
	v_add_f32_e32 v23, v25, v23
	v_exp_f32_e32 v23, v23
	v_cvt_i32_f32_e32 v24, v24
	s_mov_b32 s1, 0xc2ce8ed0
	v_cmp_ngt_f32_e32 vcc, s1, v22
	s_mov_b32 s1, 0x42b17218
	v_ldexp_f32 v23, v23, v24
	v_cndmask_b32_e32 v23, 0, v23, vcc
	v_mov_b32_e32 v24, 0x7f800000
	v_cmp_nlt_f32_e32 vcc, s1, v22
	s_nop 1
	v_cndmask_b32_e32 v22, v24, v23, vcc
	v_add_f32_e32 v22, 1.0, v22
	v_rcp_f32_e32 v22, v22
	s_nop 0
	v_fma_f32 v22, v22, -2.0, 1.0
.LBB25_754:
	s_andn2_saveexec_b64 s[4:5], s[4:5]
; %bb.755:
	v_mul_f32_e32 v22, v4, v4
	v_mov_b32_e32 v23, 0x3ca908c9
	v_fmac_f32_e32 v23, 0xbbbac73d, v22
	v_fmaak_f32 v23, v22, v23, 0xbd5c1c4e
	v_fmaak_f32 v23, v22, v23, 0x3e088382
	;; [unrolled: 1-line block ×3, first 2 shown]
	v_mul_f32_e64 v23, |v4|, v23
	v_fma_f32 v22, v22, v23, |v4|
; %bb.756:
	s_or_b64 exec, exec, s[4:5]
	s_mov_b32 s1, 0x3f200000
	v_cmp_nlt_f32_e64 s[4:5], |v5|, s1
                                        ; implicit-def: $vgpr23
	s_and_saveexec_b64 s[6:7], s[4:5]
	s_xor_b64 s[4:5], exec, s[6:7]
	s_cbranch_execz .LBB25_758
; %bb.757:
	v_add_f32_e64 v23, |v5|, |v5|
	v_mul_f32_e32 v24, 0x3fb8aa3b, v23
	s_mov_b32 s1, 0x3fb8aa3b
	v_rndne_f32_e32 v25, v24
	v_sub_f32_e32 v26, v24, v25
	v_fma_f32 v24, v23, s1, -v24
	v_fmamk_f32 v24, v23, 0x32a5705f, v24
	v_add_f32_e32 v24, v26, v24
	v_exp_f32_e32 v24, v24
	v_cvt_i32_f32_e32 v25, v25
	s_mov_b32 s1, 0xc2ce8ed0
	v_cmp_ngt_f32_e32 vcc, s1, v23
	s_mov_b32 s1, 0x42b17218
	v_ldexp_f32 v24, v24, v25
	v_cndmask_b32_e32 v24, 0, v24, vcc
	v_mov_b32_e32 v25, 0x7f800000
	v_cmp_nlt_f32_e32 vcc, s1, v23
	s_nop 1
	v_cndmask_b32_e32 v23, v25, v24, vcc
	v_add_f32_e32 v23, 1.0, v23
	v_rcp_f32_e32 v23, v23
	s_nop 0
	v_fma_f32 v23, v23, -2.0, 1.0
.LBB25_758:
	s_andn2_saveexec_b64 s[4:5], s[4:5]
; %bb.759:
	v_mul_f32_e32 v23, v5, v5
	v_mov_b32_e32 v24, 0x3ca908c9
	v_fmac_f32_e32 v24, 0xbbbac73d, v23
	v_fmaak_f32 v24, v23, v24, 0xbd5c1c4e
	v_fmaak_f32 v24, v23, v24, 0x3e088382
	;; [unrolled: 1-line block ×3, first 2 shown]
	v_mul_f32_e64 v24, |v5|, v24
	v_fma_f32 v23, v23, v24, |v5|
; %bb.760:
	s_or_b64 exec, exec, s[4:5]
	s_mov_b32 s1, 0x3f200000
	v_cmp_nlt_f32_e64 s[4:5], |v6|, s1
                                        ; implicit-def: $vgpr24
	s_and_saveexec_b64 s[6:7], s[4:5]
	s_xor_b64 s[4:5], exec, s[6:7]
	s_cbranch_execz .LBB25_762
; %bb.761:
	v_add_f32_e64 v24, |v6|, |v6|
	v_mul_f32_e32 v25, 0x3fb8aa3b, v24
	s_mov_b32 s1, 0x3fb8aa3b
	v_rndne_f32_e32 v26, v25
	v_sub_f32_e32 v27, v25, v26
	v_fma_f32 v25, v24, s1, -v25
	v_fmamk_f32 v25, v24, 0x32a5705f, v25
	v_add_f32_e32 v25, v27, v25
	v_exp_f32_e32 v25, v25
	v_cvt_i32_f32_e32 v26, v26
	s_mov_b32 s1, 0xc2ce8ed0
	v_cmp_ngt_f32_e32 vcc, s1, v24
	s_mov_b32 s1, 0x42b17218
	v_ldexp_f32 v25, v25, v26
	v_cndmask_b32_e32 v25, 0, v25, vcc
	v_mov_b32_e32 v26, 0x7f800000
	v_cmp_nlt_f32_e32 vcc, s1, v24
	s_nop 1
	v_cndmask_b32_e32 v24, v26, v25, vcc
	v_add_f32_e32 v24, 1.0, v24
	v_rcp_f32_e32 v24, v24
	s_nop 0
	v_fma_f32 v24, v24, -2.0, 1.0
.LBB25_762:
	s_andn2_saveexec_b64 s[4:5], s[4:5]
; %bb.763:
	v_mul_f32_e32 v24, v6, v6
	v_mov_b32_e32 v25, 0x3ca908c9
	v_fmac_f32_e32 v25, 0xbbbac73d, v24
	v_fmaak_f32 v25, v24, v25, 0xbd5c1c4e
	v_fmaak_f32 v25, v24, v25, 0x3e088382
	;; [unrolled: 1-line block ×3, first 2 shown]
	v_mul_f32_e64 v25, |v6|, v25
	v_fma_f32 v24, v24, v25, |v6|
; %bb.764:
	s_or_b64 exec, exec, s[4:5]
	s_mov_b32 s1, 0x3f200000
	v_cmp_nlt_f32_e64 s[4:5], |v7|, s1
                                        ; implicit-def: $vgpr25
	s_and_saveexec_b64 s[6:7], s[4:5]
	s_xor_b64 s[4:5], exec, s[6:7]
	s_cbranch_execz .LBB25_766
; %bb.765:
	v_add_f32_e64 v25, |v7|, |v7|
	v_mul_f32_e32 v26, 0x3fb8aa3b, v25
	s_mov_b32 s1, 0x3fb8aa3b
	v_rndne_f32_e32 v27, v26
	v_sub_f32_e32 v28, v26, v27
	v_fma_f32 v26, v25, s1, -v26
	v_fmamk_f32 v26, v25, 0x32a5705f, v26
	v_add_f32_e32 v26, v28, v26
	v_exp_f32_e32 v26, v26
	v_cvt_i32_f32_e32 v27, v27
	s_mov_b32 s1, 0xc2ce8ed0
	v_cmp_ngt_f32_e32 vcc, s1, v25
	s_mov_b32 s1, 0x42b17218
	v_ldexp_f32 v26, v26, v27
	v_cndmask_b32_e32 v26, 0, v26, vcc
	v_mov_b32_e32 v27, 0x7f800000
	v_cmp_nlt_f32_e32 vcc, s1, v25
	s_nop 1
	v_cndmask_b32_e32 v25, v27, v26, vcc
	v_add_f32_e32 v25, 1.0, v25
	v_rcp_f32_e32 v25, v25
	s_nop 0
	v_fma_f32 v25, v25, -2.0, 1.0
.LBB25_766:
	s_andn2_saveexec_b64 s[4:5], s[4:5]
; %bb.767:
	v_mul_f32_e32 v25, v7, v7
	v_mov_b32_e32 v26, 0x3ca908c9
	v_fmac_f32_e32 v26, 0xbbbac73d, v25
	v_fmaak_f32 v26, v25, v26, 0xbd5c1c4e
	v_fmaak_f32 v26, v25, v26, 0x3e088382
	;; [unrolled: 1-line block ×3, first 2 shown]
	v_mul_f32_e64 v26, |v7|, v26
	v_fma_f32 v25, v25, v26, |v7|
; %bb.768:
	s_or_b64 exec, exec, s[4:5]
	s_mov_b32 s1, 0x3f200000
	v_cmp_nlt_f32_e64 s[4:5], |v8|, s1
                                        ; implicit-def: $vgpr26
	s_and_saveexec_b64 s[6:7], s[4:5]
	s_xor_b64 s[4:5], exec, s[6:7]
	s_cbranch_execz .LBB25_770
; %bb.769:
	v_add_f32_e64 v26, |v8|, |v8|
	v_mul_f32_e32 v27, 0x3fb8aa3b, v26
	s_mov_b32 s1, 0x3fb8aa3b
	v_rndne_f32_e32 v28, v27
	v_sub_f32_e32 v29, v27, v28
	v_fma_f32 v27, v26, s1, -v27
	v_fmamk_f32 v27, v26, 0x32a5705f, v27
	v_add_f32_e32 v27, v29, v27
	v_exp_f32_e32 v27, v27
	v_cvt_i32_f32_e32 v28, v28
	s_mov_b32 s1, 0xc2ce8ed0
	v_cmp_ngt_f32_e32 vcc, s1, v26
	s_mov_b32 s1, 0x42b17218
	v_ldexp_f32 v27, v27, v28
	v_cndmask_b32_e32 v27, 0, v27, vcc
	v_mov_b32_e32 v28, 0x7f800000
	v_cmp_nlt_f32_e32 vcc, s1, v26
	s_nop 1
	v_cndmask_b32_e32 v26, v28, v27, vcc
	v_add_f32_e32 v26, 1.0, v26
	v_rcp_f32_e32 v26, v26
	s_nop 0
	v_fma_f32 v26, v26, -2.0, 1.0
.LBB25_770:
	s_andn2_saveexec_b64 s[4:5], s[4:5]
; %bb.771:
	v_mul_f32_e32 v26, v8, v8
	v_mov_b32_e32 v27, 0x3ca908c9
	v_fmac_f32_e32 v27, 0xbbbac73d, v26
	v_fmaak_f32 v27, v26, v27, 0xbd5c1c4e
	v_fmaak_f32 v27, v26, v27, 0x3e088382
	;; [unrolled: 1-line block ×3, first 2 shown]
	v_mul_f32_e64 v27, |v8|, v27
	v_fma_f32 v26, v26, v27, |v8|
; %bb.772:
	s_or_b64 exec, exec, s[4:5]
	s_mov_b32 s1, 0x3f200000
	v_cmp_nlt_f32_e64 s[4:5], |v9|, s1
                                        ; implicit-def: $vgpr27
	s_and_saveexec_b64 s[6:7], s[4:5]
	s_xor_b64 s[4:5], exec, s[6:7]
	s_cbranch_execz .LBB25_774
; %bb.773:
	v_add_f32_e64 v27, |v9|, |v9|
	v_mul_f32_e32 v28, 0x3fb8aa3b, v27
	s_mov_b32 s1, 0x3fb8aa3b
	v_rndne_f32_e32 v29, v28
	v_sub_f32_e32 v30, v28, v29
	v_fma_f32 v28, v27, s1, -v28
	v_fmamk_f32 v28, v27, 0x32a5705f, v28
	v_add_f32_e32 v28, v30, v28
	v_exp_f32_e32 v28, v28
	v_cvt_i32_f32_e32 v29, v29
	s_mov_b32 s1, 0xc2ce8ed0
	v_cmp_ngt_f32_e32 vcc, s1, v27
	s_mov_b32 s1, 0x42b17218
	v_ldexp_f32 v28, v28, v29
	v_cndmask_b32_e32 v28, 0, v28, vcc
	v_mov_b32_e32 v29, 0x7f800000
	v_cmp_nlt_f32_e32 vcc, s1, v27
	s_nop 1
	v_cndmask_b32_e32 v27, v29, v28, vcc
	v_add_f32_e32 v27, 1.0, v27
	v_rcp_f32_e32 v27, v27
	s_nop 0
	v_fma_f32 v27, v27, -2.0, 1.0
.LBB25_774:
	s_andn2_saveexec_b64 s[4:5], s[4:5]
; %bb.775:
	v_mul_f32_e32 v27, v9, v9
	v_mov_b32_e32 v28, 0x3ca908c9
	v_fmac_f32_e32 v28, 0xbbbac73d, v27
	v_fmaak_f32 v28, v27, v28, 0xbd5c1c4e
	v_fmaak_f32 v28, v27, v28, 0x3e088382
	;; [unrolled: 1-line block ×3, first 2 shown]
	v_mul_f32_e64 v28, |v9|, v28
	v_fma_f32 v27, v27, v28, |v9|
; %bb.776:
	s_or_b64 exec, exec, s[4:5]
	s_mov_b32 s1, 0x3f200000
	v_cmp_nlt_f32_e64 s[4:5], |v10|, s1
                                        ; implicit-def: $vgpr28
	s_and_saveexec_b64 s[6:7], s[4:5]
	s_xor_b64 s[4:5], exec, s[6:7]
	s_cbranch_execz .LBB25_778
; %bb.777:
	v_add_f32_e64 v28, |v10|, |v10|
	v_mul_f32_e32 v29, 0x3fb8aa3b, v28
	s_mov_b32 s1, 0x3fb8aa3b
	v_rndne_f32_e32 v30, v29
	v_sub_f32_e32 v31, v29, v30
	v_fma_f32 v29, v28, s1, -v29
	v_fmamk_f32 v29, v28, 0x32a5705f, v29
	v_add_f32_e32 v29, v31, v29
	v_exp_f32_e32 v29, v29
	v_cvt_i32_f32_e32 v30, v30
	s_mov_b32 s1, 0xc2ce8ed0
	v_cmp_ngt_f32_e32 vcc, s1, v28
	s_mov_b32 s1, 0x42b17218
	v_ldexp_f32 v29, v29, v30
	v_cndmask_b32_e32 v29, 0, v29, vcc
	v_mov_b32_e32 v30, 0x7f800000
	v_cmp_nlt_f32_e32 vcc, s1, v28
	s_nop 1
	v_cndmask_b32_e32 v28, v30, v29, vcc
	v_add_f32_e32 v28, 1.0, v28
	v_rcp_f32_e32 v28, v28
	s_nop 0
	v_fma_f32 v28, v28, -2.0, 1.0
.LBB25_778:
	s_andn2_saveexec_b64 s[4:5], s[4:5]
; %bb.779:
	v_mul_f32_e32 v28, v10, v10
	v_mov_b32_e32 v29, 0x3ca908c9
	v_fmac_f32_e32 v29, 0xbbbac73d, v28
	v_fmaak_f32 v29, v28, v29, 0xbd5c1c4e
	v_fmaak_f32 v29, v28, v29, 0x3e088382
	;; [unrolled: 1-line block ×3, first 2 shown]
	v_mul_f32_e64 v29, |v10|, v29
	v_fma_f32 v28, v28, v29, |v10|
; %bb.780:
	s_or_b64 exec, exec, s[4:5]
	s_mov_b32 s1, 0x3f200000
	v_cmp_nlt_f32_e64 s[4:5], |v11|, s1
                                        ; implicit-def: $vgpr29
	s_and_saveexec_b64 s[6:7], s[4:5]
	s_xor_b64 s[4:5], exec, s[6:7]
	s_cbranch_execz .LBB25_782
; %bb.781:
	v_add_f32_e64 v29, |v11|, |v11|
	v_mul_f32_e32 v30, 0x3fb8aa3b, v29
	s_mov_b32 s1, 0x3fb8aa3b
	v_rndne_f32_e32 v31, v30
	v_sub_f32_e32 v32, v30, v31
	v_fma_f32 v30, v29, s1, -v30
	v_fmamk_f32 v30, v29, 0x32a5705f, v30
	v_add_f32_e32 v30, v32, v30
	v_exp_f32_e32 v30, v30
	v_cvt_i32_f32_e32 v31, v31
	s_mov_b32 s1, 0xc2ce8ed0
	v_cmp_ngt_f32_e32 vcc, s1, v29
	s_mov_b32 s1, 0x42b17218
	v_ldexp_f32 v30, v30, v31
	v_cndmask_b32_e32 v30, 0, v30, vcc
	v_mov_b32_e32 v31, 0x7f800000
	v_cmp_nlt_f32_e32 vcc, s1, v29
	s_nop 1
	v_cndmask_b32_e32 v29, v31, v30, vcc
	v_add_f32_e32 v29, 1.0, v29
	v_rcp_f32_e32 v29, v29
	s_nop 0
	v_fma_f32 v29, v29, -2.0, 1.0
.LBB25_782:
	s_andn2_saveexec_b64 s[4:5], s[4:5]
; %bb.783:
	v_mul_f32_e32 v29, v11, v11
	v_mov_b32_e32 v30, 0x3ca908c9
	v_fmac_f32_e32 v30, 0xbbbac73d, v29
	v_fmaak_f32 v30, v29, v30, 0xbd5c1c4e
	v_fmaak_f32 v30, v29, v30, 0x3e088382
	;; [unrolled: 1-line block ×3, first 2 shown]
	v_mul_f32_e64 v30, |v11|, v30
	v_fma_f32 v29, v29, v30, |v11|
; %bb.784:
	s_or_b64 exec, exec, s[4:5]
	s_mov_b32 s1, 0x3f200000
	v_cmp_nlt_f32_e64 s[4:5], |v12|, s1
                                        ; implicit-def: $vgpr30
	s_and_saveexec_b64 s[6:7], s[4:5]
	s_xor_b64 s[4:5], exec, s[6:7]
	s_cbranch_execz .LBB25_786
; %bb.785:
	v_add_f32_e64 v30, |v12|, |v12|
	v_mul_f32_e32 v31, 0x3fb8aa3b, v30
	s_mov_b32 s1, 0x3fb8aa3b
	v_rndne_f32_e32 v32, v31
	v_sub_f32_e32 v44, v31, v32
	v_fma_f32 v31, v30, s1, -v31
	v_fmamk_f32 v31, v30, 0x32a5705f, v31
	v_add_f32_e32 v31, v44, v31
	v_exp_f32_e32 v31, v31
	v_cvt_i32_f32_e32 v32, v32
	s_mov_b32 s1, 0xc2ce8ed0
	v_cmp_ngt_f32_e32 vcc, s1, v30
	s_mov_b32 s1, 0x42b17218
	v_ldexp_f32 v31, v31, v32
	v_cndmask_b32_e32 v31, 0, v31, vcc
	v_mov_b32_e32 v32, 0x7f800000
	v_cmp_nlt_f32_e32 vcc, s1, v30
	s_nop 1
	v_cndmask_b32_e32 v30, v32, v31, vcc
	v_add_f32_e32 v30, 1.0, v30
	v_rcp_f32_e32 v30, v30
	s_nop 0
	v_fma_f32 v30, v30, -2.0, 1.0
.LBB25_786:
	s_andn2_saveexec_b64 s[4:5], s[4:5]
; %bb.787:
	v_mul_f32_e32 v30, v12, v12
	v_mov_b32_e32 v31, 0x3ca908c9
	v_fmac_f32_e32 v31, 0xbbbac73d, v30
	v_fmaak_f32 v31, v30, v31, 0xbd5c1c4e
	v_fmaak_f32 v31, v30, v31, 0x3e088382
	;; [unrolled: 1-line block ×3, first 2 shown]
	v_mul_f32_e64 v31, |v12|, v31
	v_fma_f32 v30, v30, v31, |v12|
; %bb.788:
	s_or_b64 exec, exec, s[4:5]
	s_mov_b32 s1, 0x3f200000
	v_cmp_nlt_f32_e64 s[4:5], |v13|, s1
                                        ; implicit-def: $vgpr31
	s_and_saveexec_b64 s[6:7], s[4:5]
	s_xor_b64 s[4:5], exec, s[6:7]
	s_cbranch_execz .LBB25_790
; %bb.789:
	v_add_f32_e64 v31, |v13|, |v13|
	v_mul_f32_e32 v32, 0x3fb8aa3b, v31
	s_mov_b32 s1, 0x3fb8aa3b
	v_rndne_f32_e32 v44, v32
	v_sub_f32_e32 v45, v32, v44
	v_fma_f32 v32, v31, s1, -v32
	v_fmamk_f32 v32, v31, 0x32a5705f, v32
	v_add_f32_e32 v32, v45, v32
	v_exp_f32_e32 v32, v32
	v_cvt_i32_f32_e32 v44, v44
	s_mov_b32 s1, 0xc2ce8ed0
	v_cmp_ngt_f32_e32 vcc, s1, v31
	s_mov_b32 s1, 0x42b17218
	v_ldexp_f32 v32, v32, v44
	v_cndmask_b32_e32 v32, 0, v32, vcc
	v_mov_b32_e32 v44, 0x7f800000
	v_cmp_nlt_f32_e32 vcc, s1, v31
	s_nop 1
	v_cndmask_b32_e32 v31, v44, v32, vcc
	v_add_f32_e32 v31, 1.0, v31
	v_rcp_f32_e32 v31, v31
	s_nop 0
	v_fma_f32 v31, v31, -2.0, 1.0
.LBB25_790:
	s_andn2_saveexec_b64 s[4:5], s[4:5]
; %bb.791:
	v_mul_f32_e32 v31, v13, v13
	v_mov_b32_e32 v32, 0x3ca908c9
	v_fmac_f32_e32 v32, 0xbbbac73d, v31
	v_fmaak_f32 v32, v31, v32, 0xbd5c1c4e
	v_fmaak_f32 v32, v31, v32, 0x3e088382
	;; [unrolled: 1-line block ×3, first 2 shown]
	v_mul_f32_e64 v32, |v13|, v32
	v_fma_f32 v31, v31, v32, |v13|
; %bb.792:
	s_or_b64 exec, exec, s[4:5]
	s_mov_b32 s1, 0x3f200000
	v_cmp_nlt_f32_e64 s[4:5], |v14|, s1
                                        ; implicit-def: $vgpr32
	s_and_saveexec_b64 s[6:7], s[4:5]
	s_xor_b64 s[4:5], exec, s[6:7]
	s_cbranch_execz .LBB25_794
; %bb.793:
	v_add_f32_e64 v32, |v14|, |v14|
	v_mul_f32_e32 v44, 0x3fb8aa3b, v32
	s_mov_b32 s1, 0x3fb8aa3b
	v_rndne_f32_e32 v45, v44
	v_sub_f32_e32 v46, v44, v45
	v_fma_f32 v44, v32, s1, -v44
	v_fmamk_f32 v44, v32, 0x32a5705f, v44
	v_add_f32_e32 v44, v46, v44
	v_exp_f32_e32 v44, v44
	v_cvt_i32_f32_e32 v45, v45
	s_mov_b32 s1, 0xc2ce8ed0
	v_cmp_ngt_f32_e32 vcc, s1, v32
	s_mov_b32 s1, 0x42b17218
	v_ldexp_f32 v44, v44, v45
	v_cndmask_b32_e32 v44, 0, v44, vcc
	v_mov_b32_e32 v45, 0x7f800000
	v_cmp_nlt_f32_e32 vcc, s1, v32
	s_nop 1
	v_cndmask_b32_e32 v32, v45, v44, vcc
	v_add_f32_e32 v32, 1.0, v32
	v_rcp_f32_e32 v32, v32
	s_nop 0
	v_fma_f32 v32, v32, -2.0, 1.0
.LBB25_794:
	s_andn2_saveexec_b64 s[4:5], s[4:5]
; %bb.795:
	v_mul_f32_e32 v32, v14, v14
	v_mov_b32_e32 v44, 0x3ca908c9
	v_fmac_f32_e32 v44, 0xbbbac73d, v32
	v_fmaak_f32 v44, v32, v44, 0xbd5c1c4e
	v_fmaak_f32 v44, v32, v44, 0x3e088382
	;; [unrolled: 1-line block ×3, first 2 shown]
	v_mul_f32_e64 v44, |v14|, v44
	v_fma_f32 v32, v32, v44, |v14|
; %bb.796:
	s_or_b64 exec, exec, s[4:5]
	s_mov_b32 s1, 0x3f200000
	v_cmp_nlt_f32_e64 s[4:5], |v15|, s1
                                        ; implicit-def: $vgpr44
	s_and_saveexec_b64 s[6:7], s[4:5]
	s_xor_b64 s[4:5], exec, s[6:7]
	s_cbranch_execz .LBB25_798
; %bb.797:
	v_add_f32_e64 v44, |v15|, |v15|
	v_mul_f32_e32 v45, 0x3fb8aa3b, v44
	s_mov_b32 s1, 0x3fb8aa3b
	v_rndne_f32_e32 v46, v45
	v_sub_f32_e32 v47, v45, v46
	v_fma_f32 v45, v44, s1, -v45
	v_fmamk_f32 v45, v44, 0x32a5705f, v45
	v_add_f32_e32 v45, v47, v45
	v_exp_f32_e32 v45, v45
	v_cvt_i32_f32_e32 v46, v46
	s_mov_b32 s1, 0xc2ce8ed0
	v_cmp_ngt_f32_e32 vcc, s1, v44
	s_mov_b32 s1, 0x42b17218
	v_ldexp_f32 v45, v45, v46
	v_cndmask_b32_e32 v45, 0, v45, vcc
	v_mov_b32_e32 v46, 0x7f800000
	v_cmp_nlt_f32_e32 vcc, s1, v44
	s_nop 1
	v_cndmask_b32_e32 v44, v46, v45, vcc
	v_add_f32_e32 v44, 1.0, v44
	v_rcp_f32_e32 v44, v44
	s_nop 0
	v_fma_f32 v44, v44, -2.0, 1.0
.LBB25_798:
	s_andn2_saveexec_b64 s[4:5], s[4:5]
; %bb.799:
	v_mul_f32_e32 v44, v15, v15
	v_mov_b32_e32 v45, 0x3ca908c9
	v_fmac_f32_e32 v45, 0xbbbac73d, v44
	v_fmaak_f32 v45, v44, v45, 0xbd5c1c4e
	v_fmaak_f32 v45, v44, v45, 0x3e088382
	;; [unrolled: 1-line block ×3, first 2 shown]
	v_mul_f32_e64 v45, |v15|, v45
	v_fma_f32 v44, v44, v45, |v15|
; %bb.800:
	s_or_b64 exec, exec, s[4:5]
	s_mov_b32 s1, 0x3f200000
	v_cmp_nlt_f32_e64 s[4:5], |v0|, s1
                                        ; implicit-def: $vgpr45
	s_and_saveexec_b64 s[6:7], s[4:5]
	s_xor_b64 s[4:5], exec, s[6:7]
	s_cbranch_execz .LBB25_802
; %bb.801:
	v_add_f32_e64 v45, |v0|, |v0|
	v_mul_f32_e32 v46, 0x3fb8aa3b, v45
	s_mov_b32 s1, 0x3fb8aa3b
	v_rndne_f32_e32 v47, v46
	v_sub_f32_e32 v48, v46, v47
	v_fma_f32 v46, v45, s1, -v46
	v_fmamk_f32 v46, v45, 0x32a5705f, v46
	v_add_f32_e32 v46, v48, v46
	v_exp_f32_e32 v46, v46
	v_cvt_i32_f32_e32 v47, v47
	s_mov_b32 s1, 0xc2ce8ed0
	v_cmp_ngt_f32_e32 vcc, s1, v45
	s_mov_b32 s1, 0x42b17218
	v_ldexp_f32 v46, v46, v47
	v_cndmask_b32_e32 v46, 0, v46, vcc
	v_mov_b32_e32 v47, 0x7f800000
	v_cmp_nlt_f32_e32 vcc, s1, v45
	s_nop 1
	v_cndmask_b32_e32 v45, v47, v46, vcc
	v_add_f32_e32 v45, 1.0, v45
	v_rcp_f32_e32 v45, v45
	s_nop 0
	v_fma_f32 v45, v45, -2.0, 1.0
.LBB25_802:
	s_andn2_saveexec_b64 s[4:5], s[4:5]
; %bb.803:
	v_mul_f32_e32 v45, v0, v0
	v_mov_b32_e32 v46, 0x3ca908c9
	v_fmac_f32_e32 v46, 0xbbbac73d, v45
	v_fmaak_f32 v46, v45, v46, 0xbd5c1c4e
	v_fmaak_f32 v46, v45, v46, 0x3e088382
	;; [unrolled: 1-line block ×3, first 2 shown]
	v_mul_f32_e64 v46, |v0|, v46
	v_fma_f32 v45, v45, v46, |v0|
; %bb.804:
	s_or_b64 exec, exec, s[4:5]
	s_mov_b32 s1, 0x3f200000
	v_cmp_nlt_f32_e64 s[4:5], |v1|, s1
                                        ; implicit-def: $vgpr46
	s_and_saveexec_b64 s[6:7], s[4:5]
	s_xor_b64 s[4:5], exec, s[6:7]
	s_cbranch_execz .LBB25_806
; %bb.805:
	v_add_f32_e64 v46, |v1|, |v1|
	v_mul_f32_e32 v47, 0x3fb8aa3b, v46
	s_mov_b32 s1, 0x3fb8aa3b
	v_rndne_f32_e32 v48, v47
	v_sub_f32_e32 v49, v47, v48
	v_fma_f32 v47, v46, s1, -v47
	v_fmamk_f32 v47, v46, 0x32a5705f, v47
	v_add_f32_e32 v47, v49, v47
	v_exp_f32_e32 v47, v47
	v_cvt_i32_f32_e32 v48, v48
	s_mov_b32 s1, 0xc2ce8ed0
	v_cmp_ngt_f32_e32 vcc, s1, v46
	s_mov_b32 s1, 0x42b17218
	v_ldexp_f32 v47, v47, v48
	v_cndmask_b32_e32 v47, 0, v47, vcc
	v_mov_b32_e32 v48, 0x7f800000
	v_cmp_nlt_f32_e32 vcc, s1, v46
	s_nop 1
	v_cndmask_b32_e32 v46, v48, v47, vcc
	v_add_f32_e32 v46, 1.0, v46
	v_rcp_f32_e32 v46, v46
	s_nop 0
	v_fma_f32 v46, v46, -2.0, 1.0
.LBB25_806:
	s_andn2_saveexec_b64 s[4:5], s[4:5]
; %bb.807:
	v_mul_f32_e32 v46, v1, v1
	v_mov_b32_e32 v47, 0x3ca908c9
	v_fmac_f32_e32 v47, 0xbbbac73d, v46
	v_fmaak_f32 v47, v46, v47, 0xbd5c1c4e
	v_fmaak_f32 v47, v46, v47, 0x3e088382
	;; [unrolled: 1-line block ×3, first 2 shown]
	v_mul_f32_e64 v47, |v1|, v47
	v_fma_f32 v46, v46, v47, |v1|
; %bb.808:
	s_or_b64 exec, exec, s[4:5]
	s_mov_b32 s1, 0x3f200000
	v_cmp_nlt_f32_e64 s[4:5], |v2|, s1
                                        ; implicit-def: $vgpr47
	s_and_saveexec_b64 s[6:7], s[4:5]
	s_xor_b64 s[4:5], exec, s[6:7]
	s_cbranch_execz .LBB25_810
; %bb.809:
	v_add_f32_e64 v47, |v2|, |v2|
	v_mul_f32_e32 v48, 0x3fb8aa3b, v47
	s_mov_b32 s1, 0x3fb8aa3b
	v_rndne_f32_e32 v49, v48
	v_sub_f32_e32 v50, v48, v49
	v_fma_f32 v48, v47, s1, -v48
	v_fmamk_f32 v48, v47, 0x32a5705f, v48
	v_add_f32_e32 v48, v50, v48
	v_exp_f32_e32 v48, v48
	v_cvt_i32_f32_e32 v49, v49
	s_mov_b32 s1, 0xc2ce8ed0
	v_cmp_ngt_f32_e32 vcc, s1, v47
	s_mov_b32 s1, 0x42b17218
	v_ldexp_f32 v48, v48, v49
	v_cndmask_b32_e32 v48, 0, v48, vcc
	v_mov_b32_e32 v49, 0x7f800000
	v_cmp_nlt_f32_e32 vcc, s1, v47
	s_nop 1
	v_cndmask_b32_e32 v47, v49, v48, vcc
	v_add_f32_e32 v47, 1.0, v47
	v_rcp_f32_e32 v47, v47
	s_nop 0
	v_fma_f32 v47, v47, -2.0, 1.0
.LBB25_810:
	s_andn2_saveexec_b64 s[4:5], s[4:5]
; %bb.811:
	v_mul_f32_e32 v47, v2, v2
	v_mov_b32_e32 v48, 0x3ca908c9
	v_fmac_f32_e32 v48, 0xbbbac73d, v47
	v_fmaak_f32 v48, v47, v48, 0xbd5c1c4e
	v_fmaak_f32 v48, v47, v48, 0x3e088382
	;; [unrolled: 1-line block ×3, first 2 shown]
	v_mul_f32_e64 v48, |v2|, v48
	v_fma_f32 v47, v47, v48, |v2|
; %bb.812:
	s_or_b64 exec, exec, s[4:5]
	s_mov_b32 s1, 0x3f200000
	v_cmp_nlt_f32_e64 s[4:5], |v3|, s1
                                        ; implicit-def: $vgpr48
	s_and_saveexec_b64 s[6:7], s[4:5]
	s_xor_b64 s[4:5], exec, s[6:7]
	s_cbranch_execz .LBB25_814
; %bb.813:
	v_add_f32_e64 v48, |v3|, |v3|
	v_mul_f32_e32 v49, 0x3fb8aa3b, v48
	s_mov_b32 s1, 0x3fb8aa3b
	v_rndne_f32_e32 v50, v49
	v_sub_f32_e32 v51, v49, v50
	v_fma_f32 v49, v48, s1, -v49
	v_fmamk_f32 v49, v48, 0x32a5705f, v49
	v_add_f32_e32 v49, v51, v49
	v_exp_f32_e32 v49, v49
	v_cvt_i32_f32_e32 v50, v50
	s_mov_b32 s1, 0xc2ce8ed0
	v_cmp_ngt_f32_e32 vcc, s1, v48
	s_mov_b32 s1, 0x42b17218
	v_ldexp_f32 v49, v49, v50
	v_cndmask_b32_e32 v49, 0, v49, vcc
	v_mov_b32_e32 v50, 0x7f800000
	v_cmp_nlt_f32_e32 vcc, s1, v48
	s_nop 1
	v_cndmask_b32_e32 v48, v50, v49, vcc
	v_add_f32_e32 v48, 1.0, v48
	v_rcp_f32_e32 v48, v48
	s_nop 0
	v_fma_f32 v48, v48, -2.0, 1.0
.LBB25_814:
	s_andn2_saveexec_b64 s[4:5], s[4:5]
; %bb.815:
	v_mul_f32_e32 v48, v3, v3
	v_mov_b32_e32 v49, 0x3ca908c9
	v_fmac_f32_e32 v49, 0xbbbac73d, v48
	v_fmaak_f32 v49, v48, v49, 0xbd5c1c4e
	v_fmaak_f32 v49, v48, v49, 0x3e088382
	;; [unrolled: 1-line block ×3, first 2 shown]
	v_mul_f32_e64 v49, |v3|, v49
	v_fma_f32 v48, v48, v49, |v3|
; %bb.816:
	s_or_b64 exec, exec, s[4:5]
	s_brev_b32 s1, -2
	v_bfi_b32 v1, s1, v46, v1
	v_bfi_b32 v46, s1, v47, v2
	v_and_or_b32 v2, v80, 12, v154
	v_bfi_b32 v45, s1, v45, v0
	v_bfi_b32 v15, s1, v44, v15
	;; [unrolled: 1-line block ×14, first 2 shown]
	v_lshrrev_b32_e32 v2, 2, v2
	s_movk_i32 s1, 0x90
	v_and_b32_e32 v0, 0xfc, v85
	v_mad_u32_u24 v2, v2, s1, 0
	v_lshl_add_u32 v25, v0, 1, v2
	v_add_u32_e32 v2, v2, v92
	v_add_u32_e32 v3, 0x4420, v25
	;; [unrolled: 1-line block ×3, first 2 shown]
	ds_read_b32 v26, v25 offset:17408
	ds_read_b32 v27, v2 offset:17408
	ds_read2_b32 v[2:3], v3 offset1:1
	ds_read2_b32 v[4:5], v4 offset1:1
	s_mov_b32 s5, 0x3fb8aa3b
	s_mov_b32 s4, 0xc2ce8ed0
	s_waitcnt lgkmcnt(2)
	v_fma_mix_f32 v6, s33, v6, v27 op_sel_hi:[0,0,1]
	s_waitcnt lgkmcnt(1)
	v_fma_mix_f32 v8, s33, v8, v2 op_sel_hi:[0,0,1]
	v_fma_mix_f32 v9, s33, v9, v2 op_sel:[0,0,1] op_sel_hi:[0,0,1]
	v_add_u32_e32 v2, 0x4460, v25
	v_fma_mix_f32 v10, s33, v10, v3 op_sel_hi:[0,0,1]
	v_fma_mix_f32 v11, s33, v11, v3 op_sel:[0,0,1] op_sel_hi:[0,0,1]
	ds_read2_b32 v[2:3], v2 offset1:1
	v_fma_mix_f32 v22, s33, v22, v26 op_sel_hi:[0,0,1]
	v_fma_mix_f32 v23, s33, v23, v26 op_sel:[0,0,1] op_sel_hi:[0,0,1]
	v_fma_mix_f32 v7, s33, v7, v27 op_sel:[0,0,1] op_sel_hi:[0,0,1]
	s_waitcnt lgkmcnt(1)
	v_fma_mix_f32 v14, s33, v14, v5 op_sel_hi:[0,0,1]
	v_fma_mix_f32 v5, s33, v15, v5 op_sel:[0,0,1] op_sel_hi:[0,0,1]
	s_waitcnt lgkmcnt(0)
	v_fma_mix_f32 v15, s33, v45, v2 op_sel_hi:[0,0,1]
	v_fma_mix_f32 v1, s33, v1, v2 op_sel:[0,0,1] op_sel_hi:[0,0,1]
	v_fma_mix_f32 v55, s33, v46, v3 op_sel_hi:[0,0,1]
	v_fma_mix_f32 v56, s33, v24, v3 op_sel:[0,0,1] op_sel_hi:[0,0,1]
	v_add_f32_e32 v2, 0x40051340, v22
	v_add_f32_e32 v3, 0x40051340, v23
	v_fma_mix_f32 v12, s33, v12, v4 op_sel_hi:[0,0,1]
	v_fma_mix_f32 v13, s33, v13, v4 op_sel:[0,0,1] op_sel_hi:[0,0,1]
	v_max3_f32 v2, v93, v2, v3
	v_add_f32_e32 v3, 0x40051340, v6
	v_add_f32_e32 v4, 0x40051340, v7
	v_max3_f32 v2, v2, v3, v4
	v_add_f32_e32 v3, 0x40051340, v8
	v_add_f32_e32 v4, 0x40051340, v9
	;; [unrolled: 3-line block ×7, first 2 shown]
	v_max3_f32 v2, v2, v3, v4
	v_mbcnt_hi_u32_b32 v3, -1, v155
	v_and_b32_e32 v4, 64, v3
	v_add_u32_e32 v4, 64, v4
	v_xor_b32_e32 v24, 32, v3
	v_cmp_lt_i32_e32 vcc, v24, v4
	s_mov_b32 s1, 0x42b17218
	s_mul_hi_i32 s7, s0, s26
	v_cndmask_b32_e32 v24, v3, v24, vcc
	v_lshlrev_b32_e32 v44, 2, v24
	ds_bpermute_b32 v24, v44, v2
	s_mul_i32 s6, s0, s26
	s_lshl_b64 s[6:7], s[6:7], 2
	s_add_u32 s2, s2, s6
	s_addc_u32 s3, s3, s7
	s_waitcnt lgkmcnt(0)
	v_max_f32_e32 v24, v24, v24
	v_max_f32_e32 v2, v2, v24
	v_xor_b32_e32 v24, 16, v3
	v_cmp_lt_i32_e32 vcc, v24, v4
	s_mov_b32 s0, 0xc1a00000
	v_mul_u32_u24_e32 v0, 0x110, v0
	v_cndmask_b32_e32 v3, v3, v24, vcc
	v_lshlrev_b32_e32 v45, 2, v3
	ds_bpermute_b32 v3, v45, v2
	s_waitcnt lgkmcnt(0)
	v_max_f32_e32 v3, v3, v3
	v_max_f32_e32 v32, v2, v3
	v_sub_f32_e32 v2, v22, v32
	v_mul_f32_e32 v3, 0x3fb8aa3b, v2
	v_fma_f32 v4, v2, s5, -v3
	v_rndne_f32_e32 v22, v3
	v_fmac_f32_e32 v4, 0x32a5705f, v2
	v_sub_f32_e32 v3, v3, v22
	v_add_f32_e32 v3, v3, v4
	v_exp_f32_e32 v3, v3
	v_cvt_i32_f32_e32 v4, v22
	v_sub_f32_e32 v22, v23, v32
	v_cmp_ngt_f32_e32 vcc, s4, v2
	v_sub_f32_e32 v5, v5, v32
	v_ldexp_f32 v3, v3, v4
	v_mul_f32_e32 v4, 0x3fb8aa3b, v22
	v_fma_f32 v23, v22, s5, -v4
	v_rndne_f32_e32 v24, v4
	v_fmac_f32_e32 v23, 0x32a5705f, v22
	v_sub_f32_e32 v4, v4, v24
	v_add_f32_e32 v4, v4, v23
	v_exp_f32_e32 v23, v4
	v_cvt_i32_f32_e32 v25, v24
	v_cndmask_b32_e32 v3, 0, v3, vcc
	v_mov_b32_e32 v4, 0x7f800000
	v_cmp_nlt_f32_e32 vcc, s1, v2
	v_ldexp_f32 v2, v23, v25
	v_sub_f32_e32 v1, v1, v32
	v_cndmask_b32_e32 v24, v4, v3, vcc
	v_sub_f32_e32 v3, v6, v32
	v_mul_f32_e32 v6, 0x3fb8aa3b, v3
	v_fma_f32 v23, v3, s5, -v6
	v_rndne_f32_e32 v25, v6
	v_fmac_f32_e32 v23, 0x32a5705f, v3
	v_sub_f32_e32 v6, v6, v25
	v_add_f32_e32 v6, v6, v23
	v_exp_f32_e32 v6, v6
	v_cvt_i32_f32_e32 v23, v25
	v_cmp_ngt_f32_e32 vcc, s4, v22
	s_nop 1
	v_cndmask_b32_e32 v2, 0, v2, vcc
	v_cmp_nlt_f32_e32 vcc, s1, v22
	s_nop 1
	v_cndmask_b32_e32 v25, v4, v2, vcc
	v_ldexp_f32 v2, v6, v23
	v_sub_f32_e32 v6, v7, v32
	v_mul_f32_e32 v7, 0x3fb8aa3b, v6
	v_fma_f32 v22, v6, s5, -v7
	v_rndne_f32_e32 v23, v7
	v_fmac_f32_e32 v22, 0x32a5705f, v6
	v_sub_f32_e32 v7, v7, v23
	v_add_f32_e32 v7, v7, v22
	v_exp_f32_e32 v7, v7
	v_cvt_i32_f32_e32 v22, v23
	v_cmp_ngt_f32_e32 vcc, s4, v3
	v_sub_f32_e32 v23, v15, v32
	v_mul_f32_e32 v53, 0x3fb8aa3b, v23
	v_cndmask_b32_e32 v2, 0, v2, vcc
	v_cmp_nlt_f32_e32 vcc, s1, v3
	v_sub_f32_e32 v3, v8, v32
	v_fma_f32 v54, v23, s5, -v53
	v_cndmask_b32_e32 v26, v4, v2, vcc
	v_ldexp_f32 v2, v7, v22
	v_mul_f32_e32 v7, 0x3fb8aa3b, v3
	v_fma_f32 v8, v3, s5, -v7
	v_rndne_f32_e32 v22, v7
	v_fmac_f32_e32 v8, 0x32a5705f, v3
	v_sub_f32_e32 v7, v7, v22
	v_add_f32_e32 v7, v7, v8
	v_exp_f32_e32 v7, v7
	v_cvt_i32_f32_e32 v8, v22
	v_cmp_ngt_f32_e32 vcc, s4, v6
	v_fmac_f32_e32 v54, 0x32a5705f, v23
	s_nop 0
	v_cndmask_b32_e32 v2, 0, v2, vcc
	v_cmp_nlt_f32_e32 vcc, s1, v6
	v_sub_f32_e32 v6, v9, v32
	s_nop 0
	v_cndmask_b32_e32 v27, v4, v2, vcc
	v_ldexp_f32 v2, v7, v8
	v_mul_f32_e32 v7, 0x3fb8aa3b, v6
	v_fma_f32 v8, v6, s5, -v7
	v_rndne_f32_e32 v9, v7
	v_fmac_f32_e32 v8, 0x32a5705f, v6
	v_sub_f32_e32 v7, v7, v9
	v_add_f32_e32 v7, v7, v8
	v_exp_f32_e32 v7, v7
	v_cvt_i32_f32_e32 v8, v9
	v_cmp_ngt_f32_e32 vcc, s4, v3
	s_nop 1
	v_cndmask_b32_e32 v2, 0, v2, vcc
	v_cmp_nlt_f32_e32 vcc, s1, v3
	v_sub_f32_e32 v3, v10, v32
	v_mul_lo_u32 v10, v89, s26
	v_cndmask_b32_e32 v46, v4, v2, vcc
	v_ldexp_f32 v2, v7, v8
	v_mul_f32_e32 v7, 0x3fb8aa3b, v3
	v_fma_f32 v8, v3, s5, -v7
	v_rndne_f32_e32 v9, v7
	v_fmac_f32_e32 v8, 0x32a5705f, v3
	v_sub_f32_e32 v7, v7, v9
	v_add_f32_e32 v7, v7, v8
	v_exp_f32_e32 v7, v7
	v_cvt_i32_f32_e32 v8, v9
	v_cmp_ngt_f32_e32 vcc, s4, v6
	s_nop 1
	v_cndmask_b32_e32 v2, 0, v2, vcc
	v_cmp_nlt_f32_e32 vcc, s1, v6
	v_sub_f32_e32 v6, v11, v32
	v_ashrrev_i32_e32 v11, 31, v10
	v_cndmask_b32_e32 v47, v4, v2, vcc
	v_ldexp_f32 v2, v7, v8
	v_mul_f32_e32 v7, 0x3fb8aa3b, v6
	v_fma_f32 v8, v6, s5, -v7
	v_rndne_f32_e32 v9, v7
	v_fmac_f32_e32 v8, 0x32a5705f, v6
	v_sub_f32_e32 v7, v7, v9
	v_add_f32_e32 v7, v7, v8
	v_exp_f32_e32 v7, v7
	v_cvt_i32_f32_e32 v8, v9
	v_cmp_ngt_f32_e32 vcc, s4, v3
	v_lshl_add_u64 v[10:11], v[10:11], 2, s[2:3]
	v_lshl_add_u64 v[10:11], v[10:11], 0, v[16:17]
	v_cndmask_b32_e32 v2, 0, v2, vcc
	v_cmp_nlt_f32_e32 vcc, s1, v3
	v_sub_f32_e32 v3, v12, v32
	s_nop 0
	v_cndmask_b32_e32 v48, v4, v2, vcc
	v_ldexp_f32 v2, v7, v8
	v_mul_f32_e32 v7, 0x3fb8aa3b, v3
	v_fma_f32 v8, v3, s5, -v7
	v_rndne_f32_e32 v9, v7
	v_fmac_f32_e32 v8, 0x32a5705f, v3
	v_sub_f32_e32 v7, v7, v9
	v_add_f32_e32 v7, v7, v8
	v_exp_f32_e32 v7, v7
	v_cvt_i32_f32_e32 v8, v9
	v_cmp_ngt_f32_e32 vcc, s4, v6
	s_nop 1
	v_cndmask_b32_e32 v2, 0, v2, vcc
	v_cmp_nlt_f32_e32 vcc, s1, v6
	v_sub_f32_e32 v6, v13, v32
	s_nop 0
	v_cndmask_b32_e32 v49, v4, v2, vcc
	v_ldexp_f32 v2, v7, v8
	v_mul_f32_e32 v7, 0x3fb8aa3b, v6
	v_fma_f32 v8, v6, s5, -v7
	v_rndne_f32_e32 v9, v7
	v_fmac_f32_e32 v8, 0x32a5705f, v6
	v_sub_f32_e32 v7, v7, v9
	v_add_f32_e32 v7, v7, v8
	v_exp_f32_e32 v7, v7
	v_cvt_i32_f32_e32 v8, v9
	v_cmp_ngt_f32_e32 vcc, s4, v3
	s_nop 1
	;; [unrolled: 16-line block ×3, first 2 shown]
	v_cndmask_b32_e32 v2, 0, v2, vcc
	v_cmp_nlt_f32_e32 vcc, s1, v6
	v_mul_f32_e32 v6, 0x3fb8aa3b, v5
	s_nop 0
	v_cndmask_b32_e32 v51, v4, v2, vcc
	v_ldexp_f32 v2, v7, v8
	v_fma_f32 v7, v5, s5, -v6
	v_rndne_f32_e32 v8, v6
	v_fmac_f32_e32 v7, 0x32a5705f, v5
	v_sub_f32_e32 v6, v6, v8
	v_add_f32_e32 v6, v6, v7
	v_exp_f32_e32 v6, v6
	v_cvt_i32_f32_e32 v7, v8
	v_cmp_ngt_f32_e32 vcc, s4, v3
	v_mul_lo_u32 v8, v88, s26
	v_ashrrev_i32_e32 v9, 31, v8
	v_cndmask_b32_e32 v2, 0, v2, vcc
	v_cmp_nlt_f32_e32 vcc, s1, v3
	v_ldexp_f32 v22, v6, v7
	v_mul_lo_u32 v6, v87, s26
	v_cndmask_b32_e32 v52, v4, v2, vcc
	v_mul_lo_u32 v2, v86, s26
	v_ashrrev_i32_e32 v3, 31, v2
	v_lshl_add_u64 v[2:3], v[2:3], 2, s[2:3]
	v_ashrrev_i32_e32 v7, 31, v6
	v_lshl_add_u64 v[2:3], v[2:3], 0, v[16:17]
	v_lshl_add_u64 v[6:7], v[6:7], 2, s[2:3]
	;; [unrolled: 1-line block ×5, first 2 shown]
	global_load_dwordx4 v[12:15], v[2:3], off
	global_load_dwordx4 v[28:31], v[6:7], off
	;; [unrolled: 1-line block ×4, first 2 shown]
	v_rndne_f32_e32 v2, v53
	v_sub_f32_e32 v3, v53, v2
	v_add_f32_e32 v3, v3, v54
	v_exp_f32_e32 v3, v3
	v_cvt_i32_f32_e32 v2, v2
	v_cmp_ngt_f32_e32 vcc, s4, v5
	v_sub_f32_e32 v8, v93, v32
	v_mul_f32_e32 v9, 0x3fb8aa3b, v8
	v_cndmask_b32_e32 v6, 0, v22, vcc
	v_cmp_nlt_f32_e32 vcc, s1, v5
	v_ldexp_f32 v2, v3, v2
	v_mul_f32_e32 v3, 0x3fb8aa3b, v1
	v_cndmask_b32_e32 v53, v4, v6, vcc
	v_fma_f32 v5, v1, s5, -v3
	v_rndne_f32_e32 v6, v3
	v_fmac_f32_e32 v5, 0x32a5705f, v1
	v_sub_f32_e32 v3, v3, v6
	v_add_f32_e32 v3, v3, v5
	v_exp_f32_e32 v3, v3
	v_cvt_i32_f32_e32 v5, v6
	v_cmp_ngt_f32_e32 vcc, s4, v23
	v_fma_f32 v10, v8, s5, -v9
	v_rndne_f32_e32 v11, v9
	v_cndmask_b32_e32 v2, 0, v2, vcc
	v_cmp_nlt_f32_e32 vcc, s1, v23
	v_fmac_f32_e32 v10, 0x32a5705f, v8
	v_sub_f32_e32 v9, v9, v11
	v_cndmask_b32_e32 v54, v4, v2, vcc
	v_ldexp_f32 v2, v3, v5
	v_sub_f32_e32 v3, v55, v32
	v_mul_f32_e32 v5, 0x3fb8aa3b, v3
	v_fma_f32 v6, v3, s5, -v5
	v_rndne_f32_e32 v7, v5
	v_fmac_f32_e32 v6, 0x32a5705f, v3
	v_sub_f32_e32 v5, v5, v7
	v_add_f32_e32 v5, v5, v6
	v_exp_f32_e32 v5, v5
	v_cvt_i32_f32_e32 v6, v7
	v_cmp_ngt_f32_e32 vcc, s4, v1
	v_add_f32_e32 v9, v9, v10
	v_sub_f32_e32 v7, v56, v32
	v_cndmask_b32_e32 v2, 0, v2, vcc
	v_cmp_nlt_f32_e32 vcc, s1, v1
	v_exp_f32_e32 v9, v9
	v_cvt_i32_f32_e32 v10, v11
	v_cndmask_b32_e32 v55, v4, v2, vcc
	v_mul_f32_e32 v2, 0x3fb8aa3b, v7
	v_ldexp_f32 v1, v5, v6
	v_fma_f32 v5, v7, s5, -v2
	v_rndne_f32_e32 v6, v2
	v_cmp_ngt_f32_e32 vcc, s4, v3
	v_fmac_f32_e32 v5, 0x32a5705f, v7
	v_sub_f32_e32 v2, v2, v6
	v_cndmask_b32_e32 v1, 0, v1, vcc
	v_add_f32_e32 v2, v2, v5
	v_cvt_i32_f32_e32 v5, v6
	v_ldexp_f32 v6, v9, v10
	v_cmp_ngt_f32_e32 vcc, s4, v8
	v_exp_f32_e32 v2, v2
	s_waitcnt vmcnt(3)
	ds_write_b128 v18, v[12:15]
	s_waitcnt vmcnt(2)
	ds_write_b128 v19, v[28:31]
	;; [unrolled: 2-line block ×4, first 2 shown]
	v_cndmask_b32_e32 v6, 0, v6, vcc
	v_cmp_nlt_f32_e32 vcc, s1, v8
	v_ldexp_f32 v10, v2, v5
	v_or_b32_e32 v2, 3, v85
	v_cndmask_b32_e32 v6, v4, v6, vcc
	v_cmp_le_f32_e32 vcc, s0, v8
	v_mul_u32_u24_e32 v2, 0x110, v2
	v_add3_u32 v5, 0, v0, v84
	v_cndmask_b32_e32 v56, 0, v6, vcc
	v_cvt_f16_f32_e32 v6, v56
	s_waitcnt lgkmcnt(0)
	s_barrier
	v_mul_u32_u24_e32 v58, 0x10001, v6
	v_add3_u32 v6, 0, v2, v84
	s_mov_b32 s0, 0x5040100
	ds_read_u16 v11, v5 offset:544
	ds_read_u16 v8, v5 offset:576
	;; [unrolled: 1-line block ×8, first 2 shown]
	ds_read_u16 v13, v6
	ds_read_u16 v17, v6 offset:32
	ds_read_u16 v18, v6 offset:64
	ds_read_u16 v19, v6 offset:96
	ds_read_u16 v21, v6 offset:128
	ds_read_u16 v65, v6 offset:160
	ds_read_u16 v66, v6 offset:192
	ds_read_u16 v67, v6 offset:224
	v_cmp_nlt_f32_e32 vcc, s1, v3
	s_waitcnt lgkmcnt(7)
	v_perm_b32 v15, v13, v11, s0
	ds_read_u16 v11, v5
	ds_read_u16 v13, v5 offset:32
	ds_read_u16 v22, v5 offset:64
	;; [unrolled: 1-line block ×15, first 2 shown]
	v_cndmask_b32_e32 v57, v4, v1, vcc
	v_pk_mul_f16 v1, v37, v58
	v_pk_mul_f16 v3, v35, v58
	s_waitcnt lgkmcnt(7)
	v_perm_b32 v14, v14, v11, s0
	v_cvt_f32_f16_e32 v0, v1
	v_cvt_f32_f16_sdwa v1, v1 dst_sel:DWORD dst_unused:UNUSED_PAD src0_sel:WORD_1
	v_cvt_f32_f16_e32 v2, v3
	v_cvt_f32_f16_sdwa v3, v3 dst_sel:DWORD dst_unused:UNUSED_PAD src0_sel:WORD_1
	v_cvt_pk_f16_f32 v29, v26, v27
	v_cvt_pk_f16_f32 v28, v24, v25
	v_cmp_ngt_f32_e32 vcc, s4, v7
	v_pk_mul_f16 v157, v34, v58
	v_mfma_f32_16x16x16_f16 v[0:3], v[14:15], v[28:29], v[0:3]
	v_cndmask_b32_e32 v30, 0, v10, vcc
	ds_read_u16 v10, v5 offset:4896
	ds_read_u16 v14, v5 offset:4928
	;; [unrolled: 1-line block ×16, first 2 shown]
	s_waitcnt lgkmcnt(7)
	v_perm_b32 v11, v11, v10, s0
	v_cvt_f16_f32_e32 v0, v0
	v_cvt_f16_f32_e32 v1, v1
	v_cvt_f16_f32_e32 v2, v2
	v_cvt_f16_f32_e32 v3, v3
	ds_read_u16 v10, v5 offset:4352
	ds_read_u16 v62, v5 offset:4384
	;; [unrolled: 1-line block ×16, first 2 shown]
	s_waitcnt lgkmcnt(7)
	v_perm_b32 v10, v31, v10, s0
	v_cvt_f32_f16_e32 v0, v0
	v_cvt_f32_f16_e32 v1, v1
	;; [unrolled: 1-line block ×4, first 2 shown]
	v_cmp_nlt_f32_e32 vcc, s1, v7
	v_cvt_pk_f16_f32 v31, v48, v49
	v_cvt_pk_f16_f32 v35, v52, v53
	v_cndmask_b32_e32 v111, v4, v30, vcc
	v_cvt_pk_f16_f32 v30, v46, v47
	ds_read_u16 v4, v5 offset:9248
	ds_read_u16 v112, v5 offset:9280
	;; [unrolled: 1-line block ×16, first 2 shown]
	v_mfma_f32_16x16x16_f16 v[0:3], v[10:11], v[30:31], v[0:3]
	s_waitcnt lgkmcnt(7)
	v_perm_b32 v11, v7, v4, s0
	ds_read_u16 v4, v5 offset:8704
	ds_read_u16 v126, v5 offset:8736
	;; [unrolled: 1-line block ×16, first 2 shown]
	s_waitcnt lgkmcnt(7)
	v_perm_b32 v10, v7, v4, s0
	v_cvt_f16_f32_e32 v0, v0
	v_cvt_f16_f32_e32 v1, v1
	v_cvt_f16_f32_e32 v2, v2
	v_cvt_f16_f32_e32 v3, v3
	v_cvt_f32_f16_e32 v0, v0
	v_cvt_f32_f16_e32 v1, v1
	;; [unrolled: 1-line block ×4, first 2 shown]
	v_cvt_pk_f16_f32 v34, v50, v51
	ds_read_u16 v4, v5 offset:13600
	ds_read_u16 v158, v5 offset:13632
	;; [unrolled: 1-line block ×16, first 2 shown]
	v_mfma_f32_16x16x16_f16 v[0:3], v[10:11], v[34:35], v[0:3]
	s_waitcnt lgkmcnt(7)
	v_perm_b32 v7, v7, v4, s0
	ds_read_u16 v4, v5 offset:13056
	ds_read_u16 v172, v5 offset:13088
	;; [unrolled: 1-line block ×16, first 2 shown]
	s_waitcnt lgkmcnt(7)
	v_perm_b32 v6, v6, v4, s0
	v_cvt_f16_f32_e32 v0, v0
	v_cvt_f16_f32_e32 v1, v1
	;; [unrolled: 1-line block ×4, first 2 shown]
	v_cvt_f32_f16_e32 v0, v0
	v_cvt_f32_f16_e32 v1, v1
	v_cvt_f32_f16_e32 v2, v2
	v_cvt_f32_f16_e32 v3, v3
	v_pk_mul_f16 v186, v36, v58
	v_cvt_pk_f16_f32 v37, v57, v111
	v_cvt_pk_f16_f32 v36, v54, v55
	v_perm_b32 v11, v17, v8, s0
	v_perm_b32 v10, v60, v13, s0
	v_mfma_f32_16x16x16_f16 v[0:3], v[6:7], v[36:37], v[0:3]
	v_cvt_f32_f16_e32 v4, v157
	v_cvt_f32_f16_sdwa v5, v157 dst_sel:DWORD dst_unused:UNUSED_PAD src0_sel:WORD_1
	v_cvt_f32_f16_e32 v6, v186
	v_cvt_f32_f16_sdwa v7, v186 dst_sel:DWORD dst_unused:UNUSED_PAD src0_sel:WORD_1
	v_pk_mul_f16 v8, v104, v58
	v_pk_mul_f16 v13, v103, v58
	v_mfma_f32_16x16x16_f16 v[4:7], v[10:11], v[28:29], v[4:7]
	v_perm_b32 v11, v61, v14, s0
	v_perm_b32 v10, v102, v62, s0
	v_cvt_f32_f16_e32 v60, v8
	v_cvt_f32_f16_sdwa v61, v8 dst_sel:DWORD dst_unused:UNUSED_PAD src0_sel:WORD_1
	s_nop 3
	v_cvt_f16_f32_e32 v4, v4
	v_cvt_f16_f32_e32 v5, v5
	;; [unrolled: 1-line block ×4, first 2 shown]
	v_cvt_f32_f16_e32 v4, v4
	v_cvt_f32_f16_e32 v5, v5
	;; [unrolled: 1-line block ×4, first 2 shown]
	v_perm_b32 v9, v18, v9, s0
	v_perm_b32 v8, v63, v22, s0
	v_mfma_f32_16x16x16_f16 v[4:7], v[10:11], v[30:31], v[4:7]
	v_perm_b32 v11, v119, v112, s0
	v_perm_b32 v10, v133, v126, s0
	v_cvt_f32_f16_e32 v62, v13
	v_cvt_f32_f16_sdwa v63, v13 dst_sel:DWORD dst_unused:UNUSED_PAD src0_sel:WORD_1
	s_nop 3
	v_cvt_f16_f32_e32 v4, v4
	v_cvt_f16_f32_e32 v5, v5
	;; [unrolled: 1-line block ×4, first 2 shown]
	v_cvt_f32_f16_e32 v4, v4
	v_cvt_f32_f16_e32 v5, v5
	;; [unrolled: 1-line block ×4, first 2 shown]
	v_perm_b32 v15, v87, v15, s0
	v_perm_b32 v14, v105, v96, s0
	v_mfma_f32_16x16x16_f16 v[4:7], v[10:11], v[34:35], v[4:7]
	v_perm_b32 v11, v165, v158, s0
	s_waitcnt lgkmcnt(6)
	v_perm_b32 v10, v179, v172, s0
	v_pk_mul_f16 v13, v95, v58
	v_pk_mul_f16 v17, v43, v58
	s_nop 2
	v_cvt_f16_f32_e32 v4, v4
	v_cvt_f16_f32_e32 v5, v5
	;; [unrolled: 1-line block ×4, first 2 shown]
	v_cvt_f32_f16_e32 v4, v4
	v_cvt_f32_f16_e32 v5, v5
	;; [unrolled: 1-line block ×4, first 2 shown]
	v_perm_b32 v18, v106, v97, s0
	v_pk_mul_f16 v22, v33, v58
	v_mfma_f32_16x16x16_f16 v[4:7], v[10:11], v[36:37], v[4:7]
	v_pk_mul_f16 v33, v38, v58
	v_perm_b32 v38, v108, v99, s0
	v_perm_b32 v43, v66, v59, s0
	v_mfma_f32_16x16x16_f16 v[8:11], v[8:9], v[28:29], v[60:63]
	v_add_f32_e32 v24, v24, v25
	v_add_f32_e32 v26, v26, v24
	v_add_f32_e32 v26, v27, v26
	v_cvt_f32_f16_e32 v60, v13
	v_cvt_f32_f16_sdwa v61, v13 dst_sel:DWORD dst_unused:UNUSED_PAD src0_sel:WORD_1
	s_nop 2
	v_cvt_f16_f32_e32 v8, v8
	v_cvt_f16_f32_e32 v9, v9
	;; [unrolled: 1-line block ×4, first 2 shown]
	v_cvt_f32_f16_e32 v8, v8
	v_cvt_f32_f16_e32 v9, v9
	;; [unrolled: 1-line block ×4, first 2 shown]
	v_perm_b32 v13, v19, v12, s0
	v_perm_b32 v12, v72, v23, s0
	v_mfma_f32_16x16x16_f16 v[8:11], v[14:15], v[30:31], v[8:11]
	v_perm_b32 v15, v120, v113, s0
	v_perm_b32 v14, v134, v127, s0
	v_cvt_f32_f16_e32 v62, v17
	v_cvt_f32_f16_sdwa v63, v17 dst_sel:DWORD dst_unused:UNUSED_PAD src0_sel:WORD_1
	s_nop 3
	v_cvt_f16_f32_e32 v8, v8
	v_cvt_f16_f32_e32 v9, v9
	;; [unrolled: 1-line block ×4, first 2 shown]
	v_cvt_f32_f16_e32 v8, v8
	v_cvt_f32_f16_e32 v9, v9
	;; [unrolled: 1-line block ×4, first 2 shown]
	v_perm_b32 v19, v88, v78, s0
	v_pk_mul_f16 v17, v39, v58
	v_mfma_f32_16x16x16_f16 v[8:11], v[14:15], v[34:35], v[8:11]
	v_perm_b32 v15, v166, v159, s0
	s_waitcnt lgkmcnt(5)
	v_perm_b32 v14, v180, v173, s0
	v_perm_b32 v23, v89, v79, s0
	v_perm_b32 v39, v92, v84, s0
	s_nop 2
	v_cvt_f16_f32_e32 v8, v8
	v_cvt_f16_f32_e32 v9, v9
	;; [unrolled: 1-line block ×4, first 2 shown]
	v_cvt_f32_f16_e32 v8, v8
	v_cvt_f32_f16_e32 v9, v9
	;; [unrolled: 1-line block ×4, first 2 shown]
	v_add_f32_e32 v26, v46, v26
	s_mov_b32 s1, 0
	v_mfma_f32_16x16x16_f16 v[8:11], v[14:15], v[36:37], v[8:11]
	s_movk_i32 s2, 0x110
	v_cmp_gt_u32_e32 vcc, 16, v80
	s_waitcnt lgkmcnt(0)
	v_mfma_f32_16x16x16_f16 v[12:15], v[12:13], v[28:29], v[60:63]
	s_barrier
	s_nop 1
	v_cvt_f32_f16_e32 v60, v17
	v_cvt_f32_f16_sdwa v61, v17 dst_sel:DWORD dst_unused:UNUSED_PAD src0_sel:WORD_1
	s_nop 2
	v_cvt_f16_f32_e32 v12, v12
	v_cvt_f16_f32_e32 v13, v13
	;; [unrolled: 1-line block ×4, first 2 shown]
	v_cvt_f32_f16_e32 v12, v12
	v_cvt_f32_f16_e32 v13, v13
	;; [unrolled: 1-line block ×4, first 2 shown]
	v_perm_b32 v17, v21, v16, s0
	v_perm_b32 v16, v73, v68, s0
	v_mfma_f32_16x16x16_f16 v[12:15], v[18:19], v[30:31], v[12:15]
	v_perm_b32 v19, v121, v114, s0
	v_perm_b32 v18, v135, v128, s0
	v_cvt_f32_f16_e32 v62, v22
	v_cvt_f32_f16_sdwa v63, v22 dst_sel:DWORD dst_unused:UNUSED_PAD src0_sel:WORD_1
	s_nop 3
	v_cvt_f16_f32_e32 v12, v12
	v_cvt_f16_f32_e32 v13, v13
	;; [unrolled: 1-line block ×4, first 2 shown]
	v_cvt_f32_f16_e32 v12, v12
	v_cvt_f32_f16_e32 v13, v13
	;; [unrolled: 1-line block ×4, first 2 shown]
	v_perm_b32 v22, v107, v98, s0
	v_pk_mul_f16 v21, v42, v58
	v_mfma_f32_16x16x16_f16 v[12:15], v[18:19], v[34:35], v[12:15]
	v_perm_b32 v19, v167, v160, s0
	v_perm_b32 v18, v181, v174, s0
	;; [unrolled: 1-line block ×3, first 2 shown]
	s_barrier
	s_nop 3
	v_cvt_f16_f32_e32 v12, v12
	v_cvt_f16_f32_e32 v13, v13
	;; [unrolled: 1-line block ×4, first 2 shown]
	v_cvt_f32_f16_e32 v12, v12
	v_cvt_f32_f16_e32 v13, v13
	;; [unrolled: 1-line block ×4, first 2 shown]
	s_nop 1
	v_mfma_f32_16x16x16_f16 v[12:15], v[18:19], v[36:37], v[12:15]
	v_mfma_f32_16x16x16_f16 v[16:19], v[16:17], v[28:29], v[60:63]
	s_nop 2
	v_cvt_f32_f16_e32 v60, v21
	v_cvt_f32_f16_sdwa v61, v21 dst_sel:DWORD dst_unused:UNUSED_PAD src0_sel:WORD_1
	s_nop 2
	v_cvt_f16_f32_e32 v16, v16
	v_cvt_f16_f32_e32 v17, v17
	;; [unrolled: 1-line block ×4, first 2 shown]
	v_cvt_f32_f16_e32 v16, v16
	v_cvt_f32_f16_e32 v17, v17
	;; [unrolled: 1-line block ×4, first 2 shown]
	v_perm_b32 v21, v65, v20, s0
	v_perm_b32 v20, v75, v69, s0
	v_mfma_f32_16x16x16_f16 v[16:19], v[22:23], v[30:31], v[16:19]
	v_perm_b32 v23, v122, v115, s0
	v_perm_b32 v22, v136, v129, s0
	v_cvt_f32_f16_e32 v62, v33
	v_cvt_f32_f16_sdwa v63, v33 dst_sel:DWORD dst_unused:UNUSED_PAD src0_sel:WORD_1
	s_nop 3
	v_cvt_f16_f32_e32 v16, v16
	v_cvt_f16_f32_e32 v17, v17
	;; [unrolled: 1-line block ×4, first 2 shown]
	v_cvt_f32_f16_e32 v16, v16
	v_cvt_f32_f16_e32 v17, v17
	;; [unrolled: 1-line block ×4, first 2 shown]
	v_pk_mul_f16 v33, v41, v58
	v_pk_mul_f16 v41, v40, v58
	v_mfma_f32_16x16x16_f16 v[16:19], v[22:23], v[34:35], v[16:19]
	v_perm_b32 v23, v168, v161, s0
	v_perm_b32 v22, v182, v175, s0
	v_cvt_f32_f16_e32 v40, v41
	v_cvt_f32_f16_sdwa v41, v41 dst_sel:DWORD dst_unused:UNUSED_PAD src0_sel:WORD_1
	s_nop 3
	v_cvt_f16_f32_e32 v16, v16
	v_cvt_f16_f32_e32 v17, v17
	;; [unrolled: 1-line block ×4, first 2 shown]
	v_cvt_f32_f16_e32 v16, v16
	v_cvt_f32_f16_e32 v17, v17
	;; [unrolled: 1-line block ×4, first 2 shown]
	s_nop 1
	v_mfma_f32_16x16x16_f16 v[16:19], v[22:23], v[36:37], v[16:19]
	v_mfma_f32_16x16x16_f16 v[20:23], v[20:21], v[28:29], v[60:63]
	s_nop 7
	v_cvt_f16_f32_e32 v20, v20
	v_cvt_f16_f32_e32 v21, v21
	;; [unrolled: 1-line block ×4, first 2 shown]
	v_cvt_f32_f16_e32 v20, v20
	v_cvt_f32_f16_e32 v21, v21
	;; [unrolled: 1-line block ×4, first 2 shown]
	s_nop 1
	v_mfma_f32_16x16x16_f16 v[20:23], v[38:39], v[30:31], v[20:23]
	v_perm_b32 v39, v123, v116, s0
	v_perm_b32 v38, v137, v130, s0
	s_nop 5
	v_cvt_f16_f32_e32 v20, v20
	v_cvt_f16_f32_e32 v21, v21
	;; [unrolled: 1-line block ×4, first 2 shown]
	v_cvt_f32_f16_e32 v20, v20
	v_cvt_f32_f16_e32 v21, v21
	;; [unrolled: 1-line block ×4, first 2 shown]
	s_nop 1
	v_mfma_f32_16x16x16_f16 v[20:23], v[38:39], v[34:35], v[20:23]
	v_perm_b32 v39, v169, v162, s0
	v_perm_b32 v38, v183, v176, s0
	s_nop 5
	v_cvt_f16_f32_e32 v20, v20
	v_cvt_f16_f32_e32 v21, v21
	v_cvt_f16_f32_e32 v22, v22
	v_cvt_f16_f32_e32 v23, v23
	v_cvt_f32_f16_e32 v20, v20
	v_cvt_f32_f16_e32 v21, v21
	;; [unrolled: 1-line block ×4, first 2 shown]
	s_nop 1
	v_mfma_f32_16x16x16_f16 v[20:23], v[38:39], v[36:37], v[20:23]
	v_cvt_f32_f16_e32 v38, v33
	v_cvt_f32_f16_sdwa v39, v33 dst_sel:DWORD dst_unused:UNUSED_PAD src0_sel:WORD_1
	s_nop 1
	v_mfma_f32_16x16x16_f16 v[38:41], v[42:43], v[28:29], v[38:41]
	v_perm_b32 v43, v93, v85, s0
	v_perm_b32 v42, v109, v100, s0
	s_nop 5
	v_cvt_f16_f32_e32 v33, v38
	v_cvt_f16_f32_e32 v39, v39
	;; [unrolled: 1-line block ×4, first 2 shown]
	v_cvt_f32_f16_e32 v38, v33
	v_cvt_f32_f16_e32 v39, v39
	;; [unrolled: 1-line block ×4, first 2 shown]
	s_nop 1
	v_mfma_f32_16x16x16_f16 v[38:41], v[42:43], v[30:31], v[38:41]
	v_perm_b32 v43, v67, v64, s0
	v_perm_b32 v42, v77, v71, s0
	s_nop 5
	v_cvt_f16_f32_e32 v24, v38
	v_cvt_f16_f32_e32 v25, v39
	;; [unrolled: 1-line block ×4, first 2 shown]
	v_cvt_f32_f16_e32 v38, v24
	v_cvt_f32_f16_e32 v39, v25
	v_perm_b32 v25, v124, v117, s0
	v_perm_b32 v24, v155, v131, s0
	v_cvt_f32_f16_e32 v40, v33
	v_cvt_f32_f16_e32 v41, v41
	v_add_f32_e32 v33, v47, v26
	v_add_f32_e32 v33, v48, v33
	v_mfma_f32_16x16x16_f16 v[24:27], v[24:25], v[34:35], v[38:41]
	v_add_f32_e32 v33, v49, v33
	v_add_f32_e32 v33, v50, v33
	s_nop 0
	v_perm_b32 v39, v170, v163, s0
	v_perm_b32 v38, v184, v177, s0
	s_nop 2
	v_cvt_f16_f32_e32 v24, v24
	v_cvt_f16_f32_e32 v25, v25
	;; [unrolled: 1-line block ×4, first 2 shown]
	v_cvt_f32_f16_e32 v24, v24
	v_cvt_f32_f16_e32 v25, v25
	;; [unrolled: 1-line block ×4, first 2 shown]
	v_pk_mul_f16 v40, v91, v58
	v_pk_mul_f16 v41, v90, v58
	v_mfma_f32_16x16x16_f16 v[24:27], v[38:39], v[36:37], v[24:27]
	v_cvt_f32_f16_e32 v38, v40
	v_cvt_f32_f16_sdwa v39, v40 dst_sel:DWORD dst_unused:UNUSED_PAD src0_sel:WORD_1
	v_cvt_f32_f16_e32 v40, v41
	v_cvt_f32_f16_sdwa v41, v41 dst_sel:DWORD dst_unused:UNUSED_PAD src0_sel:WORD_1
	v_add_f32_e32 v33, v51, v33
	v_add_f32_e32 v33, v52, v33
	v_mfma_f32_16x16x16_f16 v[38:41], v[42:43], v[28:29], v[38:41]
	v_add_f32_e32 v33, v53, v33
	v_add_f32_e32 v33, v54, v33
	;; [unrolled: 1-line block ×4, first 2 shown]
	s_nop 3
	v_cvt_f16_f32_e32 v28, v38
	v_cvt_f16_f32_e32 v29, v39
	;; [unrolled: 1-line block ×4, first 2 shown]
	v_cvt_f32_f16_e32 v38, v28
	v_cvt_f32_f16_e32 v39, v29
	v_perm_b32 v29, v94, v86, s0
	v_perm_b32 v28, v110, v101, s0
	v_cvt_f32_f16_e32 v40, v40
	v_cvt_f32_f16_e32 v41, v41
	v_add_f32_e32 v33, v111, v33
	v_fmac_f32_e32 v33, v74, v56
	v_mfma_f32_16x16x16_f16 v[28:31], v[28:29], v[30:31], v[38:41]
	s_nop 2
	v_perm_b32 v39, v125, v118, s0
	v_perm_b32 v38, v156, v132, s0
	s_nop 2
	v_cvt_f16_f32_e32 v28, v28
	v_cvt_f16_f32_e32 v29, v29
	;; [unrolled: 1-line block ×4, first 2 shown]
	v_cvt_f32_f16_e32 v28, v28
	v_cvt_f32_f16_e32 v29, v29
	;; [unrolled: 1-line block ×4, first 2 shown]
	s_nop 1
	v_mfma_f32_16x16x16_f16 v[28:31], v[38:39], v[34:35], v[28:31]
	ds_bpermute_b32 v38, v44, v33
	v_perm_b32 v35, v171, v164, s0
	v_perm_b32 v34, v185, v178, s0
	s_waitcnt lgkmcnt(0)
	v_add_f32_e32 v33, v33, v38
	s_nop 2
	v_cvt_f16_f32_e32 v28, v28
	v_cvt_f16_f32_e32 v29, v29
	;; [unrolled: 1-line block ×4, first 2 shown]
	v_cvt_f32_f16_e32 v28, v28
	v_cvt_f32_f16_e32 v29, v29
	;; [unrolled: 1-line block ×4, first 2 shown]
	s_nop 1
	v_mfma_f32_16x16x16_f16 v[28:31], v[34:35], v[36:37], v[28:31]
	ds_bpermute_b32 v34, v45, v33
	s_and_saveexec_b64 s[4:5], vcc
	s_cbranch_execz .LBB25_818
; %bb.817:
	s_add_i32 s0, s27, s17
	s_lshl_b32 s0, s0, 6
	s_lshl_b64 s[6:7], s[0:1], 3
	s_add_u32 s6, s22, s6
	v_or_b32_e32 v35, v154, v80
	s_addc_u32 s7, s23, s7
	v_lshlrev_b32_e32 v35, 3, v35
	s_waitcnt lgkmcnt(0)
	v_add_f32_e32 v33, v33, v34
	global_store_dwordx2 v35, v[32:33], s[6:7]
.LBB25_818:
	s_or_b64 exec, exec, s[4:5]
	s_load_dword s0, s[24:25], 0x0
	s_load_dword s3, s[24:25], 0x10
	v_cvt_pk_f16_f32 v2, v2, v3
	v_cvt_pk_f16_f32 v3, v4, v5
	;; [unrolled: 1-line block ×4, first 2 shown]
	s_waitcnt lgkmcnt(0)
	s_lshr_b32 s3, s3, 16
	v_or_b32_e32 v16, v154, v82
	s_cmp_lg_u32 s3, 0
	v_mul_u32_u24_e32 v16, 0x110, v16
	s_cselect_b64 s[4:5], -1, 0
	v_cvt_pk_f16_f32 v0, v0, v1
	v_cvt_pk_f16_f32 v4, v10, v11
	v_add3_u32 v16, 0, v83, v16
	s_cmp_lg_u64 s[4:5], 0
	v_cvt_pk_f16_f32 v1, v6, v7
	v_cvt_pk_f16_f32 v6, v14, v15
	;; [unrolled: 1-line block ×10, first 2 shown]
	s_addc_u32 s0, s0, 0
	ds_write2_b32 v16, v0, v2 offset1:1
	ds_write2_b32 v16, v3, v1 offset0:8 offset1:9
	ds_write2_b32 v16, v5, v4 offset0:16 offset1:17
	ds_write2_b32 v16, v7, v6 offset0:24 offset1:25
	ds_write2_b32 v16, v9, v8 offset0:32 offset1:33
	ds_write2_b32 v16, v11, v10 offset0:40 offset1:41
	ds_write2_b32 v16, v13, v12 offset0:48 offset1:49
	ds_write2_b32 v16, v15, v14 offset0:56 offset1:57
	v_mad_u32_u24 v4, v150, s2, v81
	s_lshl_b32 s0, s0, 7
	s_waitcnt lgkmcnt(0)
	s_barrier
	ds_read_b32 v1, v4
	ds_read_b32 v3, v4 offset:1088
	ds_read_b32 v5, v4 offset:2176
	;; [unrolled: 1-line block ×7, first 2 shown]
	s_lshl_b32 s4, s17, 12
	s_mov_b32 s5, s1
	s_lshl_b64 s[0:1], s[0:1], 3
	s_waitcnt lgkmcnt(7)
	v_cvt_f32_f16_e32 v0, v1
	v_cvt_f32_f16_sdwa v1, v1 dst_sel:DWORD dst_unused:UNUSED_PAD src0_sel:WORD_1
	s_add_u32 s3, s22, s0
	v_lshlrev_b32_e32 v2, 6, v150
	s_addc_u32 s6, s23, s1
	s_lshl_b64 s[0:1], s[4:5], 3
	v_add_lshl_u32 v11, v2, v80, 3
	s_waitcnt lgkmcnt(6)
	v_cvt_f32_f16_e32 v2, v3
	v_cvt_f32_f16_sdwa v3, v3 dst_sel:DWORD dst_unused:UNUSED_PAD src0_sel:WORD_1
	s_add_u32 s0, s3, s0
	s_addc_u32 s1, s6, s1
	v_pk_add_f32 v[0:1], v[0:1], 0 op_sel_hi:[1,0]
	global_store_dwordx2 v11, v[0:1], s[0:1]
	v_lshlrev_b32_e32 v0, 6, v153
	v_add_lshl_u32 v11, v0, v80, 3
	v_pk_add_f32 v[0:1], v[2:3], 0 op_sel_hi:[1,0]
	s_waitcnt lgkmcnt(5)
	v_cvt_f32_f16_e32 v2, v5
	v_cvt_f32_f16_sdwa v3, v5 dst_sel:DWORD dst_unused:UNUSED_PAD src0_sel:WORD_1
	global_store_dwordx2 v11, v[0:1], s[0:1]
	v_lshlrev_b32_e32 v0, 6, v152
	v_add_lshl_u32 v5, v0, v80, 3
	v_pk_add_f32 v[0:1], v[2:3], 0 op_sel_hi:[1,0]
	s_waitcnt lgkmcnt(4)
	v_cvt_f32_f16_e32 v2, v6
	v_cvt_f32_f16_sdwa v3, v6 dst_sel:DWORD dst_unused:UNUSED_PAD src0_sel:WORD_1
	global_store_dwordx2 v5, v[0:1], s[0:1]
	v_lshlrev_b32_e32 v0, 6, v151
	v_add_lshl_u32 v5, v0, v80, 3
	v_pk_add_f32 v[0:1], v[2:3], 0 op_sel_hi:[1,0]
	v_and_b32_e32 v2, 15, v150
	s_movk_i32 s3, 0x7f0
	v_and_or_b32 v3, v149, s3, v2
	v_and_or_b32 v6, v145, s3, v2
	v_mad_u32_u24 v3, v3, s2, v81
	v_mad_u32_u24 v6, v6, s2, v81
	v_and_or_b32 v2, v141, s3, v2
	v_mad_u32_u24 v2, v2, s2, v81
	ds_read_b32 v3, v3
	ds_read_b32 v6, v6
	ds_read_b32 v11, v4 offset:10880
	ds_read_b32 v12, v4 offset:11968
	ds_read_b32 v13, v2
	ds_read_b32 v14, v4 offset:14144
	ds_read_b32 v15, v4 offset:15232
	;; [unrolled: 1-line block ×3, first 2 shown]
	s_waitcnt lgkmcnt(7)
	v_cvt_f32_f16_e32 v2, v3
	v_cvt_f32_f16_sdwa v3, v3 dst_sel:DWORD dst_unused:UNUSED_PAD src0_sel:WORD_1
	global_store_dwordx2 v5, v[0:1], s[0:1]
	v_lshlrev_b32_e32 v0, 6, v149
	v_add_lshl_u32 v5, v0, v80, 3
	v_pk_add_f32 v[0:1], v[2:3], 0 op_sel_hi:[1,0]
	v_cvt_f32_f16_e32 v2, v7
	v_cvt_f32_f16_sdwa v3, v7 dst_sel:DWORD dst_unused:UNUSED_PAD src0_sel:WORD_1
	global_store_dwordx2 v5, v[0:1], s[0:1]
	v_lshlrev_b32_e32 v0, 6, v148
	v_add_lshl_u32 v5, v0, v80, 3
	v_pk_add_f32 v[0:1], v[2:3], 0 op_sel_hi:[1,0]
	;; [unrolled: 6-line block ×4, first 2 shown]
	s_waitcnt lgkmcnt(6)
	v_cvt_f32_f16_e32 v2, v6
	v_cvt_f32_f16_sdwa v3, v6 dst_sel:DWORD dst_unused:UNUSED_PAD src0_sel:WORD_1
	global_store_dwordx2 v5, v[0:1], s[0:1]
	v_lshlrev_b32_e32 v0, 6, v145
	v_add_lshl_u32 v5, v0, v80, 3
	v_pk_add_f32 v[0:1], v[2:3], 0 op_sel_hi:[1,0]
	v_cvt_f32_f16_e32 v2, v10
	v_cvt_f32_f16_sdwa v3, v10 dst_sel:DWORD dst_unused:UNUSED_PAD src0_sel:WORD_1
	global_store_dwordx2 v5, v[0:1], s[0:1]
	v_lshlrev_b32_e32 v0, 6, v144
	v_add_lshl_u32 v5, v0, v80, 3
	v_pk_add_f32 v[0:1], v[2:3], 0 op_sel_hi:[1,0]
	s_waitcnt lgkmcnt(5)
	v_cvt_f32_f16_e32 v2, v11
	v_cvt_f32_f16_sdwa v3, v11 dst_sel:DWORD dst_unused:UNUSED_PAD src0_sel:WORD_1
	global_store_dwordx2 v5, v[0:1], s[0:1]
	v_lshlrev_b32_e32 v0, 6, v143
	v_add_lshl_u32 v5, v0, v80, 3
	v_pk_add_f32 v[0:1], v[2:3], 0 op_sel_hi:[1,0]
	s_waitcnt lgkmcnt(4)
	;; [unrolled: 7-line block ×6, first 2 shown]
	v_cvt_f32_f16_e32 v2, v4
	v_cvt_f32_f16_sdwa v3, v4 dst_sel:DWORD dst_unused:UNUSED_PAD src0_sel:WORD_1
	global_store_dwordx2 v5, v[0:1], s[0:1]
	v_lshlrev_b32_e32 v0, 6, v138
	v_add_lshl_u32 v4, v0, v80, 3
	v_pk_add_f32 v[0:1], v[2:3], 0 op_sel_hi:[1,0]
	global_store_dwordx2 v4, v[0:1], s[0:1]
.LBB25_819:
	s_endpgm
	.section	.rodata,"a",@progbits
	.p2align	6, 0x0
	.amdhsa_kernel _ZL18flash_attn_ext_f16ILi128ELi128ELi16ELi4ELb1ELb0EEvPKcS1_S1_S1_S1_PKiPfP15HIP_vector_typeIfLj2EEffffjfiS5_IjLj3EEiiiiiiiiiiiliiliiiiil
		.amdhsa_group_segment_fixed_size 0
		.amdhsa_private_segment_fixed_size 36
		.amdhsa_kernarg_size 464
		.amdhsa_user_sgpr_count 2
		.amdhsa_user_sgpr_dispatch_ptr 0
		.amdhsa_user_sgpr_queue_ptr 0
		.amdhsa_user_sgpr_kernarg_segment_ptr 1
		.amdhsa_user_sgpr_dispatch_id 0
		.amdhsa_user_sgpr_kernarg_preload_length 0
		.amdhsa_user_sgpr_kernarg_preload_offset 0
		.amdhsa_user_sgpr_private_segment_size 0
		.amdhsa_uses_dynamic_stack 0
		.amdhsa_enable_private_segment 1
		.amdhsa_system_sgpr_workgroup_id_x 1
		.amdhsa_system_sgpr_workgroup_id_y 0
		.amdhsa_system_sgpr_workgroup_id_z 0
		.amdhsa_system_sgpr_workgroup_info 0
		.amdhsa_system_vgpr_workitem_id 1
		.amdhsa_next_free_vgpr 256
		.amdhsa_next_free_sgpr 100
		.amdhsa_accum_offset 256
		.amdhsa_reserve_vcc 1
		.amdhsa_float_round_mode_32 0
		.amdhsa_float_round_mode_16_64 0
		.amdhsa_float_denorm_mode_32 3
		.amdhsa_float_denorm_mode_16_64 3
		.amdhsa_dx10_clamp 1
		.amdhsa_ieee_mode 1
		.amdhsa_fp16_overflow 0
		.amdhsa_tg_split 0
		.amdhsa_exception_fp_ieee_invalid_op 0
		.amdhsa_exception_fp_denorm_src 0
		.amdhsa_exception_fp_ieee_div_zero 0
		.amdhsa_exception_fp_ieee_overflow 0
		.amdhsa_exception_fp_ieee_underflow 0
		.amdhsa_exception_fp_ieee_inexact 0
		.amdhsa_exception_int_div_zero 0
	.end_amdhsa_kernel
	.section	.text._ZL18flash_attn_ext_f16ILi128ELi128ELi16ELi4ELb1ELb0EEvPKcS1_S1_S1_S1_PKiPfP15HIP_vector_typeIfLj2EEffffjfiS5_IjLj3EEiiiiiiiiiiiliiliiiiil,"axG",@progbits,_ZL18flash_attn_ext_f16ILi128ELi128ELi16ELi4ELb1ELb0EEvPKcS1_S1_S1_S1_PKiPfP15HIP_vector_typeIfLj2EEffffjfiS5_IjLj3EEiiiiiiiiiiiliiliiiiil,comdat
.Lfunc_end25:
	.size	_ZL18flash_attn_ext_f16ILi128ELi128ELi16ELi4ELb1ELb0EEvPKcS1_S1_S1_S1_PKiPfP15HIP_vector_typeIfLj2EEffffjfiS5_IjLj3EEiiiiiiiiiiiliiliiiiil, .Lfunc_end25-_ZL18flash_attn_ext_f16ILi128ELi128ELi16ELi4ELb1ELb0EEvPKcS1_S1_S1_S1_PKiPfP15HIP_vector_typeIfLj2EEffffjfiS5_IjLj3EEiiiiiiiiiiiliiliiiiil
                                        ; -- End function
	.set _ZL18flash_attn_ext_f16ILi128ELi128ELi16ELi4ELb1ELb0EEvPKcS1_S1_S1_S1_PKiPfP15HIP_vector_typeIfLj2EEffffjfiS5_IjLj3EEiiiiiiiiiiiliiliiiiil.num_vgpr, 256
	.set _ZL18flash_attn_ext_f16ILi128ELi128ELi16ELi4ELb1ELb0EEvPKcS1_S1_S1_S1_PKiPfP15HIP_vector_typeIfLj2EEffffjfiS5_IjLj3EEiiiiiiiiiiiliiliiiiil.num_agpr, 0
	.set _ZL18flash_attn_ext_f16ILi128ELi128ELi16ELi4ELb1ELb0EEvPKcS1_S1_S1_S1_PKiPfP15HIP_vector_typeIfLj2EEffffjfiS5_IjLj3EEiiiiiiiiiiiliiliiiiil.numbered_sgpr, 100
	.set _ZL18flash_attn_ext_f16ILi128ELi128ELi16ELi4ELb1ELb0EEvPKcS1_S1_S1_S1_PKiPfP15HIP_vector_typeIfLj2EEffffjfiS5_IjLj3EEiiiiiiiiiiiliiliiiiil.num_named_barrier, 0
	.set _ZL18flash_attn_ext_f16ILi128ELi128ELi16ELi4ELb1ELb0EEvPKcS1_S1_S1_S1_PKiPfP15HIP_vector_typeIfLj2EEffffjfiS5_IjLj3EEiiiiiiiiiiiliiliiiiil.private_seg_size, 36
	.set _ZL18flash_attn_ext_f16ILi128ELi128ELi16ELi4ELb1ELb0EEvPKcS1_S1_S1_S1_PKiPfP15HIP_vector_typeIfLj2EEffffjfiS5_IjLj3EEiiiiiiiiiiiliiliiiiil.uses_vcc, 1
	.set _ZL18flash_attn_ext_f16ILi128ELi128ELi16ELi4ELb1ELb0EEvPKcS1_S1_S1_S1_PKiPfP15HIP_vector_typeIfLj2EEffffjfiS5_IjLj3EEiiiiiiiiiiiliiliiiiil.uses_flat_scratch, 0
	.set _ZL18flash_attn_ext_f16ILi128ELi128ELi16ELi4ELb1ELb0EEvPKcS1_S1_S1_S1_PKiPfP15HIP_vector_typeIfLj2EEffffjfiS5_IjLj3EEiiiiiiiiiiiliiliiiiil.has_dyn_sized_stack, 0
	.set _ZL18flash_attn_ext_f16ILi128ELi128ELi16ELi4ELb1ELb0EEvPKcS1_S1_S1_S1_PKiPfP15HIP_vector_typeIfLj2EEffffjfiS5_IjLj3EEiiiiiiiiiiiliiliiiiil.has_recursion, 0
	.set _ZL18flash_attn_ext_f16ILi128ELi128ELi16ELi4ELb1ELb0EEvPKcS1_S1_S1_S1_PKiPfP15HIP_vector_typeIfLj2EEffffjfiS5_IjLj3EEiiiiiiiiiiiliiliiiiil.has_indirect_call, 0
	.section	.AMDGPU.csdata,"",@progbits
; Kernel info:
; codeLenInByte = 79928
; TotalNumSgprs: 106
; NumVgprs: 256
; NumAgprs: 0
; TotalNumVgprs: 256
; ScratchSize: 36
; MemoryBound: 0
; FloatMode: 240
; IeeeMode: 1
; LDSByteSize: 0 bytes/workgroup (compile time only)
; SGPRBlocks: 13
; VGPRBlocks: 31
; NumSGPRsForWavesPerEU: 106
; NumVGPRsForWavesPerEU: 256
; AccumOffset: 256
; Occupancy: 2
; WaveLimiterHint : 0
; COMPUTE_PGM_RSRC2:SCRATCH_EN: 1
; COMPUTE_PGM_RSRC2:USER_SGPR: 2
; COMPUTE_PGM_RSRC2:TRAP_HANDLER: 0
; COMPUTE_PGM_RSRC2:TGID_X_EN: 1
; COMPUTE_PGM_RSRC2:TGID_Y_EN: 0
; COMPUTE_PGM_RSRC2:TGID_Z_EN: 0
; COMPUTE_PGM_RSRC2:TIDIG_COMP_CNT: 1
; COMPUTE_PGM_RSRC3_GFX90A:ACCUM_OFFSET: 63
; COMPUTE_PGM_RSRC3_GFX90A:TG_SPLIT: 0
	.section	.text._ZL33flash_attn_stream_k_fixup_uniformILi128ELi16ELi4EEvPfPK15HIP_vector_typeIfLj2EEiiiiiiS1_IjLj3EES5_S5_,"axG",@progbits,_ZL33flash_attn_stream_k_fixup_uniformILi128ELi16ELi4EEvPfPK15HIP_vector_typeIfLj2EEiiiiiiS1_IjLj3EES5_S5_,comdat
	.globl	_ZL33flash_attn_stream_k_fixup_uniformILi128ELi16ELi4EEvPfPK15HIP_vector_typeIfLj2EEiiiiiiS1_IjLj3EES5_S5_ ; -- Begin function _ZL33flash_attn_stream_k_fixup_uniformILi128ELi16ELi4EEvPfPK15HIP_vector_typeIfLj2EEiiiiiiS1_IjLj3EES5_S5_
	.p2align	8
	.type	_ZL33flash_attn_stream_k_fixup_uniformILi128ELi16ELi4EEvPfPK15HIP_vector_typeIfLj2EEiiiiiiS1_IjLj3EES5_S5_,@function
_ZL33flash_attn_stream_k_fixup_uniformILi128ELi16ELi4EEvPfPK15HIP_vector_typeIfLj2EEiiiiiiS1_IjLj3EES5_S5_: ; @_ZL33flash_attn_stream_k_fixup_uniformILi128ELi16ELi4EEvPfPK15HIP_vector_typeIfLj2EEiiiiiiS1_IjLj3EES5_S5_
; %bb.0:
	s_load_dwordx8 s[8:15], s[0:1], 0x1c
	s_load_dwordx2 s[6:7], s[0:1], 0x10
	s_load_dwordx4 s[20:23], s[0:1], 0x3c
	s_waitcnt lgkmcnt(0)
	s_mul_hi_u32 s5, s11, s2
	s_add_i32 s5, s2, s5
	s_lshr_b32 s5, s5, s12
	s_mul_i32 s11, s5, s13
	s_sub_i32 s11, s2, s11
	s_mul_hi_u32 s12, s11, s14
	s_add_i32 s12, s11, s12
	s_lshr_b32 s16, s12, s15
	s_mul_i32 s12, s16, s20
	s_sub_i32 s11, s11, s12
	s_mul_hi_u32 s12, s11, s21
	s_add_i32 s12, s11, s12
	s_lshr_b32 s12, s12, s22
	s_mul_i32 s13, s12, s23
	s_sub_i32 s17, s11, s13
	s_lshl_b32 s11, s12, 2
	s_lshl_b32 s12, s17, 4
	s_add_i32 s12, s12, s3
	s_cmp_lt_i32 s12, s6
	s_cselect_b64 s[12:13], -1, 0
	s_add_i32 s14, s11, s4
	s_cmp_lt_i32 s14, s9
	s_cselect_b64 s[14:15], -1, 0
	s_and_b64 s[12:13], s[12:13], s[14:15]
	s_andn2_b64 vcc, exec, s[12:13]
	s_cbranch_vccnz .LBB26_6
; %bb.1:
	s_load_dwordx4 s[12:15], s[0:1], 0x0
	s_mul_i32 s0, s5, s6
	s_add_i32 s0, s0, s3
	s_mul_i32 s0, s0, s7
	s_mul_i32 s16, s16, s9
	s_add_i32 s0, s0, s4
	s_add_i32 s0, s0, s16
	s_mul_i32 s1, s7, s17
	s_add_i32 s0, s0, s11
	s_lshl_b32 s1, s1, 11
	s_lshl_b32 s0, s0, 7
	s_add_i32 s1, s1, s0
	v_or_b32_e32 v4, s1, v0
	s_waitcnt lgkmcnt(0)
	v_mov_b32_e32 v2, s12
	v_mov_b32_e32 v3, s13
	v_ashrrev_i32_e32 v5, 31, v4
	v_lshl_add_u64 v[2:3], v[4:5], 2, v[2:3]
	global_load_dword v5, v[2:3], off
	s_mul_i32 s5, s10, s2
	s_lshl_b32 s11, s3, 2
	s_add_i32 s9, s5, s10
	s_add_i32 s0, s11, s4
	s_lshl_b32 s1, s9, 6
	s_add_i32 s0, s0, s1
	s_sub_i32 s0, s0, 64
	s_ashr_i32 s1, s0, 31
	s_lshl_b64 s[0:1], s[0:1], 3
	s_add_u32 s0, s14, s0
	s_addc_u32 s1, s15, s1
	s_load_dword s12, s[0:1], 0x4
	s_add_i32 s6, s9, -2
	s_cmp_lt_i32 s6, s5
	s_cbranch_scc1 .LBB26_4
; %bb.2:
	s_lshl_b32 s6, s8, 8
	s_ashr_i32 s7, s6, 31
	s_lshl_b64 s[6:7], s[6:7], 2
	s_add_u32 s6, s14, s6
	s_addc_u32 s7, s15, s7
	s_add_i32 s2, s2, 1
	s_load_dword s0, s[0:1], 0x0
	s_mul_i32 s1, s10, s2
	s_lshl_b32 s3, s3, 9
	s_lshl_b32 s10, s4, 7
	s_lshl_b32 s2, s1, 13
	s_add_i32 s3, s10, s3
	s_lshl_b32 s1, s1, 6
	s_add_i32 s3, s3, s2
	s_add_i32 s1, s4, s1
	s_lshl_b32 s2, s8, 6
	s_add_i32 s1, s1, s2
	v_or_b32_e32 v0, s3, v0
	s_add_i32 s1, s1, s11
	s_add_i32 s9, s9, -1
	v_add_u32_e32 v0, 0xffffc000, v0
	s_add_i32 s2, s1, 0xffffff80
	s_waitcnt lgkmcnt(0)
	v_mov_b32_e32 v7, s0
	v_mov_b32_e32 v4, s12
	s_mov_b32 s4, 0x3fb8aa3b
	s_mov_b32 s8, 0xc2ce8ed0
	s_mov_b32 s10, 0x42b17218
	v_mov_b32_e32 v6, 0x7f800000
	s_mov_b32 s11, 0xc1a00000
.LBB26_3:                               ; =>This Inner Loop Header: Depth=1
	v_ashrrev_i32_e32 v1, 31, v0
	v_lshl_add_u64 v[8:9], v[0:1], 2, s[6:7]
	global_load_dword v9, v[8:9], off
	s_ashr_i32 s3, s2, 31
	s_lshl_b64 s[0:1], s[2:3], 3
	s_add_u32 s0, s14, s0
	s_addc_u32 s1, s15, s1
	s_load_dwordx2 s[0:1], s[0:1], 0x0
	v_max_f32_e32 v1, v7, v7
	s_add_i32 s9, s9, -1
	s_sub_i32 s2, s2, 64
	v_add_u32_e32 v0, 0xffffe000, v0
	s_waitcnt lgkmcnt(0)
	v_max_f32_e64 v10, s0, s0
	v_max_f32_e32 v1, v1, v10
	v_sub_f32_e32 v11, s0, v1
	v_sub_f32_e32 v10, v7, v1
	v_mul_f32_e32 v12, 0x3fb8aa3b, v11
	v_mov_b32_e32 v7, v1
	v_mul_f32_e32 v1, 0x3fb8aa3b, v10
	v_fma_f32 v15, v11, s4, -v12
	v_rndne_f32_e32 v16, v12
	v_fma_f32 v13, v10, s4, -v1
	v_rndne_f32_e32 v14, v1
	v_fmac_f32_e32 v15, 0x32a5705f, v11
	v_sub_f32_e32 v12, v12, v16
	v_fmac_f32_e32 v13, 0x32a5705f, v10
	v_sub_f32_e32 v1, v1, v14
	v_add_f32_e32 v12, v12, v15
	v_cvt_i32_f32_e32 v16, v16
	v_add_f32_e32 v1, v1, v13
	v_exp_f32_e32 v12, v12
	v_cvt_i32_f32_e32 v14, v14
	v_exp_f32_e32 v1, v1
	v_cmp_ngt_f32_e32 vcc, s8, v11
	v_ldexp_f32 v12, v12, v16
	v_mov_b32_e32 v8, s1
	v_ldexp_f32 v1, v1, v14
	v_cmp_ngt_f32_e64 s[0:1], s8, v10
	v_cndmask_b32_e32 v12, 0, v12, vcc
	v_cmp_nlt_f32_e32 vcc, s10, v11
	v_cndmask_b32_e64 v1, 0, v1, s[0:1]
	v_cmp_nlt_f32_e64 s[0:1], s10, v10
	v_cndmask_b32_e32 v12, v6, v12, vcc
	v_cmp_le_f32_e32 vcc, s11, v11
	v_cndmask_b32_e64 v1, v6, v1, s[0:1]
	v_cmp_le_f32_e64 s[0:1], s11, v10
	v_cndmask_b32_e32 v12, 0, v12, vcc
	s_cmp_le_i32 s9, s5
	v_cndmask_b32_e64 v10, 0, v1, s[0:1]
	s_waitcnt vmcnt(0)
	v_pk_mul_f32 v[8:9], v[8:9], v[12:13] op_sel_hi:[1,0]
	s_nop 0
	v_pk_fma_f32 v[4:5], v[4:5], v[10:11], v[8:9] op_sel_hi:[1,0,1]
	s_cbranch_scc0 .LBB26_3
	s_branch .LBB26_5
.LBB26_4:
	s_waitcnt lgkmcnt(0)
	v_mov_b32_e32 v4, s12
.LBB26_5:
	s_waitcnt vmcnt(0)
	v_div_scale_f32 v0, s[0:1], v4, v4, v5
	v_rcp_f32_e32 v1, v0
	v_div_scale_f32 v6, vcc, v5, v4, v5
	v_fma_f32 v7, -v0, v1, 1.0
	v_fmac_f32_e32 v1, v7, v1
	v_mul_f32_e32 v7, v6, v1
	v_fma_f32 v8, -v0, v7, v6
	v_fmac_f32_e32 v7, v8, v1
	v_fma_f32 v0, -v0, v7, v6
	v_div_fmas_f32 v0, v0, v1, v7
	v_div_fixup_f32 v0, v0, v4, v5
	global_store_dword v[2:3], v0, off
.LBB26_6:
	s_endpgm
	.section	.rodata,"a",@progbits
	.p2align	6, 0x0
	.amdhsa_kernel _ZL33flash_attn_stream_k_fixup_uniformILi128ELi16ELi4EEvPfPK15HIP_vector_typeIfLj2EEiiiiiiS1_IjLj3EES5_S5_
		.amdhsa_group_segment_fixed_size 0
		.amdhsa_private_segment_fixed_size 0
		.amdhsa_kernarg_size 76
		.amdhsa_user_sgpr_count 2
		.amdhsa_user_sgpr_dispatch_ptr 0
		.amdhsa_user_sgpr_queue_ptr 0
		.amdhsa_user_sgpr_kernarg_segment_ptr 1
		.amdhsa_user_sgpr_dispatch_id 0
		.amdhsa_user_sgpr_kernarg_preload_length 0
		.amdhsa_user_sgpr_kernarg_preload_offset 0
		.amdhsa_user_sgpr_private_segment_size 0
		.amdhsa_uses_dynamic_stack 0
		.amdhsa_enable_private_segment 0
		.amdhsa_system_sgpr_workgroup_id_x 1
		.amdhsa_system_sgpr_workgroup_id_y 1
		.amdhsa_system_sgpr_workgroup_id_z 1
		.amdhsa_system_sgpr_workgroup_info 0
		.amdhsa_system_vgpr_workitem_id 0
		.amdhsa_next_free_vgpr 17
		.amdhsa_next_free_sgpr 24
		.amdhsa_accum_offset 20
		.amdhsa_reserve_vcc 1
		.amdhsa_float_round_mode_32 0
		.amdhsa_float_round_mode_16_64 0
		.amdhsa_float_denorm_mode_32 3
		.amdhsa_float_denorm_mode_16_64 3
		.amdhsa_dx10_clamp 1
		.amdhsa_ieee_mode 1
		.amdhsa_fp16_overflow 0
		.amdhsa_tg_split 0
		.amdhsa_exception_fp_ieee_invalid_op 0
		.amdhsa_exception_fp_denorm_src 0
		.amdhsa_exception_fp_ieee_div_zero 0
		.amdhsa_exception_fp_ieee_overflow 0
		.amdhsa_exception_fp_ieee_underflow 0
		.amdhsa_exception_fp_ieee_inexact 0
		.amdhsa_exception_int_div_zero 0
	.end_amdhsa_kernel
	.section	.text._ZL33flash_attn_stream_k_fixup_uniformILi128ELi16ELi4EEvPfPK15HIP_vector_typeIfLj2EEiiiiiiS1_IjLj3EES5_S5_,"axG",@progbits,_ZL33flash_attn_stream_k_fixup_uniformILi128ELi16ELi4EEvPfPK15HIP_vector_typeIfLj2EEiiiiiiS1_IjLj3EES5_S5_,comdat
.Lfunc_end26:
	.size	_ZL33flash_attn_stream_k_fixup_uniformILi128ELi16ELi4EEvPfPK15HIP_vector_typeIfLj2EEiiiiiiS1_IjLj3EES5_S5_, .Lfunc_end26-_ZL33flash_attn_stream_k_fixup_uniformILi128ELi16ELi4EEvPfPK15HIP_vector_typeIfLj2EEiiiiiiS1_IjLj3EES5_S5_
                                        ; -- End function
	.set _ZL33flash_attn_stream_k_fixup_uniformILi128ELi16ELi4EEvPfPK15HIP_vector_typeIfLj2EEiiiiiiS1_IjLj3EES5_S5_.num_vgpr, 17
	.set _ZL33flash_attn_stream_k_fixup_uniformILi128ELi16ELi4EEvPfPK15HIP_vector_typeIfLj2EEiiiiiiS1_IjLj3EES5_S5_.num_agpr, 0
	.set _ZL33flash_attn_stream_k_fixup_uniformILi128ELi16ELi4EEvPfPK15HIP_vector_typeIfLj2EEiiiiiiS1_IjLj3EES5_S5_.numbered_sgpr, 24
	.set _ZL33flash_attn_stream_k_fixup_uniformILi128ELi16ELi4EEvPfPK15HIP_vector_typeIfLj2EEiiiiiiS1_IjLj3EES5_S5_.num_named_barrier, 0
	.set _ZL33flash_attn_stream_k_fixup_uniformILi128ELi16ELi4EEvPfPK15HIP_vector_typeIfLj2EEiiiiiiS1_IjLj3EES5_S5_.private_seg_size, 0
	.set _ZL33flash_attn_stream_k_fixup_uniformILi128ELi16ELi4EEvPfPK15HIP_vector_typeIfLj2EEiiiiiiS1_IjLj3EES5_S5_.uses_vcc, 1
	.set _ZL33flash_attn_stream_k_fixup_uniformILi128ELi16ELi4EEvPfPK15HIP_vector_typeIfLj2EEiiiiiiS1_IjLj3EES5_S5_.uses_flat_scratch, 0
	.set _ZL33flash_attn_stream_k_fixup_uniformILi128ELi16ELi4EEvPfPK15HIP_vector_typeIfLj2EEiiiiiiS1_IjLj3EES5_S5_.has_dyn_sized_stack, 0
	.set _ZL33flash_attn_stream_k_fixup_uniformILi128ELi16ELi4EEvPfPK15HIP_vector_typeIfLj2EEiiiiiiS1_IjLj3EES5_S5_.has_recursion, 0
	.set _ZL33flash_attn_stream_k_fixup_uniformILi128ELi16ELi4EEvPfPK15HIP_vector_typeIfLj2EEiiiiiiS1_IjLj3EES5_S5_.has_indirect_call, 0
	.section	.AMDGPU.csdata,"",@progbits
; Kernel info:
; codeLenInByte = 840
; TotalNumSgprs: 30
; NumVgprs: 17
; NumAgprs: 0
; TotalNumVgprs: 17
; ScratchSize: 0
; MemoryBound: 0
; FloatMode: 240
; IeeeMode: 1
; LDSByteSize: 0 bytes/workgroup (compile time only)
; SGPRBlocks: 3
; VGPRBlocks: 2
; NumSGPRsForWavesPerEU: 30
; NumVGPRsForWavesPerEU: 17
; AccumOffset: 20
; Occupancy: 8
; WaveLimiterHint : 0
; COMPUTE_PGM_RSRC2:SCRATCH_EN: 0
; COMPUTE_PGM_RSRC2:USER_SGPR: 2
; COMPUTE_PGM_RSRC2:TRAP_HANDLER: 0
; COMPUTE_PGM_RSRC2:TGID_X_EN: 1
; COMPUTE_PGM_RSRC2:TGID_Y_EN: 1
; COMPUTE_PGM_RSRC2:TGID_Z_EN: 1
; COMPUTE_PGM_RSRC2:TIDIG_COMP_CNT: 0
; COMPUTE_PGM_RSRC3_GFX90A:ACCUM_OFFSET: 4
; COMPUTE_PGM_RSRC3_GFX90A:TG_SPLIT: 0
	.section	.text._ZL33flash_attn_stream_k_fixup_generalILi128ELi16ELi4EEvPfPK15HIP_vector_typeIfLj2EEiiiiS1_IjLj3EES5_S5_S5_,"axG",@progbits,_ZL33flash_attn_stream_k_fixup_generalILi128ELi16ELi4EEvPfPK15HIP_vector_typeIfLj2EEiiiiS1_IjLj3EES5_S5_S5_,comdat
	.globl	_ZL33flash_attn_stream_k_fixup_generalILi128ELi16ELi4EEvPfPK15HIP_vector_typeIfLj2EEiiiiS1_IjLj3EES5_S5_S5_ ; -- Begin function _ZL33flash_attn_stream_k_fixup_generalILi128ELi16ELi4EEvPfPK15HIP_vector_typeIfLj2EEiiiiS1_IjLj3EES5_S5_S5_
	.p2align	8
	.type	_ZL33flash_attn_stream_k_fixup_generalILi128ELi16ELi4EEvPfPK15HIP_vector_typeIfLj2EEiiiiS1_IjLj3EES5_S5_S5_,@function
_ZL33flash_attn_stream_k_fixup_generalILi128ELi16ELi4EEvPfPK15HIP_vector_typeIfLj2EEiiiiS1_IjLj3EES5_S5_S5_: ; @_ZL33flash_attn_stream_k_fixup_generalILi128ELi16ELi4EEvPfPK15HIP_vector_typeIfLj2EEiiiiS1_IjLj3EES5_S5_S5_
; %bb.0:
	s_load_dwordx4 s[8:11], s[0:1], 0x10
	s_load_dword s22, s[0:1], 0x50
	s_mov_b32 s12, 0
	s_waitcnt lgkmcnt(0)
	s_mul_hi_i32 s13, s11, s2
	s_cmp_lg_u64 s[12:13], 0
	s_mul_i32 s5, s11, s2
	s_cbranch_scc0 .LBB27_20
; %bb.1:
	s_add_u32 s6, s22, 0
	s_addc_u32 s7, 0, 0
	s_xor_b64 s[6:7], s[6:7], 0
	v_cvt_f32_u32_e32 v1, s6
	v_cvt_f32_u32_e32 v2, s7
	s_sub_u32 s12, 0, s6
	s_subb_u32 s18, 0, s7
	v_fmamk_f32 v1, v2, 0x4f800000, v1
	v_rcp_f32_e32 v1, v1
	s_nop 0
	v_mul_f32_e32 v1, 0x5f7ffffc, v1
	v_mul_f32_e32 v2, 0x2f800000, v1
	v_trunc_f32_e32 v2, v2
	v_fmamk_f32 v1, v2, 0xcf800000, v1
	v_cvt_u32_f32_e32 v2, v2
	v_cvt_u32_f32_e32 v1, v1
	v_readfirstlane_b32 s19, v2
	v_readfirstlane_b32 s14, v1
	s_mul_i32 s15, s12, s19
	s_mul_hi_u32 s21, s12, s14
	s_mul_i32 s20, s18, s14
	s_add_i32 s15, s21, s15
	s_add_i32 s15, s15, s20
	s_mul_i32 s23, s12, s14
	s_mul_i32 s21, s14, s15
	s_mul_hi_u32 s24, s14, s23
	s_mul_hi_u32 s20, s14, s15
	s_add_u32 s21, s24, s21
	s_addc_u32 s20, 0, s20
	s_mul_hi_u32 s25, s19, s23
	s_mul_i32 s23, s19, s23
	s_add_u32 s21, s21, s23
	s_mul_hi_u32 s24, s19, s15
	s_addc_u32 s20, s20, s25
	s_addc_u32 s21, s24, 0
	s_mul_i32 s15, s19, s15
	s_add_u32 s15, s20, s15
	s_addc_u32 s20, 0, s21
	s_add_u32 s21, s14, s15
	s_cselect_b64 s[14:15], -1, 0
	s_cmp_lg_u64 s[14:15], 0
	s_addc_u32 s19, s19, s20
	s_mul_i32 s14, s12, s19
	s_mul_hi_u32 s15, s12, s21
	s_add_i32 s14, s15, s14
	s_mul_i32 s18, s18, s21
	s_add_i32 s14, s14, s18
	s_mul_i32 s12, s12, s21
	s_mul_hi_u32 s18, s19, s12
	s_mul_i32 s20, s19, s12
	s_mul_i32 s24, s21, s14
	s_mul_hi_u32 s12, s21, s12
	s_mul_hi_u32 s23, s21, s14
	s_add_u32 s12, s12, s24
	s_addc_u32 s23, 0, s23
	s_add_u32 s12, s12, s20
	s_mul_hi_u32 s15, s19, s14
	s_addc_u32 s12, s23, s18
	s_addc_u32 s15, s15, 0
	s_mul_i32 s14, s19, s14
	s_add_u32 s12, s12, s14
	s_addc_u32 s18, 0, s15
	s_add_u32 s20, s21, s12
	s_cselect_b64 s[14:15], -1, 0
	s_cmp_lg_u64 s[14:15], 0
	s_addc_u32 s18, s19, s18
	s_ashr_i32 s14, s13, 31
	s_add_u32 s12, s5, s14
	s_mov_b32 s15, s14
	s_addc_u32 s13, s13, s14
	s_xor_b64 s[12:13], s[12:13], s[14:15]
	s_mul_i32 s21, s12, s18
	s_mul_hi_u32 s23, s12, s20
	s_mul_hi_u32 s19, s12, s18
	s_add_u32 s21, s23, s21
	s_addc_u32 s19, 0, s19
	s_mul_hi_u32 s24, s13, s20
	s_mul_i32 s20, s13, s20
	s_add_u32 s20, s21, s20
	s_mul_hi_u32 s23, s13, s18
	s_addc_u32 s19, s19, s24
	s_addc_u32 s20, s23, 0
	s_mul_i32 s18, s13, s18
	s_add_u32 s23, s19, s18
	s_addc_u32 s24, 0, s20
	s_mul_i32 s18, s6, s24
	s_mul_hi_u32 s19, s6, s23
	s_add_i32 s18, s19, s18
	s_mul_i32 s19, s7, s23
	s_add_i32 s25, s18, s19
	s_sub_i32 s20, s13, s25
	s_mul_i32 s18, s6, s23
	s_sub_u32 s12, s12, s18
	s_cselect_b64 s[18:19], -1, 0
	s_cmp_lg_u64 s[18:19], 0
	s_subb_u32 s26, s20, s7
	s_sub_u32 s27, s12, s6
	s_cselect_b64 s[20:21], -1, 0
	s_cmp_lg_u64 s[20:21], 0
	s_subb_u32 s20, s26, 0
	s_cmp_ge_u32 s20, s7
	s_cselect_b32 s21, -1, 0
	s_cmp_ge_u32 s27, s6
	s_cselect_b32 s26, -1, 0
	s_cmp_eq_u32 s20, s7
	s_cselect_b32 s20, s26, s21
	s_add_u32 s21, s23, 1
	s_addc_u32 s26, s24, 0
	s_add_u32 s27, s23, 2
	s_addc_u32 s28, s24, 0
	s_cmp_lg_u32 s20, 0
	s_cselect_b32 s20, s27, s21
	s_cselect_b32 s21, s28, s26
	s_cmp_lg_u64 s[18:19], 0
	s_subb_u32 s13, s13, s25
	s_cmp_ge_u32 s13, s7
	s_cselect_b32 s18, -1, 0
	s_cmp_ge_u32 s12, s6
	s_cselect_b32 s6, -1, 0
	s_cmp_eq_u32 s13, s7
	s_cselect_b32 s6, s6, s18
	s_cmp_lg_u32 s6, 0
	s_cselect_b32 s7, s21, s24
	s_cselect_b32 s6, s20, s23
	s_xor_b64 s[12:13], s[14:15], 0
	s_xor_b64 s[6:7], s[6:7], s[12:13]
	s_sub_u32 s6, s6, s12
	s_load_dwordx4 s[12:15], s[0:1], 0x44
	s_cbranch_execnz .LBB27_3
.LBB27_2:
	v_cvt_f32_u32_e32 v1, s22
	s_sub_i32 s6, 0, s22
	v_rcp_iflag_f32_e32 v1, v1
	s_nop 0
	v_mul_f32_e32 v1, 0x4f7ffffe, v1
	v_cvt_u32_f32_e32 v1, v1
	s_nop 0
	v_readfirstlane_b32 s7, v1
	s_mul_i32 s6, s6, s7
	s_mul_hi_u32 s6, s7, s6
	s_add_i32 s7, s7, s6
	s_mul_hi_u32 s6, s5, s7
	s_waitcnt lgkmcnt(0)
	s_mul_i32 s15, s6, s22
	s_sub_i32 s5, s5, s15
	s_add_i32 s7, s6, 1
	s_sub_i32 s15, s5, s22
	s_cmp_ge_u32 s5, s22
	s_cselect_b32 s6, s7, s6
	s_cselect_b32 s5, s15, s5
	s_add_i32 s7, s6, 1
	s_cmp_ge_u32 s5, s22
	s_cselect_b32 s6, s7, s6
.LBB27_3:
	s_add_i32 s5, s2, 1
	s_mul_hi_i32 s21, s11, s5
	s_mov_b32 s20, 0
	s_cmp_lg_u64 s[20:21], 0
	s_mul_i32 s5, s11, s5
	s_cbranch_scc0 .LBB27_21
; %bb.4:
	s_add_u32 s16, s22, 0
	s_addc_u32 s17, 0, 0
	s_xor_b64 s[18:19], s[16:17], 0
	v_cvt_f32_u32_e32 v1, s18
	v_cvt_f32_u32_e32 v2, s19
	s_sub_u32 s7, 0, s18
	s_waitcnt lgkmcnt(0)
	s_subb_u32 s15, 0, s19
	v_fmamk_f32 v1, v2, 0x4f800000, v1
	v_rcp_f32_e32 v1, v1
	s_nop 0
	v_mul_f32_e32 v1, 0x5f7ffffc, v1
	v_mul_f32_e32 v2, 0x2f800000, v1
	v_trunc_f32_e32 v2, v2
	v_fmamk_f32 v1, v2, 0xcf800000, v1
	v_cvt_u32_f32_e32 v2, v2
	v_cvt_u32_f32_e32 v1, v1
	v_readfirstlane_b32 s20, v2
	v_readfirstlane_b32 s23, v1
	s_mul_i32 s24, s7, s20
	s_mul_hi_u32 s26, s7, s23
	s_mul_i32 s25, s15, s23
	s_add_i32 s24, s26, s24
	s_add_i32 s24, s24, s25
	s_mul_i32 s27, s7, s23
	s_mul_i32 s26, s23, s24
	s_mul_hi_u32 s28, s23, s27
	s_mul_hi_u32 s25, s23, s24
	s_add_u32 s26, s28, s26
	s_addc_u32 s25, 0, s25
	s_mul_hi_u32 s29, s20, s27
	s_mul_i32 s27, s20, s27
	s_add_u32 s26, s26, s27
	s_mul_hi_u32 s28, s20, s24
	s_addc_u32 s25, s25, s29
	s_addc_u32 s26, s28, 0
	s_mul_i32 s24, s20, s24
	s_add_u32 s24, s25, s24
	s_addc_u32 s26, 0, s26
	s_add_u32 s23, s23, s24
	s_cselect_b64 s[24:25], -1, 0
	s_cmp_lg_u64 s[24:25], 0
	s_addc_u32 s20, s20, s26
	s_mul_i32 s24, s7, s20
	s_mul_hi_u32 s25, s7, s23
	s_add_i32 s24, s25, s24
	s_mul_i32 s15, s15, s23
	s_add_i32 s24, s24, s15
	s_mul_i32 s7, s7, s23
	s_mul_hi_u32 s25, s20, s7
	s_mul_i32 s26, s20, s7
	s_mul_i32 s28, s23, s24
	s_mul_hi_u32 s7, s23, s7
	s_mul_hi_u32 s27, s23, s24
	s_add_u32 s7, s7, s28
	s_addc_u32 s27, 0, s27
	s_add_u32 s7, s7, s26
	s_mul_hi_u32 s15, s20, s24
	s_addc_u32 s7, s27, s25
	s_addc_u32 s15, s15, 0
	s_mul_i32 s24, s20, s24
	s_add_u32 s7, s7, s24
	s_addc_u32 s15, 0, s15
	s_add_u32 s7, s23, s7
	s_cselect_b64 s[24:25], -1, 0
	s_cmp_lg_u64 s[24:25], 0
	s_addc_u32 s15, s20, s15
	s_ashr_i32 s24, s21, 31
	s_add_u32 s20, s5, s24
	s_mov_b32 s25, s24
	s_addc_u32 s21, s21, s24
	s_xor_b64 s[20:21], s[20:21], s[24:25]
	s_mul_i32 s26, s20, s15
	s_mul_hi_u32 s27, s20, s7
	s_mul_hi_u32 s23, s20, s15
	s_add_u32 s26, s27, s26
	s_addc_u32 s23, 0, s23
	s_mul_hi_u32 s28, s21, s7
	s_mul_i32 s7, s21, s7
	s_add_u32 s7, s26, s7
	s_mul_hi_u32 s27, s21, s15
	s_addc_u32 s7, s23, s28
	s_addc_u32 s23, s27, 0
	s_mul_i32 s15, s21, s15
	s_add_u32 s7, s7, s15
	s_addc_u32 s15, 0, s23
	s_mul_i32 s23, s18, s15
	s_mul_hi_u32 s26, s18, s7
	s_add_i32 s23, s26, s23
	s_mul_i32 s26, s19, s7
	s_add_i32 s23, s23, s26
	s_sub_i32 s28, s21, s23
	s_mul_i32 s26, s18, s7
	s_sub_u32 s20, s20, s26
	s_cselect_b64 s[26:27], -1, 0
	s_cmp_lg_u64 s[26:27], 0
	s_subb_u32 s30, s28, s19
	s_sub_u32 s31, s20, s18
	s_cselect_b64 s[28:29], -1, 0
	s_cmp_lg_u64 s[28:29], 0
	s_subb_u32 s28, s30, 0
	s_cmp_ge_u32 s28, s19
	s_cselect_b32 s29, -1, 0
	s_cmp_ge_u32 s31, s18
	s_cselect_b32 s30, -1, 0
	s_cmp_eq_u32 s28, s19
	s_cselect_b32 s28, s30, s29
	s_add_u32 s29, s7, 1
	s_addc_u32 s30, s15, 0
	s_add_u32 s31, s7, 2
	s_addc_u32 s33, s15, 0
	s_cmp_lg_u32 s28, 0
	s_cselect_b32 s28, s31, s29
	s_cselect_b32 s29, s33, s30
	s_cmp_lg_u64 s[26:27], 0
	s_subb_u32 s21, s21, s23
	s_cmp_ge_u32 s21, s19
	s_cselect_b32 s23, -1, 0
	s_cmp_ge_u32 s20, s18
	s_cselect_b32 s18, -1, 0
	s_cmp_eq_u32 s21, s19
	s_cselect_b32 s18, s18, s23
	s_cmp_lg_u32 s18, 0
	s_cselect_b32 s19, s29, s15
	s_cselect_b32 s18, s28, s7
	s_xor_b64 s[20:21], s[24:25], 0
	s_xor_b64 s[18:19], s[18:19], s[20:21]
	s_sub_u32 s18, s18, s20
	s_cbranch_execnz .LBB27_6
.LBB27_5:
	v_cvt_f32_u32_e32 v1, s22
	s_sub_i32 s7, 0, s22
	v_rcp_iflag_f32_e32 v1, v1
	s_nop 0
	v_mul_f32_e32 v1, 0x4f7ffffe, v1
	v_cvt_u32_f32_e32 v1, v1
	s_waitcnt lgkmcnt(0)
	v_readfirstlane_b32 s15, v1
	s_mul_i32 s7, s7, s15
	s_mul_hi_u32 s7, s15, s7
	s_add_i32 s15, s15, s7
	s_mul_hi_u32 s7, s5, s15
	s_mul_i32 s16, s7, s22
	s_sub_i32 s5, s5, s16
	s_add_i32 s15, s7, 1
	s_sub_i32 s16, s5, s22
	s_cmp_ge_u32 s5, s22
	s_cselect_b32 s7, s15, s7
	s_cselect_b32 s5, s16, s5
	s_add_i32 s15, s7, 1
	s_cmp_ge_u32 s5, s22
	s_cselect_b32 s18, s15, s7
.LBB27_6:
	s_cmp_eq_u32 s6, s18
	s_waitcnt lgkmcnt(0)
	s_mul_hi_u32 s5, s6, s12
	s_cselect_b64 s[16:17], -1, 0
	s_add_i32 s5, s5, s6
	s_lshr_b32 s7, s5, s13
	s_mul_i32 s5, s7, s14
	s_cmp_eq_u32 s5, s6
	s_mul_hi_u32 s5, s18, s12
	s_cselect_b64 s[20:21], -1, 0
	s_add_i32 s5, s5, s18
	s_lshr_b32 s5, s5, s13
	s_cmp_eq_u32 s7, s5
	s_mul_i32 s5, s5, s14
	s_cselect_b64 s[24:25], -1, 0
	s_cmp_lg_u32 s5, s18
	s_cselect_b64 s[18:19], -1, 0
	s_and_b64 s[18:19], s[24:25], s[18:19]
	s_or_b64 s[16:17], s[16:17], s[20:21]
	s_or_b64 s[16:17], s[16:17], s[18:19]
	s_and_b64 vcc, exec, s[16:17]
	s_cbranch_vccnz .LBB27_23
; %bb.7:
	s_load_dwordx8 s[24:31], s[0:1], 0x20
	s_load_dword s15, s[0:1], 0x40
	s_waitcnt lgkmcnt(0)
	s_mul_hi_u32 s5, s6, s24
	s_add_i32 s5, s5, s6
	s_lshr_b32 s5, s5, s25
	s_mul_i32 s16, s5, s26
	s_sub_i32 s16, s6, s16
	s_mul_hi_u32 s17, s16, s27
	s_add_i32 s17, s16, s17
	s_lshr_b32 s20, s17, s28
	s_mul_i32 s17, s20, s29
	s_sub_i32 s16, s16, s17
	;; [unrolled: 5-line block ×3, first 2 shown]
	s_mul_hi_u32 s16, s15, s12
	s_add_i32 s15, s15, s16
	s_lshr_b32 s23, s15, s13
	s_lshl_b32 s15, s23, 4
	s_lshl_b32 s21, s17, 2
	s_add_i32 s15, s15, s3
	s_cmp_lt_i32 s15, s8
	s_cselect_b64 s[16:17], -1, 0
	s_add_i32 s15, s21, s4
	s_cmp_lt_i32 s15, s10
	s_cselect_b64 s[18:19], -1, 0
	s_and_b64 s[16:17], s[16:17], s[18:19]
	s_andn2_b64 vcc, exec, s[16:17]
	s_cbranch_vccnz .LBB27_23
; %bb.8:
	s_load_dwordx4 s[16:19], s[0:1], 0x0
	s_mov_b32 s0, 0
	s_lshl_b32 s15, s3, 2
	s_lshl_b32 s24, s22, 8
	s_mov_b32 s25, s0
	s_add_i32 s15, s15, s4
	s_waitcnt lgkmcnt(0)
	v_mov_b32_e32 v2, s16
	v_mov_b32_e32 v3, s17
	s_lshl_b64 s[16:17], s[24:25], 2
	s_add_u32 s16, s18, s16
	s_mul_i32 s1, s5, s8
	s_addc_u32 s17, s19, s17
	s_add_i32 s1, s1, s3
	s_mul_i32 s1, s1, s9
	s_mul_i32 s20, s20, s10
	s_add_i32 s1, s1, s4
	s_add_i32 s1, s1, s20
	s_mul_i32 s5, s9, s23
	s_add_i32 s1, s1, s21
	s_lshl_b32 s5, s5, 11
	s_lshl_b32 s1, s1, 7
	s_add_i32 s5, s5, s1
	v_or_b32_e32 v4, s5, v0
	v_ashrrev_i32_e32 v5, 31, v4
	v_lshl_add_u64 v[2:3], v[4:5], 2, v[2:3]
	global_load_dword v1, v[2:3], off
	v_cvt_f32_u32_e32 v4, s22
	s_lshl_b32 s1, s2, 6
	s_add_i32 s4, s15, s1
	s_ashr_i32 s5, s4, 31
	s_lshl_b64 s[4:5], s[4:5], 3
	v_rcp_iflag_f32_e32 v4, v4
	s_add_u32 s4, s18, s4
	s_addc_u32 s5, s19, s5
	s_load_dwordx2 s[4:5], s[4:5], 0x0
	v_mul_f32_e32 v4, 0x4f7ffffe, v4
	v_cvt_u32_f32_e32 v7, v4
	s_add_i32 s24, s2, -1
	v_lshl_or_b32 v6, s15, 7, v0
	s_waitcnt lgkmcnt(0)
	v_mov_b32_e32 v0, s5
	v_mov_b32_e32 v9, s4
	s_mov_b32 s10, 0x3fb8aa3b
	s_mov_b32 s20, 0xc2ce8ed0
	;; [unrolled: 1-line block ×4, first 2 shown]
	v_mov_b32_e32 v8, 0x7f800000
	s_mul_hi_i32 s1, s24, s11
	s_cmp_lg_u64 s[0:1], 0
	s_mul_i32 s8, s24, s11
	s_cbranch_scc0 .LBB27_19
.LBB27_9:
	s_add_u32 s2, s22, 0
	s_addc_u32 s3, 0, 0
	s_xor_b64 s[2:3], s[2:3], 0
	v_cvt_f32_u32_e32 v4, s2
	v_cvt_f32_u32_e32 v5, s3
	s_sub_u32 s9, 0, s2
	s_subb_u32 s25, 0, s3
	v_fmac_f32_e32 v4, 0x4f800000, v5
	v_rcp_f32_e32 v4, v4
	s_nop 0
	v_mul_f32_e32 v4, 0x5f7ffffc, v4
	v_mul_f32_e32 v5, 0x2f800000, v4
	v_trunc_f32_e32 v5, v5
	v_fmac_f32_e32 v4, 0xcf800000, v5
	v_cvt_u32_f32_e32 v5, v5
	v_cvt_u32_f32_e32 v4, v4
	v_readfirstlane_b32 s26, v5
	v_readfirstlane_b32 s4, v4
	s_mul_i32 s5, s9, s26
	s_mul_hi_u32 s28, s9, s4
	s_mul_i32 s27, s25, s4
	s_add_i32 s5, s28, s5
	s_mul_i32 s29, s9, s4
	s_add_i32 s5, s5, s27
	s_mul_i32 s28, s4, s5
	s_mul_hi_u32 s30, s4, s29
	s_mul_hi_u32 s27, s4, s5
	s_add_u32 s28, s30, s28
	s_addc_u32 s27, 0, s27
	s_mul_hi_u32 s31, s26, s29
	s_mul_i32 s29, s26, s29
	s_add_u32 s28, s28, s29
	s_mul_hi_u32 s30, s26, s5
	s_addc_u32 s27, s27, s31
	s_addc_u32 s28, s30, 0
	s_mul_i32 s5, s26, s5
	s_add_u32 s5, s27, s5
	s_addc_u32 s27, 0, s28
	s_add_u32 s28, s4, s5
	s_cselect_b64 s[4:5], -1, 0
	s_cmp_lg_u64 s[4:5], 0
	s_addc_u32 s26, s26, s27
	s_mul_i32 s4, s9, s26
	s_mul_hi_u32 s5, s9, s28
	s_add_i32 s4, s5, s4
	s_mul_i32 s25, s25, s28
	s_add_i32 s4, s4, s25
	s_mul_i32 s9, s9, s28
	s_mul_hi_u32 s25, s26, s9
	s_mul_i32 s27, s26, s9
	s_mul_i32 s30, s28, s4
	s_mul_hi_u32 s9, s28, s9
	s_mul_hi_u32 s29, s28, s4
	s_add_u32 s9, s9, s30
	s_addc_u32 s29, 0, s29
	s_add_u32 s9, s9, s27
	s_mul_hi_u32 s5, s26, s4
	s_addc_u32 s9, s29, s25
	s_addc_u32 s5, s5, 0
	s_mul_i32 s4, s26, s4
	s_add_u32 s4, s9, s4
	s_addc_u32 s9, 0, s5
	s_add_u32 s25, s28, s4
	s_cselect_b64 s[4:5], -1, 0
	s_cmp_lg_u64 s[4:5], 0
	s_addc_u32 s9, s26, s9
	s_ashr_i32 s4, s1, 31
	s_add_u32 s26, s8, s4
	s_mov_b32 s5, s4
	s_addc_u32 s27, s1, s4
	s_xor_b64 s[26:27], s[26:27], s[4:5]
	s_mul_i32 s28, s26, s9
	s_mul_hi_u32 s29, s26, s25
	s_mul_hi_u32 s1, s26, s9
	s_add_u32 s28, s29, s28
	s_addc_u32 s1, 0, s1
	s_mul_hi_u32 s30, s27, s25
	s_mul_i32 s25, s27, s25
	s_add_u32 s25, s28, s25
	s_mul_hi_u32 s29, s27, s9
	s_addc_u32 s1, s1, s30
	s_addc_u32 s25, s29, 0
	s_mul_i32 s9, s27, s9
	s_add_u32 s1, s1, s9
	s_addc_u32 s9, 0, s25
	s_mul_i32 s25, s2, s9
	s_mul_hi_u32 s28, s2, s1
	s_add_i32 s25, s28, s25
	s_mul_i32 s28, s3, s1
	s_add_i32 s25, s25, s28
	s_sub_i32 s30, s27, s25
	s_mul_i32 s28, s2, s1
	s_sub_u32 s26, s26, s28
	s_cselect_b64 s[28:29], -1, 0
	s_cmp_lg_u64 s[28:29], 0
	s_subb_u32 s33, s30, s3
	s_sub_u32 s34, s26, s2
	s_cselect_b64 s[30:31], -1, 0
	s_cmp_lg_u64 s[30:31], 0
	s_subb_u32 s30, s33, 0
	s_cmp_ge_u32 s30, s3
	s_cselect_b32 s31, -1, 0
	s_cmp_ge_u32 s34, s2
	s_cselect_b32 s33, -1, 0
	s_cmp_eq_u32 s30, s3
	s_cselect_b32 s30, s33, s31
	s_add_u32 s31, s1, 1
	s_addc_u32 s33, s9, 0
	s_add_u32 s34, s1, 2
	s_addc_u32 s35, s9, 0
	s_cmp_lg_u32 s30, 0
	s_cselect_b32 s30, s34, s31
	s_cselect_b32 s31, s35, s33
	s_cmp_lg_u64 s[28:29], 0
	s_subb_u32 s25, s27, s25
	s_cmp_ge_u32 s25, s3
	s_cselect_b32 s27, -1, 0
	s_cmp_ge_u32 s26, s2
	s_cselect_b32 s2, -1, 0
	s_cmp_eq_u32 s25, s3
	s_cselect_b32 s2, s2, s27
	s_cmp_lg_u32 s2, 0
	s_cselect_b32 s3, s31, s9
	s_cselect_b32 s2, s30, s1
	s_xor_b64 s[4:5], s[4:5], 0
	s_xor_b64 s[2:3], s[2:3], s[4:5]
	s_sub_u32 s4, s2, s4
	s_cbranch_execnz .LBB27_11
.LBB27_10:
	s_sub_i32 s1, 0, s22
	v_readfirstlane_b32 s2, v7
	s_mul_i32 s1, s1, s2
	s_mul_hi_u32 s1, s2, s1
	s_add_i32 s2, s2, s1
	s_mul_hi_u32 s1, s8, s2
	s_mul_i32 s3, s1, s22
	s_sub_i32 s3, s8, s3
	s_add_i32 s2, s1, 1
	s_sub_i32 s4, s3, s22
	s_cmp_ge_u32 s3, s22
	s_cselect_b32 s1, s2, s1
	s_cselect_b32 s3, s4, s3
	s_add_i32 s2, s1, 1
	s_cmp_ge_u32 s3, s22
	s_cselect_b32 s4, s2, s1
.LBB27_11:
	s_cmp_lg_u32 s6, s4
	s_cbranch_scc0 .LBB27_15
; %bb.12:
	s_add_i32 s1, s24, s22
	s_lshl_b32 s1, s1, 6
	s_add_i32 s2, s1, s15
	s_mov_b32 s3, s0
	s_lshl_b64 s[2:3], s[2:3], 3
	s_add_u32 s8, s18, s2
	s_mul_hi_u32 s1, s4, s12
	s_addc_u32 s9, s19, s3
	s_add_i32 s1, s1, s4
	s_lshr_b32 s1, s1, s13
	s_mul_i32 s2, s1, s14
	s_cmp_eq_u32 s2, s4
	s_cselect_b64 s[2:3], -1, 0
	s_cmp_lt_u32 s1, s7
	s_cselect_b64 s[26:27], -1, 0
	s_or_b64 s[26:27], s[26:27], s[2:3]
	s_mov_b64 s[2:3], -1
	s_and_b64 vcc, exec, s[26:27]
	s_mov_b32 s1, s24
	s_mov_b32 s25, s6
	s_cbranch_vccnz .LBB27_14
; %bb.13:
	s_add_i32 s1, s24, -1
	s_mov_b64 s[2:3], 0
	s_mov_b32 s25, s4
.LBB27_14:
	v_lshl_add_u32 v4, s24, 13, v6
	v_ashrrev_i32_e32 v5, 31, v4
	v_lshl_add_u64 v[4:5], v[4:5], 2, s[16:17]
	global_load_dword v5, v[4:5], off
	s_load_dwordx2 s[4:5], s[8:9], 0x0
	v_max_f32_e32 v4, v9, v9
	s_waitcnt lgkmcnt(0)
	v_max_f32_e64 v10, s4, s4
	v_max_f32_e32 v10, v4, v10
	v_sub_f32_e32 v11, v9, v10
	v_sub_f32_e32 v13, s4, v10
	v_mul_f32_e32 v4, 0x3fb8aa3b, v11
	v_mul_f32_e32 v12, 0x3fb8aa3b, v13
	v_fma_f32 v14, v11, s10, -v4
	v_rndne_f32_e32 v15, v4
	v_fma_f32 v16, v13, s10, -v12
	v_rndne_f32_e32 v17, v12
	v_fmac_f32_e32 v14, 0x32a5705f, v11
	v_sub_f32_e32 v4, v4, v15
	v_fmac_f32_e32 v16, 0x32a5705f, v13
	v_sub_f32_e32 v12, v12, v17
	v_add_f32_e32 v4, v4, v14
	v_cvt_i32_f32_e32 v15, v15
	v_add_f32_e32 v12, v12, v16
	v_exp_f32_e32 v14, v4
	v_cvt_i32_f32_e32 v17, v17
	v_exp_f32_e32 v12, v12
	v_cmp_ngt_f32_e32 vcc, s20, v11
	v_ldexp_f32 v14, v14, v15
	v_mov_b32_e32 v4, s5
	v_ldexp_f32 v12, v12, v17
	v_cndmask_b32_e32 v14, 0, v14, vcc
	v_cmp_ngt_f32_e32 vcc, s20, v13
	s_nop 1
	v_cndmask_b32_e32 v12, 0, v12, vcc
	v_cmp_nlt_f32_e32 vcc, s21, v11
	s_nop 1
	v_cndmask_b32_e32 v14, v8, v14, vcc
	v_cmp_nlt_f32_e32 vcc, s21, v13
	s_nop 1
	v_cndmask_b32_e32 v15, v8, v12, vcc
	v_cmp_le_f32_e32 vcc, s23, v11
	s_nop 1
	v_cndmask_b32_e32 v12, 0, v14, vcc
	v_cmp_le_f32_e32 vcc, s23, v13
	s_nop 1
	v_cndmask_b32_e32 v14, 0, v15, vcc
	s_waitcnt vmcnt(0)
	v_pk_mul_f32 v[4:5], v[4:5], v[14:15] op_sel_hi:[1,0]
	s_nop 0
	v_pk_fma_f32 v[4:5], v[0:1], v[12:13], v[4:5] op_sel_hi:[1,0,1]
	s_cbranch_execz .LBB27_16
	s_branch .LBB27_17
.LBB27_15:
                                        ; implicit-def: $vgpr4_vgpr5
                                        ; implicit-def: $sgpr2_sgpr3
                                        ; implicit-def: $vgpr10
                                        ; implicit-def: $sgpr1
                                        ; implicit-def: $sgpr25
.LBB27_16:
	s_add_i32 s1, s24, -1
	s_mov_b64 s[2:3], 0
	s_mov_b32 s25, s6
	v_mov_b32_e32 v10, v9
	s_waitcnt vmcnt(0)
	v_mov_b64_e32 v[4:5], v[0:1]
.LBB27_17:
	s_andn2_b64 vcc, exec, s[2:3]
	s_cbranch_vccz .LBB27_22
; %bb.18:
	s_mov_b32 s6, s25
	s_mov_b32 s24, s1
	v_mov_b32_e32 v9, v10
	s_waitcnt vmcnt(0)
	v_mov_b64_e32 v[0:1], v[4:5]
	s_mul_hi_i32 s1, s24, s11
	s_cmp_lg_u64 s[0:1], 0
	s_mul_i32 s8, s24, s11
	s_cbranch_scc1 .LBB27_9
.LBB27_19:
                                        ; implicit-def: $sgpr4_sgpr5
	s_branch .LBB27_10
.LBB27_20:
                                        ; implicit-def: $sgpr6_sgpr7
	s_load_dwordx4 s[12:15], s[0:1], 0x44
	s_branch .LBB27_2
.LBB27_21:
                                        ; implicit-def: $sgpr18_sgpr19
	s_branch .LBB27_5
.LBB27_22:
	v_div_scale_f32 v0, s[0:1], v4, v4, v5
	s_waitcnt vmcnt(0)
	v_rcp_f32_e32 v1, v0
	v_div_scale_f32 v6, vcc, v5, v4, v5
	v_fma_f32 v7, -v0, v1, 1.0
	v_fmac_f32_e32 v1, v7, v1
	v_mul_f32_e32 v7, v6, v1
	v_fma_f32 v8, -v0, v7, v6
	v_fmac_f32_e32 v7, v8, v1
	v_fma_f32 v0, -v0, v7, v6
	v_div_fmas_f32 v0, v0, v1, v7
	v_div_fixup_f32 v0, v0, v4, v5
	global_store_dword v[2:3], v0, off
.LBB27_23:
	s_endpgm
	.section	.rodata,"a",@progbits
	.p2align	6, 0x0
	.amdhsa_kernel _ZL33flash_attn_stream_k_fixup_generalILi128ELi16ELi4EEvPfPK15HIP_vector_typeIfLj2EEiiiiS1_IjLj3EES5_S5_S5_
		.amdhsa_group_segment_fixed_size 0
		.amdhsa_private_segment_fixed_size 0
		.amdhsa_kernarg_size 336
		.amdhsa_user_sgpr_count 2
		.amdhsa_user_sgpr_dispatch_ptr 0
		.amdhsa_user_sgpr_queue_ptr 0
		.amdhsa_user_sgpr_kernarg_segment_ptr 1
		.amdhsa_user_sgpr_dispatch_id 0
		.amdhsa_user_sgpr_kernarg_preload_length 0
		.amdhsa_user_sgpr_kernarg_preload_offset 0
		.amdhsa_user_sgpr_private_segment_size 0
		.amdhsa_uses_dynamic_stack 0
		.amdhsa_enable_private_segment 0
		.amdhsa_system_sgpr_workgroup_id_x 1
		.amdhsa_system_sgpr_workgroup_id_y 1
		.amdhsa_system_sgpr_workgroup_id_z 1
		.amdhsa_system_sgpr_workgroup_info 0
		.amdhsa_system_vgpr_workitem_id 0
		.amdhsa_next_free_vgpr 18
		.amdhsa_next_free_sgpr 36
		.amdhsa_accum_offset 20
		.amdhsa_reserve_vcc 1
		.amdhsa_float_round_mode_32 0
		.amdhsa_float_round_mode_16_64 0
		.amdhsa_float_denorm_mode_32 3
		.amdhsa_float_denorm_mode_16_64 3
		.amdhsa_dx10_clamp 1
		.amdhsa_ieee_mode 1
		.amdhsa_fp16_overflow 0
		.amdhsa_tg_split 0
		.amdhsa_exception_fp_ieee_invalid_op 0
		.amdhsa_exception_fp_denorm_src 0
		.amdhsa_exception_fp_ieee_div_zero 0
		.amdhsa_exception_fp_ieee_overflow 0
		.amdhsa_exception_fp_ieee_underflow 0
		.amdhsa_exception_fp_ieee_inexact 0
		.amdhsa_exception_int_div_zero 0
	.end_amdhsa_kernel
	.section	.text._ZL33flash_attn_stream_k_fixup_generalILi128ELi16ELi4EEvPfPK15HIP_vector_typeIfLj2EEiiiiS1_IjLj3EES5_S5_S5_,"axG",@progbits,_ZL33flash_attn_stream_k_fixup_generalILi128ELi16ELi4EEvPfPK15HIP_vector_typeIfLj2EEiiiiS1_IjLj3EES5_S5_S5_,comdat
.Lfunc_end27:
	.size	_ZL33flash_attn_stream_k_fixup_generalILi128ELi16ELi4EEvPfPK15HIP_vector_typeIfLj2EEiiiiS1_IjLj3EES5_S5_S5_, .Lfunc_end27-_ZL33flash_attn_stream_k_fixup_generalILi128ELi16ELi4EEvPfPK15HIP_vector_typeIfLj2EEiiiiS1_IjLj3EES5_S5_S5_
                                        ; -- End function
	.set _ZL33flash_attn_stream_k_fixup_generalILi128ELi16ELi4EEvPfPK15HIP_vector_typeIfLj2EEiiiiS1_IjLj3EES5_S5_S5_.num_vgpr, 18
	.set _ZL33flash_attn_stream_k_fixup_generalILi128ELi16ELi4EEvPfPK15HIP_vector_typeIfLj2EEiiiiS1_IjLj3EES5_S5_S5_.num_agpr, 0
	.set _ZL33flash_attn_stream_k_fixup_generalILi128ELi16ELi4EEvPfPK15HIP_vector_typeIfLj2EEiiiiS1_IjLj3EES5_S5_S5_.numbered_sgpr, 36
	.set _ZL33flash_attn_stream_k_fixup_generalILi128ELi16ELi4EEvPfPK15HIP_vector_typeIfLj2EEiiiiS1_IjLj3EES5_S5_S5_.num_named_barrier, 0
	.set _ZL33flash_attn_stream_k_fixup_generalILi128ELi16ELi4EEvPfPK15HIP_vector_typeIfLj2EEiiiiS1_IjLj3EES5_S5_S5_.private_seg_size, 0
	.set _ZL33flash_attn_stream_k_fixup_generalILi128ELi16ELi4EEvPfPK15HIP_vector_typeIfLj2EEiiiiS1_IjLj3EES5_S5_S5_.uses_vcc, 1
	.set _ZL33flash_attn_stream_k_fixup_generalILi128ELi16ELi4EEvPfPK15HIP_vector_typeIfLj2EEiiiiS1_IjLj3EES5_S5_S5_.uses_flat_scratch, 0
	.set _ZL33flash_attn_stream_k_fixup_generalILi128ELi16ELi4EEvPfPK15HIP_vector_typeIfLj2EEiiiiS1_IjLj3EES5_S5_S5_.has_dyn_sized_stack, 0
	.set _ZL33flash_attn_stream_k_fixup_generalILi128ELi16ELi4EEvPfPK15HIP_vector_typeIfLj2EEiiiiS1_IjLj3EES5_S5_S5_.has_recursion, 0
	.set _ZL33flash_attn_stream_k_fixup_generalILi128ELi16ELi4EEvPfPK15HIP_vector_typeIfLj2EEiiiiS1_IjLj3EES5_S5_S5_.has_indirect_call, 0
	.section	.AMDGPU.csdata,"",@progbits
; Kernel info:
; codeLenInByte = 2940
; TotalNumSgprs: 42
; NumVgprs: 18
; NumAgprs: 0
; TotalNumVgprs: 18
; ScratchSize: 0
; MemoryBound: 0
; FloatMode: 240
; IeeeMode: 1
; LDSByteSize: 0 bytes/workgroup (compile time only)
; SGPRBlocks: 5
; VGPRBlocks: 2
; NumSGPRsForWavesPerEU: 42
; NumVGPRsForWavesPerEU: 18
; AccumOffset: 20
; Occupancy: 8
; WaveLimiterHint : 0
; COMPUTE_PGM_RSRC2:SCRATCH_EN: 0
; COMPUTE_PGM_RSRC2:USER_SGPR: 2
; COMPUTE_PGM_RSRC2:TRAP_HANDLER: 0
; COMPUTE_PGM_RSRC2:TGID_X_EN: 1
; COMPUTE_PGM_RSRC2:TGID_Y_EN: 1
; COMPUTE_PGM_RSRC2:TGID_Z_EN: 1
; COMPUTE_PGM_RSRC2:TIDIG_COMP_CNT: 0
; COMPUTE_PGM_RSRC3_GFX90A:ACCUM_OFFSET: 4
; COMPUTE_PGM_RSRC3_GFX90A:TG_SPLIT: 0
	.section	.text._ZL26flash_attn_combine_resultsILi128EEvPKfPK15HIP_vector_typeIfLj2EEPfi,"axG",@progbits,_ZL26flash_attn_combine_resultsILi128EEvPKfPK15HIP_vector_typeIfLj2EEPfi,comdat
	.globl	_ZL26flash_attn_combine_resultsILi128EEvPKfPK15HIP_vector_typeIfLj2EEPfi ; -- Begin function _ZL26flash_attn_combine_resultsILi128EEvPKfPK15HIP_vector_typeIfLj2EEPfi
	.p2align	8
	.type	_ZL26flash_attn_combine_resultsILi128EEvPKfPK15HIP_vector_typeIfLj2EEPfi,@function
_ZL26flash_attn_combine_resultsILi128EEvPKfPK15HIP_vector_typeIfLj2EEPfi: ; @_ZL26flash_attn_combine_resultsILi128EEvPKfPK15HIP_vector_typeIfLj2EEPfi
; %bb.0:
	s_load_dwordx2 s[6:7], s[0:1], 0x20
	s_load_dword s19, s[0:1], 0x18
	s_load_dwordx4 s[8:11], s[0:1], 0x0
	s_load_dwordx2 s[14:15], s[0:1], 0x10
	s_waitcnt lgkmcnt(0)
	s_mul_i32 s0, s6, s4
	s_add_i32 s0, s0, s2
	s_mul_i32 s18, s0, s7
	s_add_i32 s18, s18, s3
	s_lshl_b32 s20, s19, 1
	s_mul_i32 s2, s18, s19
	v_cmp_gt_i32_e32 vcc, s20, v0
	s_and_saveexec_b64 s[0:1], vcc
	s_cbranch_execz .LBB28_13
; %bb.1:
	v_xad_u32 v1, v0, -1, s20
	s_movk_i32 s4, 0x7f
	s_ashr_i32 s3, s2, 31
	v_cmp_lt_u32_e32 vcc, s4, v1
	s_mov_b64 s[6:7], -1
	v_mov_b32_e32 v2, v0
	s_and_saveexec_b64 s[4:5], vcc
	s_cbranch_execz .LBB28_10
; %bb.2:
	v_lshrrev_b32_e32 v6, 7, v1
	s_lshl_b64 s[6:7], s[2:3], 3
	v_add_u32_e32 v2, -1, v6
	s_add_u32 s6, s10, s6
	v_or_b32_e32 v1, 0x80, v0
	v_lshrrev_b32_e32 v3, 1, v2
	s_addc_u32 s7, s11, s7
	s_mov_b32 s21, 0
	v_add_u32_e32 v7, 1, v3
	v_cmp_lt_u32_e32 vcc, 13, v2
	v_mov_b32_e32 v4, 0
	v_mov_b64_e32 v[2:3], v[0:1]
	s_and_saveexec_b64 s[12:13], vcc
	s_cbranch_execz .LBB28_6
; %bb.3:
	v_and_b32_e32 v8, -8, v7
	v_lshl_add_u32 v9, v0, 2, 0
	s_mov_b64 s[16:17], 0
	v_mov_b32_e32 v5, 0
	v_mov_b64_e32 v[2:3], v[0:1]
.LBB28_4:                               ; =>This Inner Loop Header: Depth=1
	v_mov_b32_e32 v4, v2
	v_lshl_add_u64 v[24:25], v[4:5], 2, s[6:7]
	v_mov_b32_e32 v4, v3
	v_add_u32_e32 v10, 0x100, v3
	v_mov_b32_e32 v11, v5
	v_lshl_add_u64 v[26:27], v[4:5], 2, s[6:7]
	v_add_u32_e32 v4, 0x100, v2
	v_lshl_add_u64 v[10:11], v[10:11], 2, s[6:7]
	global_load_dword v1, v[24:25], off
	v_lshl_add_u64 v[24:25], v[4:5], 2, s[6:7]
	v_add_u32_e32 v4, 0x200, v2
	global_load_dword v28, v[26:27], off
	global_load_dword v29, v[24:25], off
	;; [unrolled: 1-line block ×3, first 2 shown]
	v_lshl_add_u64 v[10:11], v[4:5], 2, s[6:7]
	v_add_u32_e32 v4, 0x300, v2
	v_add_u32_e32 v12, 0x200, v3
	v_mov_b32_e32 v13, v5
	v_add_u32_e32 v14, 0x300, v3
	v_mov_b32_e32 v15, v5
	v_lshl_add_u64 v[24:25], v[4:5], 2, s[6:7]
	v_add_u32_e32 v4, 0x400, v2
	v_lshl_add_u64 v[12:13], v[12:13], 2, s[6:7]
	v_lshl_add_u64 v[14:15], v[14:15], 2, s[6:7]
	global_load_dword v26, v[10:11], off
	global_load_dword v27, v[12:13], off
	;; [unrolled: 1-line block ×4, first 2 shown]
	v_lshl_add_u64 v[10:11], v[4:5], 2, s[6:7]
	v_add_u32_e32 v4, 0x500, v2
	v_add_u32_e32 v16, 0x400, v3
	v_mov_b32_e32 v17, v5
	v_add_u32_e32 v18, 0x500, v3
	v_mov_b32_e32 v19, v5
	v_lshl_add_u64 v[12:13], v[4:5], 2, s[6:7]
	v_add_u32_e32 v4, 0x600, v2
	v_add_u32_e32 v20, 0x600, v3
	v_mov_b32_e32 v21, v5
	v_add_u32_e32 v22, 0x700, v3
	v_mov_b32_e32 v23, v5
	v_lshl_add_u64 v[16:17], v[16:17], 2, s[6:7]
	v_lshl_add_u64 v[18:19], v[18:19], 2, s[6:7]
	global_load_dword v14, v[10:11], off
	global_load_dword v15, v[16:17], off
	;; [unrolled: 1-line block ×4, first 2 shown]
	v_lshl_add_u64 v[10:11], v[4:5], 2, s[6:7]
	v_add_u32_e32 v4, 0x700, v2
	v_lshl_add_u64 v[20:21], v[20:21], 2, s[6:7]
	v_lshl_add_u64 v[22:23], v[22:23], 2, s[6:7]
	v_lshl_add_u64 v[12:13], v[4:5], 2, s[6:7]
	global_load_dword v16, v[10:11], off
	global_load_dword v17, v[20:21], off
	;; [unrolled: 1-line block ×4, first 2 shown]
	v_add_u32_e32 v8, -8, v8
	s_add_i32 s21, s21, 16
	v_cmp_eq_u32_e32 vcc, 0, v8
	v_add_u32_e32 v3, 0x800, v3
	v_mov_b32_e32 v4, s21
	s_or_b64 s[16:17], vcc, s[16:17]
	v_add_u32_e32 v2, 0x800, v2
	s_waitcnt vmcnt(14)
	ds_write2st64_b32 v9, v1, v28 offset1:2
	s_waitcnt vmcnt(12)
	ds_write2st64_b32 v9, v29, v30 offset0:4 offset1:6
	s_waitcnt vmcnt(10)
	ds_write2st64_b32 v9, v26, v27 offset0:8 offset1:10
	;; [unrolled: 2-line block ×7, first 2 shown]
	v_add_u32_e32 v9, 0x2000, v9
	s_andn2_b64 exec, exec, s[16:17]
	s_cbranch_execnz .LBB28_4
; %bb.5:
	s_or_b64 exec, exec, s[16:17]
.LBB28_6:
	s_or_b64 exec, exec, s[12:13]
	v_and_b32_e32 v1, 7, v7
	v_cmp_ne_u32_e32 vcc, 0, v1
	s_and_saveexec_b64 s[12:13], vcc
	s_cbranch_execz .LBB28_9
; %bb.7:
	v_lshlrev_b32_e32 v5, 2, v0
	v_lshl_or_b32 v4, v4, 9, v5
	v_add_u32_e32 v7, 0, v4
	s_mov_b64 s[16:17], 0
	v_mov_b32_e32 v5, 0
.LBB28_8:                               ; =>This Inner Loop Header: Depth=1
	v_mov_b32_e32 v4, v2
	v_lshl_add_u64 v[8:9], v[4:5], 2, s[6:7]
	v_mov_b32_e32 v4, v3
	v_lshl_add_u64 v[10:11], v[4:5], 2, s[6:7]
	global_load_dword v4, v[8:9], off
	global_load_dword v12, v[10:11], off
	v_add_u32_e32 v1, -1, v1
	v_cmp_eq_u32_e32 vcc, 0, v1
	v_add_u32_e32 v2, 0x100, v2
	v_add_u32_e32 v3, 0x100, v3
	s_or_b64 s[16:17], vcc, s[16:17]
	s_waitcnt vmcnt(0)
	ds_write2st64_b32 v7, v4, v12 offset1:2
	v_add_u32_e32 v7, 0x400, v7
	s_andn2_b64 exec, exec, s[16:17]
	s_cbranch_execnz .LBB28_8
.LBB28_9:
	s_or_b64 exec, exec, s[12:13]
	v_add_u32_e32 v1, 1, v6
	v_and_b32_e32 v3, 0x3fffffe, v1
	v_cmp_ne_u32_e32 vcc, v1, v3
	v_lshl_or_b32 v2, v3, 7, v0
	s_orn2_b64 s[6:7], vcc, exec
.LBB28_10:
	s_or_b64 exec, exec, s[4:5]
	s_and_b64 exec, exec, s[6:7]
	s_cbranch_execz .LBB28_13
; %bb.11:
	s_lshl_b64 s[4:5], s[2:3], 3
	s_add_u32 s4, s10, s4
	v_mov_b32_e32 v3, 0
	s_addc_u32 s5, s11, s5
	v_lshl_add_u64 v[4:5], v[2:3], 2, s[4:5]
	v_lshl_add_u32 v1, v2, 2, 0
	s_mov_b64 s[4:5], 0
	s_mov_b64 s[6:7], 0x200
.LBB28_12:                              ; =>This Inner Loop Header: Depth=1
	global_load_dword v3, v[4:5], off
	v_add_u32_e32 v2, 0x80, v2
	v_cmp_le_i32_e32 vcc, s20, v2
	v_lshl_add_u64 v[4:5], v[4:5], 0, s[6:7]
	s_or_b64 s[4:5], vcc, s[4:5]
	s_waitcnt vmcnt(0)
	ds_write_b32 v1, v3
	v_add_u32_e32 v1, 0x200, v1
	s_andn2_b64 exec, exec, s[4:5]
	s_cbranch_execnz .LBB28_12
.LBB28_13:
	s_or_b64 exec, exec, s[0:1]
	v_mov_b32_e32 v1, 0
	s_waitcnt lgkmcnt(0)
	s_barrier
	ds_read_b32 v1, v1
	s_cmp_lt_i32 s19, 2
	s_cbranch_scc1 .LBB28_21
; %bb.14:
	s_cmp_eq_u32 s19, 2
	s_cbranch_scc1 .LBB28_18
; %bb.15:
	s_add_i32 s3, s19, -1
	s_and_b32 s4, s3, -2
	s_add_i32 s6, 0, 8
	s_mov_b32 s5, 2
	s_waitcnt lgkmcnt(0)
	v_mov_b32_e32 v4, v1
.LBB28_16:                              ; =>This Inner Loop Header: Depth=1
	v_mov_b32_e32 v2, v1
	v_mov_b32_e32 v1, s6
	;; [unrolled: 1-line block ×3, first 2 shown]
	ds_read2_b32 v[4:5], v1 offset1:2
	s_cmp_lg_u32 s4, s5
	s_cselect_b64 s[10:11], -1, 0
	v_max_f32_e32 v1, v3, v3
	v_max_f32_e32 v6, v2, v2
	s_waitcnt lgkmcnt(0)
	v_cmp_u_f32_e32 vcc, v5, v5
	v_max_f32_e32 v7, v5, v5
	v_max_f32_e32 v8, v4, v4
	v_cndmask_b32_e64 v5, 0, 1, vcc
	v_cmp_u_f32_e32 vcc, v4, v4
	v_readfirstlane_b32 s0, v5
	s_lshl_b32 s0, s0, 1
	v_cndmask_b32_e64 v9, 0, 1, vcc
	v_max_f32_e32 v4, v1, v7
	v_readfirstlane_b32 s1, v9
	s_or_b32 s0, s1, s0
	s_and_b32 s7, s0, 3
	s_cmp_lg_u32 s7, 0
	s_cselect_b64 s[0:1], -1, 0
	s_cmp_eq_u32 s7, 0
	s_cselect_b64 s[12:13], -1, 0
	s_and_b64 s[10:11], s[12:13], s[10:11]
	v_max_f32_e32 v1, v6, v8
	s_add_i32 s5, s5, 2
	s_add_i32 s6, s6, 16
	s_and_b64 vcc, exec, s[10:11]
	s_cbranch_vccnz .LBB28_16
; %bb.17:
	s_add_i32 s5, s5, -4
	s_and_b64 s[6:7], s[0:1], exec
	s_cselect_b32 s5, s5, s3
	s_or_b32 s5, s5, 1
	v_cndmask_b32_e64 v1, v1, v2, s[0:1]
	v_cndmask_b32_e64 v2, v4, v3, s[0:1]
	s_cmp_lg_u32 s3, s4
	v_max_f32_e32 v2, v2, v2
	v_max_f32_e32 v1, v1, v1
	s_cselect_b64 s[6:7], -1, 0
	v_max_f32_e32 v1, v1, v2
	s_or_b64 s[0:1], s[6:7], s[0:1]
	s_and_b64 vcc, exec, s[0:1]
	s_cbranch_vccnz .LBB28_19
	s_branch .LBB28_21
.LBB28_18:
	s_mov_b32 s5, 1
	s_cbranch_execz .LBB28_21
.LBB28_19:
	s_lshl_b32 s1, s5, 3
	s_sub_i32 s0, s19, s5
	s_add_i32 s1, s1, 0
.LBB28_20:                              ; =>This Inner Loop Header: Depth=1
	v_mov_b32_e32 v2, s1
	ds_read_b32 v2, v2
	s_waitcnt lgkmcnt(1)
	v_max_f32_e32 v1, v1, v1
	s_add_i32 s0, s0, -1
	s_add_i32 s1, s1, 8
	s_cmp_eq_u32 s0, 0
	s_waitcnt lgkmcnt(0)
	v_max_f32_e32 v2, v2, v2
	v_max_f32_e32 v1, v1, v2
	s_cbranch_scc0 .LBB28_20
.LBB28_21:
	s_cmp_lt_i32 s19, 1
	s_cbranch_scc1 .LBB28_26
; %bb.22:
	s_lshl_b32 s0, s2, 7
	s_ashr_i32 s1, s0, 31
	s_lshl_b64 s[0:1], s[0:1], 2
	s_add_u32 s16, s8, s0
	s_addc_u32 s17, s9, s1
	s_cmp_lt_u32 s19, 8
	s_cbranch_scc1 .LBB28_27
; %bb.23:
	v_mov_b32_e32 v7, 0
	s_and_b32 s20, s19, 0x7ffffff8
	v_or_b32_e32 v4, 0x380, v0
	s_mov_b32 s21, 0
	s_mov_b32 s22, 0x3fb8aa3b
	;; [unrolled: 1-line block ×4, first 2 shown]
	v_mov_b32_e32 v8, 0x7f800000
	s_mov_b32 s25, 0
	v_mov_b32_e32 v2, v7
	v_mov_b32_e32 v3, v7
.LBB28_24:                              ; =>This Inner Loop Header: Depth=1
	v_add_u32_e32 v6, 0xfffffc80, v4
	v_lshl_add_u64 v[26:27], v[6:7], 2, s[16:17]
	v_add_u32_e32 v6, 0xfffffd00, v4
	v_mov_b32_e32 v9, s21
	v_lshl_add_u64 v[30:31], v[6:7], 2, s[16:17]
	v_add_u32_e32 v6, 0xfffffd80, v4
	ds_read2_b64 v[10:13], v9 offset1:1
	ds_read2_b64 v[14:17], v9 offset0:2 offset1:3
	ds_read2_b64 v[18:21], v9 offset0:4 offset1:5
	;; [unrolled: 1-line block ×3, first 2 shown]
	global_load_dword v33, v[26:27], off
	global_load_dword v35, v[30:31], off
	v_lshl_add_u64 v[26:27], v[6:7], 2, s[16:17]
	v_add_u32_e32 v6, 0xfffffe00, v4
	v_lshl_add_u64 v[30:31], v[6:7], 2, s[16:17]
	v_add_u32_e32 v6, 0xfffffe80, v4
	global_load_dword v37, v[26:27], off
	global_load_dword v39, v[30:31], off
	v_lshl_add_u64 v[26:27], v[6:7], 2, s[16:17]
	v_add_u32_e32 v6, 0xffffff00, v4
	s_waitcnt lgkmcnt(3)
	v_mov_b32_e32 v32, v11
	v_sub_f32_e32 v9, v12, v1
	v_mov_b32_e32 v34, v13
	global_load_dword v11, v[26:27], off
	v_lshl_add_u64 v[12:13], v[6:7], 2, s[16:17]
	s_waitcnt lgkmcnt(2)
	v_mov_b32_e32 v36, v15
	v_add_u32_e32 v6, 0xffffff80, v4
	global_load_dword v15, v[12:13], off
	v_mov_b32_e32 v5, v7
	v_lshl_add_u64 v[12:13], v[6:7], 2, s[16:17]
	v_lshl_add_u64 v[28:29], v[4:5], 2, s[16:17]
	v_sub_f32_e32 v5, v10, v1
	v_mov_b32_e32 v38, v17
	s_waitcnt lgkmcnt(1)
	v_mov_b32_e32 v10, v19
	global_load_dword v17, v[12:13], off
	global_load_dword v19, v[28:29], off
	v_sub_f32_e32 v30, v14, v1
	v_sub_f32_e32 v31, v16, v1
	;; [unrolled: 1-line block ×3, first 2 shown]
	v_mov_b32_e32 v14, v21
	s_waitcnt lgkmcnt(0)
	v_sub_f32_e32 v21, v22, v1
	v_mov_b32_e32 v16, v23
	v_sub_f32_e32 v22, v24, v1
	v_mul_f32_e32 v23, 0x3fb8aa3b, v5
	v_mov_b32_e32 v18, v25
	v_mul_f32_e32 v24, 0x3fb8aa3b, v9
	v_mul_f32_e32 v25, 0x3fb8aa3b, v30
	;; [unrolled: 1-line block ×5, first 2 shown]
	v_fma_f32 v43, v5, s22, -v23
	v_rndne_f32_e32 v44, v23
	v_sub_f32_e32 v20, v20, v1
	v_fma_f32 v45, v9, s22, -v24
	v_rndne_f32_e32 v46, v24
	v_fma_f32 v47, v30, s22, -v25
	v_rndne_f32_e32 v48, v25
	;; [unrolled: 2-line block ×5, first 2 shown]
	v_fmac_f32_e32 v43, 0x32a5705f, v5
	v_sub_f32_e32 v12, v23, v44
	v_mul_f32_e32 v26, 0x3fb8aa3b, v31
	v_mul_f32_e32 v41, 0x3fb8aa3b, v20
	v_fmac_f32_e32 v45, 0x32a5705f, v9
	v_sub_f32_e32 v23, v24, v46
	v_fmac_f32_e32 v47, 0x32a5705f, v30
	v_sub_f32_e32 v25, v25, v48
	;; [unrolled: 2-line block ×5, first 2 shown]
	v_add_f32_e32 v12, v12, v43
	v_fma_f32 v49, v31, s22, -v26
	v_rndne_f32_e32 v50, v26
	v_fma_f32 v53, v20, s22, -v41
	v_rndne_f32_e32 v54, v41
	v_cvt_i32_f32_e32 v13, v44
	v_add_f32_e32 v23, v23, v45
	v_add_f32_e32 v25, v25, v47
	;; [unrolled: 1-line block ×5, first 2 shown]
	v_exp_f32_e32 v12, v12
	v_cvt_i32_f32_e32 v24, v46
	v_cvt_i32_f32_e32 v28, v48
	v_fmac_f32_e32 v49, 0x32a5705f, v31
	v_sub_f32_e32 v26, v26, v50
	v_cvt_i32_f32_e32 v29, v50
	v_cvt_i32_f32_e32 v44, v52
	v_fmac_f32_e32 v53, 0x32a5705f, v20
	v_sub_f32_e32 v41, v41, v54
	v_cvt_i32_f32_e32 v48, v56
	v_cvt_i32_f32_e32 v50, v58
	v_exp_f32_e32 v23, v23
	v_exp_f32_e32 v25, v25
	;; [unrolled: 1-line block ×5, first 2 shown]
	v_add_f32_e32 v26, v26, v49
	v_add_f32_e32 v41, v41, v53
	v_cvt_i32_f32_e32 v46, v54
	v_exp_f32_e32 v26, v26
	v_exp_f32_e32 v41, v41
	v_ldexp_f32 v12, v12, v13
	v_cmp_ngt_f32_e64 s[12:13], s23, v5
	v_ldexp_f32 v13, v23, v24
	v_cmp_ngt_f32_e32 vcc, s23, v9
	v_ldexp_f32 v23, v25, v28
	v_ldexp_f32 v25, v27, v44
	;; [unrolled: 1-line block ×3, first 2 shown]
	v_cmp_ngt_f32_e64 s[8:9], s23, v21
	v_ldexp_f32 v6, v6, v50
	v_cmp_ngt_f32_e64 s[10:11], s23, v22
	v_cndmask_b32_e64 v12, 0, v12, s[12:13]
	v_cmp_nlt_f32_e64 s[12:13], s24, v5
	v_cmp_ngt_f32_e64 s[0:1], s23, v30
	v_cndmask_b32_e32 v13, 0, v13, vcc
	v_cmp_nlt_f32_e32 vcc, s24, v9
	v_cndmask_b32_e64 v27, 0, v27, s[8:9]
	v_cmp_nlt_f32_e64 s[8:9], s24, v21
	v_cndmask_b32_e64 v21, 0, v6, s[10:11]
	v_cndmask_b32_e64 v6, v8, v12, s[12:13]
	v_ldexp_f32 v24, v26, v29
	v_cmp_ngt_f32_e64 s[2:3], s23, v31
	v_cmp_ngt_f32_e64 s[4:5], s23, v40
	v_ldexp_f32 v26, v41, v46
	v_cmp_ngt_f32_e64 s[6:7], s23, v20
	v_cndmask_b32_e64 v9, 0, v23, s[0:1]
	v_cmp_nlt_f32_e64 s[0:1], s24, v30
	v_cndmask_b32_e32 v12, v8, v13, vcc
	s_waitcnt vmcnt(7)
	v_pk_fma_f32 v[2:3], v[6:7], v[32:33], v[2:3] op_sel_hi:[0,1,1]
	v_cndmask_b32_e64 v23, 0, v24, s[2:3]
	v_cmp_nlt_f32_e64 s[2:3], s24, v31
	v_cndmask_b32_e64 v24, 0, v25, s[4:5]
	v_cndmask_b32_e64 v25, 0, v26, s[6:7]
	v_cmp_nlt_f32_e64 s[6:7], s24, v20
	v_cndmask_b32_e64 v20, v8, v9, s[0:1]
	s_waitcnt vmcnt(6)
	v_pk_fma_f32 v[2:3], v[12:13], v[34:35], v[2:3] op_sel_hi:[0,1,1]
	v_cmp_nlt_f32_e64 s[4:5], s24, v40
	v_cmp_nlt_f32_e64 s[10:11], s24, v22
	v_cndmask_b32_e64 v22, v8, v23, s[2:3]
	s_waitcnt vmcnt(5)
	v_pk_fma_f32 v[2:3], v[20:21], v[36:37], v[2:3] op_sel_hi:[0,1,1]
	v_cndmask_b32_e64 v24, v8, v24, s[4:5]
	s_waitcnt vmcnt(4)
	v_pk_fma_f32 v[2:3], v[22:23], v[38:39], v[2:3] op_sel_hi:[0,1,1]
	;; [unrolled: 3-line block ×4, first 2 shown]
	s_add_i32 s25, s25, 8
	s_add_i32 s21, s21, 64
	v_cndmask_b32_e64 v30, v8, v21, s[10:11]
	s_waitcnt vmcnt(1)
	v_pk_fma_f32 v[2:3], v[28:29], v[16:17], v[2:3] op_sel_hi:[0,1,1]
	s_cmp_eq_u32 s20, s25
	v_add_u32_e32 v4, 0x400, v4
	s_waitcnt vmcnt(0)
	v_pk_fma_f32 v[2:3], v[30:31], v[18:19], v[2:3] op_sel_hi:[0,1,1]
	s_cbranch_scc0 .LBB28_24
; %bb.25:
	s_and_b32 s0, s19, 7
	s_cmp_eq_u32 s0, 0
	s_cbranch_scc0 .LBB28_28
	s_branch .LBB28_30
.LBB28_26:
	s_waitcnt lgkmcnt(0)
	v_mov_b32_e32 v1, 0x7fc00000
	s_branch .LBB28_31
.LBB28_27:
	v_mov_b32_e32 v2, 0
	s_mov_b32 s20, 0
	v_mov_b32_e32 v3, v2
	s_and_b32 s0, s19, 7
	s_cmp_eq_u32 s0, 0
	s_cbranch_scc1 .LBB28_30
.LBB28_28:
	s_lshl_b32 s1, s20, 3
	v_lshl_or_b32 v4, s20, 7, v0
	s_add_i32 s1, s1, 0
	s_mov_b32 s2, 0x3fb8aa3b
	s_mov_b32 s3, 0xc2ce8ed0
	;; [unrolled: 1-line block ×3, first 2 shown]
	v_mov_b32_e32 v6, 0x7f800000
	v_mov_b32_e32 v5, 0
.LBB28_29:                              ; =>This Inner Loop Header: Depth=1
	v_lshl_add_u64 v[8:9], v[4:5], 2, s[16:17]
	global_load_dword v9, v[8:9], off
	v_mov_b32_e32 v7, s1
	ds_read_b64 v[10:11], v7
	s_add_i32 s1, s1, 8
	s_add_i32 s0, s0, -1
	v_add_u32_e32 v4, 0x80, v4
	s_cmp_lg_u32 s0, 0
	s_waitcnt lgkmcnt(0)
	v_sub_f32_e32 v7, v10, v1
	v_mul_f32_e32 v8, 0x3fb8aa3b, v7
	v_fma_f32 v10, v7, s2, -v8
	v_rndne_f32_e32 v12, v8
	v_fmac_f32_e32 v10, 0x32a5705f, v7
	v_sub_f32_e32 v8, v8, v12
	v_add_f32_e32 v8, v8, v10
	v_cvt_i32_f32_e32 v12, v12
	v_exp_f32_e32 v10, v8
	v_cmp_ngt_f32_e32 vcc, s3, v7
	v_mov_b32_e32 v8, v11
	v_ldexp_f32 v10, v10, v12
	v_cndmask_b32_e32 v10, 0, v10, vcc
	v_cmp_nlt_f32_e32 vcc, s4, v7
	s_nop 1
	v_cndmask_b32_e32 v10, v6, v10, vcc
	s_waitcnt vmcnt(0)
	v_pk_fma_f32 v[2:3], v[10:11], v[8:9], v[2:3] op_sel_hi:[0,1,1]
	s_cbranch_scc1 .LBB28_29
.LBB28_30:
	s_waitcnt lgkmcnt(0)
	v_div_scale_f32 v1, s[0:1], v2, v2, v3
	v_rcp_f32_e32 v4, v1
	v_div_scale_f32 v5, vcc, v3, v2, v3
	v_fma_f32 v6, -v1, v4, 1.0
	v_fmac_f32_e32 v4, v6, v4
	v_mul_f32_e32 v6, v5, v4
	v_fma_f32 v7, -v1, v6, v5
	v_fmac_f32_e32 v6, v7, v4
	v_fma_f32 v1, -v1, v6, v5
	v_div_fmas_f32 v1, v1, v4, v6
	v_div_fixup_f32 v1, v1, v2, v3
.LBB28_31:
	s_lshl_b32 s0, s18, 7
	s_ashr_i32 s1, s0, 31
	s_lshl_b64 s[0:1], s[0:1], 2
	s_add_u32 s0, s14, s0
	s_addc_u32 s1, s15, s1
	v_lshlrev_b32_e32 v0, 2, v0
	global_store_dword v0, v1, s[0:1]
	s_endpgm
	.section	.rodata,"a",@progbits
	.p2align	6, 0x0
	.amdhsa_kernel _ZL26flash_attn_combine_resultsILi128EEvPKfPK15HIP_vector_typeIfLj2EEPfi
		.amdhsa_group_segment_fixed_size 0
		.amdhsa_private_segment_fixed_size 0
		.amdhsa_kernarg_size 288
		.amdhsa_user_sgpr_count 2
		.amdhsa_user_sgpr_dispatch_ptr 0
		.amdhsa_user_sgpr_queue_ptr 0
		.amdhsa_user_sgpr_kernarg_segment_ptr 1
		.amdhsa_user_sgpr_dispatch_id 0
		.amdhsa_user_sgpr_kernarg_preload_length 0
		.amdhsa_user_sgpr_kernarg_preload_offset 0
		.amdhsa_user_sgpr_private_segment_size 0
		.amdhsa_uses_dynamic_stack 0
		.amdhsa_enable_private_segment 0
		.amdhsa_system_sgpr_workgroup_id_x 1
		.amdhsa_system_sgpr_workgroup_id_y 1
		.amdhsa_system_sgpr_workgroup_id_z 1
		.amdhsa_system_sgpr_workgroup_info 0
		.amdhsa_system_vgpr_workitem_id 0
		.amdhsa_next_free_vgpr 59
		.amdhsa_next_free_sgpr 26
		.amdhsa_accum_offset 60
		.amdhsa_reserve_vcc 1
		.amdhsa_float_round_mode_32 0
		.amdhsa_float_round_mode_16_64 0
		.amdhsa_float_denorm_mode_32 3
		.amdhsa_float_denorm_mode_16_64 3
		.amdhsa_dx10_clamp 1
		.amdhsa_ieee_mode 1
		.amdhsa_fp16_overflow 0
		.amdhsa_tg_split 0
		.amdhsa_exception_fp_ieee_invalid_op 0
		.amdhsa_exception_fp_denorm_src 0
		.amdhsa_exception_fp_ieee_div_zero 0
		.amdhsa_exception_fp_ieee_overflow 0
		.amdhsa_exception_fp_ieee_underflow 0
		.amdhsa_exception_fp_ieee_inexact 0
		.amdhsa_exception_int_div_zero 0
	.end_amdhsa_kernel
	.section	.text._ZL26flash_attn_combine_resultsILi128EEvPKfPK15HIP_vector_typeIfLj2EEPfi,"axG",@progbits,_ZL26flash_attn_combine_resultsILi128EEvPKfPK15HIP_vector_typeIfLj2EEPfi,comdat
.Lfunc_end28:
	.size	_ZL26flash_attn_combine_resultsILi128EEvPKfPK15HIP_vector_typeIfLj2EEPfi, .Lfunc_end28-_ZL26flash_attn_combine_resultsILi128EEvPKfPK15HIP_vector_typeIfLj2EEPfi
                                        ; -- End function
	.set _ZL26flash_attn_combine_resultsILi128EEvPKfPK15HIP_vector_typeIfLj2EEPfi.num_vgpr, 59
	.set _ZL26flash_attn_combine_resultsILi128EEvPKfPK15HIP_vector_typeIfLj2EEPfi.num_agpr, 0
	.set _ZL26flash_attn_combine_resultsILi128EEvPKfPK15HIP_vector_typeIfLj2EEPfi.numbered_sgpr, 26
	.set _ZL26flash_attn_combine_resultsILi128EEvPKfPK15HIP_vector_typeIfLj2EEPfi.num_named_barrier, 0
	.set _ZL26flash_attn_combine_resultsILi128EEvPKfPK15HIP_vector_typeIfLj2EEPfi.private_seg_size, 0
	.set _ZL26flash_attn_combine_resultsILi128EEvPKfPK15HIP_vector_typeIfLj2EEPfi.uses_vcc, 1
	.set _ZL26flash_attn_combine_resultsILi128EEvPKfPK15HIP_vector_typeIfLj2EEPfi.uses_flat_scratch, 0
	.set _ZL26flash_attn_combine_resultsILi128EEvPKfPK15HIP_vector_typeIfLj2EEPfi.has_dyn_sized_stack, 0
	.set _ZL26flash_attn_combine_resultsILi128EEvPKfPK15HIP_vector_typeIfLj2EEPfi.has_recursion, 0
	.set _ZL26flash_attn_combine_resultsILi128EEvPKfPK15HIP_vector_typeIfLj2EEPfi.has_indirect_call, 0
	.section	.AMDGPU.csdata,"",@progbits
; Kernel info:
; codeLenInByte = 2924
; TotalNumSgprs: 32
; NumVgprs: 59
; NumAgprs: 0
; TotalNumVgprs: 59
; ScratchSize: 0
; MemoryBound: 0
; FloatMode: 240
; IeeeMode: 1
; LDSByteSize: 0 bytes/workgroup (compile time only)
; SGPRBlocks: 3
; VGPRBlocks: 7
; NumSGPRsForWavesPerEU: 32
; NumVGPRsForWavesPerEU: 59
; AccumOffset: 60
; Occupancy: 8
; WaveLimiterHint : 0
; COMPUTE_PGM_RSRC2:SCRATCH_EN: 0
; COMPUTE_PGM_RSRC2:USER_SGPR: 2
; COMPUTE_PGM_RSRC2:TRAP_HANDLER: 0
; COMPUTE_PGM_RSRC2:TGID_X_EN: 1
; COMPUTE_PGM_RSRC2:TGID_Y_EN: 1
; COMPUTE_PGM_RSRC2:TGID_Z_EN: 1
; COMPUTE_PGM_RSRC2:TIDIG_COMP_CNT: 0
; COMPUTE_PGM_RSRC3_GFX90A:ACCUM_OFFSET: 14
; COMPUTE_PGM_RSRC3_GFX90A:TG_SPLIT: 0
	.section	.text._ZL18flash_attn_ext_f16ILi256ELi256ELi16ELi4ELb0ELb0EEvPKcS1_S1_S1_S1_PKiPfP15HIP_vector_typeIfLj2EEffffjfiS5_IjLj3EEiiiiiiiiiiiliiliiiiil,"axG",@progbits,_ZL18flash_attn_ext_f16ILi256ELi256ELi16ELi4ELb0ELb0EEvPKcS1_S1_S1_S1_PKiPfP15HIP_vector_typeIfLj2EEffffjfiS5_IjLj3EEiiiiiiiiiiiliiliiiiil,comdat
	.globl	_ZL18flash_attn_ext_f16ILi256ELi256ELi16ELi4ELb0ELb0EEvPKcS1_S1_S1_S1_PKiPfP15HIP_vector_typeIfLj2EEffffjfiS5_IjLj3EEiiiiiiiiiiiliiliiiiil ; -- Begin function _ZL18flash_attn_ext_f16ILi256ELi256ELi16ELi4ELb0ELb0EEvPKcS1_S1_S1_S1_PKiPfP15HIP_vector_typeIfLj2EEffffjfiS5_IjLj3EEiiiiiiiiiiiliiliiiiil
	.p2align	8
	.type	_ZL18flash_attn_ext_f16ILi256ELi256ELi16ELi4ELb0ELb0EEvPKcS1_S1_S1_S1_PKiPfP15HIP_vector_typeIfLj2EEffffjfiS5_IjLj3EEiiiiiiiiiiiliiliiiiil,@function
_ZL18flash_attn_ext_f16ILi256ELi256ELi16ELi4ELb0ELb0EEvPKcS1_S1_S1_S1_PKiPfP15HIP_vector_typeIfLj2EEffffjfiS5_IjLj3EEiiiiiiiiiiiliiliiiiil: ; @_ZL18flash_attn_ext_f16ILi256ELi256ELi16ELi4ELb0ELb0EEvPKcS1_S1_S1_S1_PKiPfP15HIP_vector_typeIfLj2EEffffjfiS5_IjLj3EEiiiiiiiiiiiliiliiiiil
; %bb.0:
	s_load_dwordx2 s[4:5], s[0:1], 0x80
	s_load_dwordx4 s[36:39], s[0:1], 0x64
	s_load_dword s33, s[0:1], 0xd0
	s_mov_b32 s6, 0
	s_waitcnt lgkmcnt(0)
	s_abs_i32 s3, s5
	v_cvt_f32_u32_e32 v1, s3
	s_sub_i32 s9, 0, s3
	s_abs_i32 s8, s37
	s_xor_b32 s7, s37, s5
	v_rcp_iflag_f32_e32 v1, v1
	s_ashr_i32 s7, s7, 31
	v_mul_f32_e32 v1, 0x4f7ffffe, v1
	v_cvt_u32_f32_e32 v1, v1
	s_nop 0
	v_readfirstlane_b32 s10, v1
	s_mul_i32 s9, s9, s10
	s_mul_hi_u32 s9, s10, s9
	s_add_i32 s10, s10, s9
	s_mul_hi_u32 s9, s8, s10
	s_mul_i32 s10, s9, s3
	s_sub_i32 s8, s8, s10
	s_add_i32 s11, s9, 1
	s_sub_i32 s10, s8, s3
	s_cmp_ge_u32 s8, s3
	s_cselect_b32 s9, s11, s9
	s_cselect_b32 s8, s10, s8
	s_add_i32 s10, s9, 1
	s_cmp_ge_u32 s8, s3
	s_cselect_b32 s3, s10, s9
	s_add_i32 s4, s4, 63
	s_xor_b32 s3, s3, s7
	s_ashr_i32 s8, s4, 31
	s_sub_i32 s3, s3, s7
	s_lshr_b32 s7, s8, 26
	s_add_i32 s4, s4, s7
	s_ashr_i32 s84, s4, 6
	s_add_i32 s4, s36, 15
	s_lshr_b32 s80, s4, 4
	s_add_i32 s4, s3, 3
	s_ashr_i32 s7, s4, 31
	s_lshr_b32 s7, s7, 30
	s_add_i32 s4, s4, s7
	s_ashr_i32 s4, s4, 2
	s_mul_i32 s81, s80, s84
	s_mul_i32 s82, s81, s4
	;; [unrolled: 1-line block ×4, first 2 shown]
	s_ashr_i32 s11, s10, 31
	s_mul_i32 s4, s11, s2
	s_mul_hi_u32 s5, s10, s2
	s_add_i32 s7, s5, s4
	s_add_u32 s14, s0, 0xd0
	s_addc_u32 s15, s1, 0
	s_cmp_lg_u64 s[6:7], 0
	s_mul_i32 s6, s10, s2
	s_cbranch_scc0 .LBB29_464
; %bb.1:
	s_add_u32 s4, s33, 0
	s_addc_u32 s5, 0, 0
	s_xor_b64 s[8:9], s[4:5], 0
	v_cvt_f32_u32_e32 v1, s8
	v_cvt_f32_u32_e32 v2, s9
	s_sub_u32 s16, 0, s8
	s_subb_u32 s17, 0, s9
	v_fmamk_f32 v1, v2, 0x4f800000, v1
	v_rcp_f32_e32 v1, v1
	s_nop 0
	v_mul_f32_e32 v1, 0x5f7ffffc, v1
	v_mul_f32_e32 v2, 0x2f800000, v1
	v_trunc_f32_e32 v2, v2
	v_fmamk_f32 v1, v2, 0xcf800000, v1
	v_cvt_u32_f32_e32 v2, v2
	v_cvt_u32_f32_e32 v1, v1
	v_readfirstlane_b32 s18, v2
	v_readfirstlane_b32 s12, v1
	s_mul_i32 s13, s16, s18
	s_mul_hi_u32 s20, s16, s12
	s_mul_i32 s19, s17, s12
	s_add_i32 s13, s20, s13
	s_add_i32 s13, s13, s19
	s_mul_i32 s21, s16, s12
	s_mul_i32 s20, s12, s13
	s_mul_hi_u32 s22, s12, s21
	s_mul_hi_u32 s19, s12, s13
	s_add_u32 s20, s22, s20
	s_addc_u32 s19, 0, s19
	s_mul_hi_u32 s23, s18, s21
	s_mul_i32 s21, s18, s21
	s_add_u32 s20, s20, s21
	s_mul_hi_u32 s22, s18, s13
	s_addc_u32 s19, s19, s23
	s_addc_u32 s20, s22, 0
	s_mul_i32 s13, s18, s13
	s_add_u32 s13, s19, s13
	s_addc_u32 s19, 0, s20
	s_add_u32 s20, s12, s13
	s_cselect_b64 s[12:13], -1, 0
	s_cmp_lg_u64 s[12:13], 0
	s_addc_u32 s18, s18, s19
	s_mul_i32 s12, s16, s18
	s_mul_hi_u32 s13, s16, s20
	s_add_i32 s12, s13, s12
	s_mul_i32 s17, s17, s20
	s_add_i32 s12, s12, s17
	s_mul_i32 s16, s16, s20
	s_mul_hi_u32 s17, s18, s16
	s_mul_i32 s19, s18, s16
	s_mul_i32 s22, s20, s12
	s_mul_hi_u32 s16, s20, s16
	s_mul_hi_u32 s21, s20, s12
	s_add_u32 s16, s16, s22
	s_addc_u32 s21, 0, s21
	s_add_u32 s16, s16, s19
	s_mul_hi_u32 s13, s18, s12
	s_addc_u32 s16, s21, s17
	s_addc_u32 s13, s13, 0
	s_mul_i32 s12, s18, s12
	s_add_u32 s12, s16, s12
	s_addc_u32 s16, 0, s13
	s_add_u32 s19, s20, s12
	s_cselect_b64 s[12:13], -1, 0
	s_cmp_lg_u64 s[12:13], 0
	s_addc_u32 s18, s18, s16
	s_ashr_i32 s12, s7, 31
	s_add_u32 s16, s6, s12
	s_mov_b32 s13, s12
	s_addc_u32 s17, s7, s12
	s_xor_b64 s[16:17], s[16:17], s[12:13]
	s_mul_i32 s20, s16, s18
	s_mul_hi_u32 s21, s16, s19
	s_mul_hi_u32 s7, s16, s18
	s_add_u32 s20, s21, s20
	s_addc_u32 s7, 0, s7
	s_mul_hi_u32 s22, s17, s19
	s_mul_i32 s19, s17, s19
	s_add_u32 s19, s20, s19
	s_mul_hi_u32 s21, s17, s18
	s_addc_u32 s7, s7, s22
	s_addc_u32 s19, s21, 0
	s_mul_i32 s18, s17, s18
	s_add_u32 s7, s7, s18
	s_addc_u32 s22, 0, s19
	s_mul_i32 s18, s8, s22
	s_mul_hi_u32 s19, s8, s7
	s_add_i32 s18, s19, s18
	s_mul_i32 s19, s9, s7
	s_add_i32 s23, s18, s19
	s_sub_i32 s20, s17, s23
	s_mul_i32 s18, s8, s7
	s_sub_u32 s16, s16, s18
	s_cselect_b64 s[18:19], -1, 0
	s_cmp_lg_u64 s[18:19], 0
	s_subb_u32 s24, s20, s9
	s_sub_u32 s25, s16, s8
	s_cselect_b64 s[20:21], -1, 0
	s_cmp_lg_u64 s[20:21], 0
	s_subb_u32 s20, s24, 0
	s_cmp_ge_u32 s20, s9
	s_cselect_b32 s21, -1, 0
	s_cmp_ge_u32 s25, s8
	s_cselect_b32 s24, -1, 0
	s_cmp_eq_u32 s20, s9
	s_cselect_b32 s20, s24, s21
	s_add_u32 s21, s7, 1
	s_addc_u32 s24, s22, 0
	s_add_u32 s25, s7, 2
	s_addc_u32 s26, s22, 0
	s_cmp_lg_u32 s20, 0
	s_cselect_b32 s20, s25, s21
	s_cselect_b32 s21, s26, s24
	s_cmp_lg_u64 s[18:19], 0
	s_subb_u32 s17, s17, s23
	s_cmp_ge_u32 s17, s9
	s_cselect_b32 s18, -1, 0
	s_cmp_ge_u32 s16, s8
	s_cselect_b32 s8, -1, 0
	s_cmp_eq_u32 s17, s9
	s_cselect_b32 s8, s8, s18
	s_cmp_lg_u32 s8, 0
	s_cselect_b32 s9, s21, s22
	s_cselect_b32 s8, s20, s7
	s_xor_b64 s[12:13], s[12:13], 0
	s_xor_b64 s[8:9], s[8:9], s[12:13]
	s_sub_u32 s56, s8, s12
	s_load_dwordx2 s[54:55], s[0:1], 0x74
	v_cvt_f32_u32_e32 v1, s33
	s_cbranch_execnz .LBB29_3
.LBB29_2:
	v_rcp_iflag_f32_e32 v2, v1
	s_sub_i32 s4, 0, s33
	v_mul_f32_e32 v2, 0x4f7ffffe, v2
	v_cvt_u32_f32_e32 v2, v2
	s_nop 0
	v_readfirstlane_b32 s5, v2
	s_mul_i32 s4, s4, s5
	s_mul_hi_u32 s4, s5, s4
	s_add_i32 s5, s5, s4
	s_mul_hi_u32 s4, s6, s5
	s_mul_i32 s7, s4, s33
	s_sub_i32 s6, s6, s7
	s_add_i32 s5, s4, 1
	s_sub_i32 s7, s6, s33
	s_cmp_ge_u32 s6, s33
	s_cselect_b32 s4, s5, s4
	s_cselect_b32 s6, s7, s6
	s_add_i32 s5, s4, 1
	s_cmp_ge_u32 s6, s33
	s_cselect_b32 s56, s5, s4
.LBB29_3:
	s_add_i32 s4, s2, 1
	s_mul_i32 s5, s11, s4
	s_mul_hi_u32 s6, s10, s4
	s_add_i32 s9, s6, s5
	s_mov_b32 s8, 0
	s_cmp_lg_u64 s[8:9], 0
	s_mul_i32 s8, s10, s4
	s_cbranch_scc0 .LBB29_465
; %bb.4:
	s_add_u32 s4, s33, 0
	s_addc_u32 s5, 0, 0
	s_xor_b64 s[6:7], s[4:5], 0
	v_cvt_f32_u32_e32 v2, s6
	v_cvt_f32_u32_e32 v3, s7
	s_sub_u32 s12, 0, s6
	s_subb_u32 s13, 0, s7
	v_fmamk_f32 v2, v3, 0x4f800000, v2
	v_rcp_f32_e32 v2, v2
	s_nop 0
	v_mul_f32_e32 v2, 0x5f7ffffc, v2
	v_mul_f32_e32 v3, 0x2f800000, v2
	v_trunc_f32_e32 v3, v3
	v_fmamk_f32 v2, v3, 0xcf800000, v2
	v_cvt_u32_f32_e32 v3, v3
	v_cvt_u32_f32_e32 v2, v2
	v_readfirstlane_b32 s16, v3
	v_readfirstlane_b32 s10, v2
	s_mul_i32 s11, s12, s16
	s_mul_hi_u32 s18, s12, s10
	s_mul_i32 s17, s13, s10
	s_add_i32 s11, s18, s11
	s_add_i32 s11, s11, s17
	s_mul_i32 s19, s12, s10
	s_mul_i32 s18, s10, s11
	s_mul_hi_u32 s20, s10, s19
	s_mul_hi_u32 s17, s10, s11
	s_add_u32 s18, s20, s18
	s_addc_u32 s17, 0, s17
	s_mul_hi_u32 s21, s16, s19
	s_mul_i32 s19, s16, s19
	s_add_u32 s18, s18, s19
	s_mul_hi_u32 s20, s16, s11
	s_addc_u32 s17, s17, s21
	s_addc_u32 s18, s20, 0
	s_mul_i32 s11, s16, s11
	s_add_u32 s11, s17, s11
	s_addc_u32 s17, 0, s18
	s_add_u32 s18, s10, s11
	s_cselect_b64 s[10:11], -1, 0
	s_cmp_lg_u64 s[10:11], 0
	s_addc_u32 s16, s16, s17
	s_mul_i32 s10, s12, s16
	s_mul_hi_u32 s11, s12, s18
	s_add_i32 s10, s11, s10
	s_mul_i32 s13, s13, s18
	s_add_i32 s10, s10, s13
	s_mul_i32 s12, s12, s18
	s_mul_hi_u32 s13, s16, s12
	s_mul_i32 s17, s16, s12
	s_mul_i32 s20, s18, s10
	s_mul_hi_u32 s12, s18, s12
	s_mul_hi_u32 s19, s18, s10
	s_add_u32 s12, s12, s20
	s_addc_u32 s19, 0, s19
	s_add_u32 s12, s12, s17
	s_mul_hi_u32 s11, s16, s10
	s_addc_u32 s12, s19, s13
	s_addc_u32 s11, s11, 0
	s_mul_i32 s10, s16, s10
	s_add_u32 s10, s12, s10
	s_addc_u32 s12, 0, s11
	s_add_u32 s17, s18, s10
	s_cselect_b64 s[10:11], -1, 0
	s_cmp_lg_u64 s[10:11], 0
	s_addc_u32 s16, s16, s12
	s_ashr_i32 s10, s9, 31
	s_add_u32 s12, s8, s10
	s_mov_b32 s11, s10
	s_addc_u32 s13, s9, s10
	s_xor_b64 s[12:13], s[12:13], s[10:11]
	s_mul_i32 s18, s12, s16
	s_mul_hi_u32 s19, s12, s17
	s_mul_hi_u32 s9, s12, s16
	s_add_u32 s18, s19, s18
	s_addc_u32 s9, 0, s9
	s_mul_hi_u32 s20, s13, s17
	s_mul_i32 s17, s13, s17
	s_add_u32 s17, s18, s17
	s_mul_hi_u32 s19, s13, s16
	s_addc_u32 s9, s9, s20
	s_addc_u32 s17, s19, 0
	s_mul_i32 s16, s13, s16
	s_add_u32 s9, s9, s16
	s_addc_u32 s20, 0, s17
	s_mul_i32 s16, s6, s20
	s_mul_hi_u32 s17, s6, s9
	s_add_i32 s16, s17, s16
	s_mul_i32 s17, s7, s9
	s_add_i32 s21, s16, s17
	s_sub_i32 s18, s13, s21
	s_mul_i32 s16, s6, s9
	s_sub_u32 s12, s12, s16
	s_cselect_b64 s[16:17], -1, 0
	s_cmp_lg_u64 s[16:17], 0
	s_subb_u32 s22, s18, s7
	s_sub_u32 s23, s12, s6
	s_cselect_b64 s[18:19], -1, 0
	s_cmp_lg_u64 s[18:19], 0
	s_subb_u32 s18, s22, 0
	s_cmp_ge_u32 s18, s7
	s_cselect_b32 s19, -1, 0
	s_cmp_ge_u32 s23, s6
	s_cselect_b32 s22, -1, 0
	s_cmp_eq_u32 s18, s7
	s_cselect_b32 s18, s22, s19
	s_add_u32 s19, s9, 1
	s_addc_u32 s22, s20, 0
	s_add_u32 s23, s9, 2
	s_addc_u32 s24, s20, 0
	s_cmp_lg_u32 s18, 0
	s_cselect_b32 s18, s23, s19
	s_cselect_b32 s19, s24, s22
	s_cmp_lg_u64 s[16:17], 0
	s_subb_u32 s13, s13, s21
	s_cmp_ge_u32 s13, s7
	s_cselect_b32 s16, -1, 0
	s_cmp_ge_u32 s12, s6
	s_cselect_b32 s6, -1, 0
	s_cmp_eq_u32 s13, s7
	s_cselect_b32 s6, s6, s16
	s_cmp_lg_u32 s6, 0
	s_cselect_b32 s7, s19, s20
	s_cselect_b32 s6, s18, s9
	s_xor_b64 s[10:11], s[10:11], 0
	s_xor_b64 s[6:7], s[6:7], s[10:11]
	s_sub_u32 s60, s6, s10
	s_load_dwordx2 s[46:47], s[0:1], 0x5c
	s_cbranch_execnz .LBB29_6
.LBB29_5:
	v_rcp_iflag_f32_e32 v1, v1
	s_sub_i32 s4, 0, s33
	v_mul_f32_e32 v1, 0x4f7ffffe, v1
	v_cvt_u32_f32_e32 v1, v1
	s_nop 0
	v_readfirstlane_b32 s5, v1
	s_mul_i32 s4, s4, s5
	s_mul_hi_u32 s4, s5, s4
	s_add_i32 s5, s5, s4
	s_mul_hi_u32 s4, s8, s5
	s_mul_i32 s6, s4, s33
	s_sub_i32 s6, s8, s6
	s_add_i32 s5, s4, 1
	s_sub_i32 s7, s6, s33
	s_cmp_ge_u32 s6, s33
	s_cselect_b32 s4, s5, s4
	s_cselect_b32 s6, s7, s6
	s_add_i32 s5, s4, 1
	s_cmp_ge_u32 s6, s33
	s_cselect_b32 s60, s5, s4
.LBB29_6:
	s_abs_i32 s85, s84
	v_cvt_f32_u32_e32 v1, s85
	s_load_dwordx16 s[16:31], s[0:1], 0x0
	s_load_dword s6, s[0:1], 0x40
	s_load_dwordx2 s[52:53], s[0:1], 0x8c
	s_load_dwordx4 s[40:43], s[0:1], 0x98
	s_load_dwordx2 s[48:49], s[0:1], 0xa8
	s_load_dwordx2 s[58:59], s[0:1], 0xb8
	;; [unrolled: 1-line block ×3, first 2 shown]
	s_waitcnt lgkmcnt(0)
	s_ashr_i32 s34, s52, 2
	s_sub_i32 s4, 0, s85
	v_rcp_iflag_f32_e32 v1, v1
	s_abs_i32 s1, s56
	s_ashr_i32 s57, s39, 3
	s_ashr_i32 s61, s54, 3
	v_mul_f32_e32 v1, 0x4f7ffffe, v1
	v_cvt_u32_f32_e32 v1, v1
	s_ashr_i32 s44, s59, 1
	s_ashr_i32 s38, s42, 2
	;; [unrolled: 1-line block ×3, first 2 shown]
	v_readfirstlane_b32 s52, v1
	s_mul_i32 s4, s4, s52
	s_mul_hi_u32 s4, s52, s4
	s_add_i32 s52, s52, s4
	s_mul_hi_u32 s4, s1, s52
	s_mul_i32 s4, s4, s85
	s_sub_i32 s1, s1, s4
	s_ashr_i32 s42, s84, 31
	s_sub_i32 s4, s1, s85
	s_cmp_ge_u32 s1, s85
	s_cselect_b32 s1, s4, s1
	s_sub_i32 s4, s1, s85
	s_cmp_ge_u32 s1, s85
	s_cselect_b32 s1, s4, s1
	s_xor_b32 s1, s1, s0
	s_sub_i32 s76, s1, s0
	s_sub_i32 s0, s60, s56
	s_add_i32 s4, s0, s76
	s_min_i32 s98, s84, s4
	s_cmp_gt_i32 s60, s56
	s_cselect_b64 s[8:9], -1, 0
	s_cmp_le_i32 s60, s56
	s_cselect_b64 s[0:1], -1, 0
	s_cmp_gt_i32 s84, s4
	v_cvt_f16_f32_e32 v181, s6
	s_cselect_b64 s[4:5], -1, 0
	s_or_b64 s[0:1], s[4:5], s[0:1]
	v_bfe_u32 v125, v0, 10, 10
	s_mov_b32 s63, 0
	s_and_b64 vcc, exec, s[0:1]
	v_bfe_u32 v99, v0, 10, 2
	v_lshlrev_b32_e32 v129, 3, v125
	v_lshrrev_b32_e32 v182, 10, v0
	v_add_u32_e32 v180, 8, v125
	v_add_u32_e32 v179, 16, v125
	;; [unrolled: 1-line block ×7, first 2 shown]
	s_cbranch_vccnz .LBB29_426
; %bb.7:
	v_and_b32_e32 v98, 0x3ff, v0
	v_and_b32_e32 v3, 0xff0, v129
	s_movk_i32 s12, 0x210
	v_and_b32_e32 v5, 15, v0
	v_lshrrev_b32_e32 v7, 1, v0
	v_lshlrev_b32_e32 v2, 2, v98
	v_mad_u32_u24 v4, v3, s12, 0
	v_mul_u32_u24_e32 v6, 0x210, v5
	v_and_b32_e32 v7, 0xf8, v7
	v_add_u32_e32 v183, 0, v2
	v_add3_u32 v184, v4, v6, v7
	v_bfe_u32 v4, v0, 5, 5
	v_and_b32_e32 v100, 0x7c, v2
	v_lshlrev_b32_e32 v2, 4, v125
	v_bfe_u32 v9, v0, 2, 8
	v_lshl_add_u32 v185, v125, 1, v4
	v_and_b32_e32 v4, 16, v2
	v_and_b32_e32 v10, 0x7c, v9
	v_and_or_b32 v3, v0, 12, v3
	v_mul_u32_u24_e32 v8, 0x210, v4
	v_add_u32_e32 v11, v10, v4
	v_lshrrev_b32_e32 v3, 2, v3
	v_add_u16_e32 v4, v10, v4
	s_movk_i32 s0, 0x90
	v_lshrrev_b16_e32 v4, 1, v4
	v_and_b32_e32 v12, 8, v129
	v_or_b32_e32 v9, 3, v9
	v_mad_u32_u24 v13, v185, s0, 0
	v_add_u32_e32 v187, 0, v7
	v_mad_u32_u24 v3, v3, s0, 0
	s_movk_i32 s0, 0x420
	v_mul_u32_u24_e32 v10, 0x210, v10
	v_mul_u32_u24_e32 v9, 0x210, v9
	v_add3_u32 v188, v187, v6, v8
	v_lshl_add_u32 v189, v4, 2, v3
	v_mad_u32_u24 v4, v12, s0, 0
	v_lshlrev_b32_e32 v6, 1, v5
	v_add3_u32 v190, v4, v10, v6
	v_add3_u32 v191, v4, v9, v6
	v_bfe_u32 v4, v0, 10, 1
	s_cmp_eq_u64 s[24:25], 0
	v_cmp_eq_u32_e64 s[0:1], 0, v4
	v_and_b32_e32 v4, 0x400, v0
	s_cselect_b64 s[64:65], -1, 0
	s_cmp_lg_u64 s[26:27], 0
	v_cmp_ne_u32_e64 s[10:11], 0, v4
	v_bfe_u32 v4, v182, 1, 9
	s_cselect_b64 s[66:67], -1, 0
	s_lshl_b32 s62, s2, 6
	v_add_u32_e32 v6, 4, v4
	s_lshl_b64 s[6:7], s[62:63], 3
	v_lshlrev_b32_e32 v7, 1, v6
	v_and_b32_e32 v8, 15, v6
	s_movk_i32 s62, 0x3e0
	v_and_or_b32 v7, v7, s62, v8
	v_add_u32_e32 v8, 8, v4
	v_lshlrev_b32_e32 v9, 1, v8
	v_and_b32_e32 v10, 15, v8
	v_and_or_b32 v9, v9, s62, v10
	v_add_u32_e32 v10, 12, v4
	v_lshl_add_u32 v3, v11, 1, v3
	v_lshlrev_b32_e32 v11, 1, v10
	v_and_b32_e32 v12, 15, v10
	v_mul_u32_u24_e32 v14, 0x180, v185
	v_lshlrev_b32_e32 v15, 2, v100
	v_and_or_b32 v11, v11, s62, v12
	v_add_u32_e32 v12, 20, v4
	v_add3_u32 v186, v13, v14, v15
	v_lshlrev_b32_e32 v14, 1, v12
	v_and_b32_e32 v15, 15, v12
	s_ashr_i32 s45, s44, 31
	s_ashr_i32 s35, s34, 31
	s_lshl_b32 s4, s34, 4
	s_ashr_i32 s39, s38, 31
	s_lshl_b32 s5, s38, 4
	v_and_or_b32 v14, v14, s62, v15
	v_add_u32_e32 v15, 24, v4
	s_add_u32 s8, s30, s6
	v_lshlrev_b32_e32 v16, 1, v15
	v_and_b32_e32 v17, 15, v15
	s_addc_u32 s9, s31, s7
	v_and_or_b32 v16, v16, s62, v17
	v_add_u32_e32 v17, 28, v4
	s_abs_i32 s86, s83
	v_lshlrev_b32_e32 v18, 1, v17
	v_and_b32_e32 v19, 15, v17
	v_cvt_f32_u32_e32 v30, s86
	v_and_or_b32 v18, v18, s62, v19
	v_add_u32_e32 v19, 36, v4
	v_lshlrev_b32_e32 v20, 1, v19
	v_and_b32_e32 v21, 15, v19
	v_and_or_b32 v20, v20, s62, v21
	v_add_u32_e32 v21, 40, v4
	v_lshlrev_b32_e32 v22, 1, v21
	v_and_b32_e32 v23, 15, v21
	v_rcp_iflag_f32_e32 v30, v30
	v_and_or_b32 v22, v22, s62, v23
	v_add_u32_e32 v23, 44, v4
	v_lshlrev_b32_e32 v24, 1, v23
	v_and_b32_e32 v25, 15, v23
	v_and_or_b32 v24, v24, s62, v25
	v_add_u32_e32 v25, 52, v4
	v_lshlrev_b32_e32 v26, 1, v25
	v_and_b32_e32 v27, 15, v25
	s_abs_i32 s87, s82
	v_mul_f32_e32 v30, 0x4f7ffffe, v30
	v_and_or_b32 v26, v26, s62, v27
	v_add_u32_e32 v27, 56, v4
	v_cvt_f32_u32_e32 v33, s87
	v_cvt_u32_f32_e32 v30, v30
	v_lshlrev_b32_e32 v28, 1, v27
	v_and_b32_e32 v29, 15, v27
	s_abs_i32 s88, s81
	v_and_or_b32 v28, v28, s62, v29
	v_add_u32_e32 v29, 60, v4
	v_cvt_f32_u32_e32 v34, s88
	v_lshlrev_b32_e32 v31, 1, v29
	v_and_b32_e32 v32, 15, v29
	s_sub_i32 s6, 0, s86
	v_and_or_b32 v31, v31, s62, v32
	v_rcp_iflag_f32_e32 v32, v33
	v_mul_lo_u32 v33, s6, v30
	v_mul_hi_u32 v33, v30, v33
	v_add_u32_e32 v192, v30, v33
	v_rcp_iflag_f32_e32 v33, v34
	s_abs_i32 s89, s58
	v_cvt_f32_u32_e32 v34, s89
	v_mul_f32_e32 v32, 0x4f7ffffe, v32
	v_cvt_u32_f32_e32 v32, v32
	v_mul_f32_e32 v33, 0x4f7ffffe, v33
	v_cvt_u32_f32_e32 v33, v33
	v_rcp_iflag_f32_e32 v34, v34
	s_sub_i32 s6, 0, s87
	v_mul_lo_u32 v30, s6, v32
	v_mul_hi_u32 v30, v32, v30
	s_sub_i32 s6, 0, s88
	v_add_u32_e32 v193, v32, v30
	v_mul_lo_u32 v30, s6, v33
	v_mul_f32_e32 v32, 0x4f7ffffe, v34
	v_cvt_u32_f32_e32 v32, v32
	v_mul_hi_u32 v30, v33, v30
	v_add_u32_e32 v194, v33, v30
	v_or_b32_e32 v30, v129, v98
	v_add_u32_e32 v196, 64, v3
	v_add_u32_e32 v197, 0x44, v3
	v_or_b32_e32 v3, v2, v98
	v_lshlrev_b32_e32 v102, 3, v30
	v_lshlrev_b32_e32 v30, 1, v98
	v_mul_u32_u24_e32 v198, 0x110, v3
	v_or_b32_e32 v3, v2, v5
	v_and_b32_e32 v5, 31, v0
	v_and_b32_e32 v120, 62, v30
	v_or_b32_e32 v2, v2, v5
	v_mul_u32_u24_e32 v200, 0x110, v3
	v_add_u32_e32 v3, 16, v4
	v_add_u32_e32 v30, 32, v4
	;; [unrolled: 1-line block ×3, first 2 shown]
	v_readfirstlane_b32 s68, v32
	v_lshl_add_u32 v195, v120, 1, v13
	v_mul_u32_u24_e32 v199, 0x110, v2
	s_movk_i32 s69, 0x1e0
	v_bfe_u32 v2, v125, 1, 4
	v_lshlrev_b32_e32 v13, 1, v3
	v_lshlrev_b32_e32 v32, 1, v30
	;; [unrolled: 1-line block ×3, first 2 shown]
	v_and_or_b32 v13, v13, s62, v2
	v_and_or_b32 v32, v32, s62, v2
	;; [unrolled: 1-line block ×4, first 2 shown]
	v_mul_u32_u24_e32 v201, 0x110, v2
	v_lshrrev_b32_e32 v2, 2, v3
	scratch_store_dword off, v2, off        ; 4-byte Folded Spill
	v_mul_u32_u24_e32 v2, 0x110, v13
	scratch_store_dword off, v2, off offset:4 ; 4-byte Folded Spill
	v_lshrrev_b32_e32 v2, 2, v12
	scratch_store_dword off, v2, off offset:8 ; 4-byte Folded Spill
	v_mul_u32_u24_e32 v2, 0x110, v14
	scratch_store_dword off, v2, off offset:12 ; 4-byte Folded Spill
	v_lshrrev_b32_e32 v2, 2, v15
	scratch_store_dword off, v2, off offset:16 ; 4-byte Folded Spill
	;; [unrolled: 4-line block ×8, first 2 shown]
	v_mul_u32_u24_e32 v2, 0x110, v33
	v_mul_lo_u32 v104, s34, v185
	v_mul_lo_u32 v112, s38, v185
	scratch_store_dword off, v2, off offset:68 ; 4-byte Folded Spill
	v_lshrrev_b32_e32 v2, 2, v25
	v_add_u32_e32 v106, s4, v104
	v_add_u32_e32 v114, s5, v112
	scratch_store_dword off, v2, off offset:72 ; 4-byte Folded Spill
	v_mul_u32_u24_e32 v2, 0x110, v26
	s_sub_i32 s62, 0, s89
	v_add_u32_e32 v108, s4, v106
	v_add_u32_e32 v116, s5, v114
	scratch_store_dword off, v2, off offset:76 ; 4-byte Folded Spill
	v_lshrrev_b32_e32 v2, 2, v27
	s_mul_i32 s62, s62, s68
	v_mov_b32_e32 v103, 0
	v_add_u32_e32 v110, s4, v108
	v_add_u32_e32 v118, s5, v116
	scratch_store_dword off, v2, off offset:80 ; 4-byte Folded Spill
	v_mul_u32_u24_e32 v2, 0x110, v28
	s_mul_hi_u32 s62, s68, s62
	s_mov_b32 s13, 0x10001
	v_mov_b32_e32 v101, v103
	v_ashrrev_i32_e32 v105, 31, v104
	v_ashrrev_i32_e32 v107, 31, v106
	;; [unrolled: 1-line block ×8, first 2 shown]
	scratch_store_dword off, v2, off offset:84 ; 4-byte Folded Spill
	v_lshrrev_b32_e32 v2, 2, v29
	s_add_i32 s93, s68, s62
	s_lshl_b64 s[68:69], s[44:45], 1
	v_mad_u32_u24 v238, v125, s12, v183
	v_mbcnt_lo_u32_b32 v254, -1, 0
	s_mul_i32 s59, s36, s37
	v_cmp_gt_u32_e64 s[4:5], 16, v98
	v_cmp_gt_u32_e64 s[6:7], 32, v98
	v_lshrrev_b32_e32 v202, 2, v6
	v_mul_u32_u24_e32 v203, 0x110, v7
	v_lshrrev_b32_e32 v204, 2, v8
	v_mul_u32_u24_e32 v205, 0x110, v9
	;; [unrolled: 2-line block ×3, first 2 shown]
	scratch_store_dword off, v2, off offset:88 ; 4-byte Folded Spill
	v_mul_u32_u24_e32 v2, 0x110, v31
	s_ashr_i32 s90, s83, 31
	s_ashr_i32 s91, s82, 31
	;; [unrolled: 1-line block ×3, first 2 shown]
	v_lshlrev_b32_e32 v122, 4, v5
	v_mov_b32_e32 v123, v103
	s_lshl_b64 s[70:71], s[38:39], 8
	s_lshl_b64 s[72:73], s[34:35], 8
	s_mov_b32 s45, 0x3fb8aa3b
	s_mov_b32 s69, 0xc2ce8ed0
	;; [unrolled: 1-line block ×5, first 2 shown]
	s_movk_i32 s97, 0x47
	s_mov_b64 s[74:75], 0x80
	v_mul_lo_u32 v232, v181, s13
	v_add_u32_e32 v233, 0x2100, v186
	v_add_u32_e32 v234, 0x4200, v186
	;; [unrolled: 1-line block ×4, first 2 shown]
	v_mul_u32_u24_e32 v237, 0x210, v125
	v_lshrrev_b32_e32 v239, 2, v180
	v_add_u32_e32 v240, 0x1080, v238
	v_lshrrev_b32_e32 v241, 2, v179
	v_add_u32_e32 v242, 0x2100, v238
	;; [unrolled: 2-line block ×7, first 2 shown]
	v_bfe_u32 v253, v182, 3, 7
	v_mbcnt_hi_u32_b32 v224, -1, v254
	v_mov_b32_e32 v230, 0x7f800000
	v_and_b32_e32 v124, 3, v0
	v_lshl_add_u64 v[126:127], s[8:9], 0, v[102:103]
	v_bfe_u32 v128, v125, 1, 2
	v_mad_u64_u32 v[130:131], s[8:9], v99, s61, v[98:99]
	v_lshl_add_u64 v[132:133], s[22:23], 0, v[100:101]
	v_lshl_add_u64 v[134:135], v[112:113], 2, s[20:21]
	;; [unrolled: 1-line block ×9, first 2 shown]
	scratch_store_dword off, v2, off offset:92 ; 4-byte Folded Spill
	s_branch .LBB29_10
.LBB29_8:                               ;   in Loop: Header=BB29_10 Depth=1
	s_or_b64 exec, exec, s[12:13]
	s_barrier
.LBB29_9:                               ;   in Loop: Header=BB29_10 Depth=1
	s_add_i32 s8, s56, s84
	s_abs_i32 s12, s8
	s_mul_hi_u32 s13, s12, s52
	s_mul_i32 s13, s13, s85
	s_sub_i32 s12, s12, s13
	s_ashr_i32 s9, s8, 31
	s_sub_i32 s13, s12, s85
	s_cmp_ge_u32 s12, s85
	s_cselect_b32 s12, s13, s12
	s_sub_i32 s13, s12, s85
	s_cmp_ge_u32 s12, s85
	s_cselect_b32 s12, s13, s12
	s_xor_b32 s12, s12, s9
	s_sub_i32 s9, s9, s12
	s_add_i32 s56, s8, s9
	s_sub_i32 s12, s60, s56
	s_min_i32 s98, s84, s12
	s_cmp_gt_i32 s60, s56
	s_cselect_b64 s[8:9], -1, 0
	s_cmp_le_i32 s84, s12
	s_cselect_b64 s[12:13], -1, 0
	s_and_b64 s[12:13], s[12:13], s[8:9]
	s_mov_b32 s76, 0
	s_and_b64 vcc, exec, s[12:13]
	s_cbranch_vccz .LBB29_426
.LBB29_10:                              ; =>This Loop Header: Depth=1
                                        ;     Child Loop BB29_257 Depth 2
                                        ;     Child Loop BB29_49 Depth 2
	s_abs_i32 s9, s56
	v_mul_hi_u32 v2, s9, v192
	v_mul_lo_u32 v3, v2, s86
	v_sub_u32_e32 v3, s9, v3
	v_add_u32_e32 v4, 1, v2
	v_subrev_u32_e32 v5, s86, v3
	v_cmp_le_u32_e32 vcc, s86, v3
	s_ashr_i32 s8, s56, 31
	s_xor_b32 s8, s8, s90
	v_cndmask_b32_e32 v2, v2, v4, vcc
	v_cndmask_b32_e32 v3, v3, v5, vcc
	v_add_u32_e32 v4, 1, v2
	v_cmp_le_u32_e32 vcc, s86, v3
	s_nop 1
	v_cndmask_b32_e32 v2, v2, v4, vcc
	v_xor_b32_e32 v2, s8, v2
	v_subrev_u32_e32 v2, s8, v2
	v_mul_lo_u32 v3, v2, s83
	v_sub_u32_e32 v4, s56, v3
	v_sub_u32_e32 v5, 0, v4
	v_max_i32_e32 v5, v4, v5
	v_mul_hi_u32 v6, v5, v193
	v_mul_lo_u32 v7, v6, s87
	v_sub_u32_e32 v5, v5, v7
	v_add_u32_e32 v7, 1, v6
	v_subrev_u32_e32 v8, s87, v5
	v_cmp_le_u32_e32 vcc, s87, v5
	v_ashrrev_i32_e32 v3, 31, v4
	v_xor_b32_e32 v3, s91, v3
	v_cndmask_b32_e32 v6, v6, v7, vcc
	v_cndmask_b32_e32 v5, v5, v8, vcc
	v_add_u32_e32 v7, 1, v6
	v_cmp_le_u32_e32 vcc, s87, v5
	s_nop 1
	v_cndmask_b32_e32 v5, v6, v7, vcc
	v_xor_b32_e32 v5, v5, v3
	v_sub_u32_e32 v3, v5, v3
	v_mul_lo_u32 v5, v3, s82
	v_sub_u32_e32 v4, v4, v5
	v_sub_u32_e32 v6, 0, v4
	v_max_i32_e32 v6, v4, v6
	v_mul_hi_u32 v7, v6, v194
	v_mul_lo_u32 v8, v7, s88
	v_sub_u32_e32 v6, v6, v8
	v_add_u32_e32 v8, 1, v7
	v_subrev_u32_e32 v9, s88, v6
	v_cmp_le_u32_e32 vcc, s88, v6
	v_ashrrev_i32_e32 v5, 31, v4
	v_xor_b32_e32 v5, s92, v5
	v_cndmask_b32_e32 v7, v7, v8, vcc
	v_cndmask_b32_e32 v6, v6, v9, vcc
	v_add_u32_e32 v8, 1, v7
	v_cmp_le_u32_e32 vcc, s88, v6
	s_nop 1
	v_cndmask_b32_e32 v6, v7, v8, vcc
	v_xor_b32_e32 v6, v6, v5
	v_sub_u32_e32 v5, v6, v5
	v_mul_lo_u32 v6, v5, s81
	v_sub_u32_e32 v4, v4, v6
	v_sub_u32_e32 v7, 0, v4
	v_ashrrev_i32_e32 v6, 31, v4
	v_max_i32_e32 v4, v4, v7
	v_mul_hi_u32 v7, v4, s52
	v_mul_lo_u32 v8, v7, s85
	v_sub_u32_e32 v4, v4, v8
	v_add_u32_e32 v8, 1, v7
	v_subrev_u32_e32 v9, s85, v4
	v_cmp_le_u32_e32 vcc, s85, v4
	v_xor_b32_e32 v6, s42, v6
	s_nop 0
	v_cndmask_b32_e32 v7, v7, v8, vcc
	v_cndmask_b32_e32 v4, v4, v9, vcc
	v_add_u32_e32 v8, 1, v7
	v_cmp_le_u32_e32 vcc, s85, v4
	s_nop 1
	v_cndmask_b32_e32 v4, v7, v8, vcc
	v_xor_b32_e32 v4, v4, v6
	s_andn2_b64 vcc, exec, s[66:67]
	v_sub_u32_e32 v4, v4, v6
	s_cbranch_vccnz .LBB29_12
; %bb.11:                               ;   in Loop: Header=BB29_10 Depth=1
	v_mul_lo_u32 v6, v2, s80
	v_add_u32_e32 v6, v4, v6
	v_ashrrev_i32_e32 v7, 31, v6
	v_lshlrev_b64 v[6:7], 2, v[6:7]
	v_lshl_add_u64 v[6:7], s[26:27], 0, v[6:7]
	global_load_dword v6, v[6:7], off
	s_waitcnt vmcnt(0)
	v_readfirstlane_b32 s8, v6
	s_ashr_i32 s9, s8, 31
	s_lshr_b32 s9, s9, 26
	s_add_i32 s8, s8, s9
	s_ashr_i32 s8, s8, 6
	s_min_i32 s98, s98, s8
.LBB29_12:                              ;   in Loop: Header=BB29_10 Depth=1
	v_mul_lo_u32 v6, v3, s3
	v_lshlrev_b32_e32 v131, 2, v5
	v_add_u32_e32 v6, v131, v6
	v_mul_lo_u32 v8, v2, s55
	v_ashrrev_i32_e32 v9, 31, v8
	v_mul_lo_u32 v10, v6, s54
	v_lshl_add_u64 v[8:9], s[16:17], 0, v[8:9]
	v_ashrrev_i32_e32 v11, 31, v10
	v_ashrrev_i32_e32 v5, 31, v2
	v_lshl_add_u64 v[170:171], v[8:9], 0, v[10:11]
	v_mul_hi_u32 v7, s40, v2
	v_mul_lo_u32 v8, s40, v5
	v_add_u32_e32 v7, v7, v8
	v_mul_lo_u32 v8, s41, v2
	v_add_u32_e32 v161, v7, v8
	v_mul_lo_u32 v160, s40, v2
	v_mul_lo_u32 v162, v3, s53
	v_sub_u32_e32 v7, 0, v2
	v_lshl_add_u64 v[8:9], s[18:19], 0, v[160:161]
	v_ashrrev_i32_e32 v163, 31, v162
	v_max_i32_e32 v7, v2, v7
	v_lshl_add_u64 v[156:157], v[8:9], 0, v[162:163]
	v_mul_hi_u32 v8, v7, s93
	v_mul_lo_u32 v8, v8, s89
	v_sub_u32_e32 v7, v7, v8
	v_subrev_u32_e32 v8, s89, v7
	v_cmp_le_u32_e32 vcc, s89, v7
	v_mul_lo_u32 v166, s48, v2
	v_mul_lo_u32 v168, v3, s43
	v_cndmask_b32_e32 v7, v7, v8, vcc
	v_subrev_u32_e32 v8, s89, v7
	v_cmp_le_u32_e32 vcc, s89, v7
	v_ashrrev_i32_e32 v169, 31, v168
	v_lshlrev_b32_e32 v101, 4, v4
	v_cndmask_b32_e32 v7, v7, v8, vcc
	v_xor_b32_e32 v7, v7, v5
	v_sub_u32_e32 v7, v7, v5
	v_ashrrev_i32_e32 v8, 31, v7
	v_mul_lo_u32 v8, s50, v8
	v_mul_hi_u32 v9, s50, v7
	v_add_u32_e32 v8, v9, v8
	v_mul_lo_u32 v9, s51, v7
	v_mul_lo_u32 v164, s50, v7
	;; [unrolled: 1-line block ×3, first 2 shown]
	v_add_u32_e32 v7, v6, v7
	v_lshlrev_b32_e32 v102, 7, v7
	v_mul_hi_u32 v7, s48, v2
	v_mul_lo_u32 v5, s48, v5
	v_add_u32_e32 v5, v7, v5
	v_mul_lo_u32 v7, s49, v2
	v_add_u32_e32 v167, v5, v7
	v_ashrrev_i32_e32 v7, 31, v6
	v_lshlrev_b64 v[2:3], 2, v[6:7]
	v_add_u32_e32 v165, v8, v9
	v_lshlrev_b64 v[8:9], 3, v[102:103]
	v_lshl_add_u64 v[2:3], s[24:25], 0, v[2:3]
	v_lshl_add_u64 v[150:151], s[28:29], 0, v[8:9]
	v_lshl_add_u64 v[8:9], s[20:21], 0, v[166:167]
	v_cndmask_b32_e64 v152, v2, 0, s[64:65]
	v_bfe_u32 v2, v182, 2, 8
	v_lshl_add_u64 v[158:159], s[22:23], 0, v[164:165]
	v_lshl_add_u64 v[154:155], v[8:9], 0, v[168:169]
	v_cndmask_b32_e64 v153, v3, 0, s[64:65]
	s_cmp_lg_u32 s76, 0
	v_add_u32_e32 v231, v2, v101
	v_or_b32_e32 v228, v99, v131
	s_cbranch_scc0 .LBB29_50
; %bb.13:                               ;   in Loop: Header=BB29_10 Depth=1
	v_cmp_le_i32_e64 s[8:9], s36, v231
	v_cmp_le_i32_e64 s[12:13], s3, v228
	v_cmp_gt_i32_e32 vcc, s3, v228
	s_or_b64 s[8:9], s[8:9], s[12:13]
	s_and_saveexec_b64 s[12:13], s[8:9]
	s_xor_b64 s[8:9], exec, s[12:13]
; %bb.14:                               ;   in Loop: Header=BB29_10 Depth=1
	v_add_u32_e32 v2, v183, v237
	ds_write2st64_b32 v2, v103, v103 offset1:1
; %bb.15:                               ;   in Loop: Header=BB29_10 Depth=1
	s_andn2_saveexec_b64 s[8:9], s[8:9]
	s_cbranch_execz .LBB29_17
; %bb.16:                               ;   in Loop: Header=BB29_10 Depth=1
	v_mad_u64_u32 v[2:3], s[12:13], v231, s57, v[130:131]
	v_ashrrev_i32_e32 v3, 31, v2
	v_lshl_add_u64 v[2:3], v[2:3], 3, v[170:171]
	global_load_dwordx2 v[4:5], v[2:3], off
	s_nop 0
	global_load_dwordx2 v[2:3], v[2:3], off offset:512
	s_waitcnt vmcnt(1)
	v_cvt_pk_f16_f32 v4, v4, v5
	s_waitcnt vmcnt(0)
	v_cvt_pk_f16_f32 v2, v2, v3
	v_pk_mul_f16 v3, v4, v232
	v_pk_mul_f16 v2, v2, v232
	ds_write2st64_b32 v238, v3, v2 offset1:1
.LBB29_17:                              ;   in Loop: Header=BB29_10 Depth=1
	s_or_b64 exec, exec, s[8:9]
	v_add_u32_e32 v2, v239, v101
	v_cmp_le_i32_e64 s[8:9], s36, v2
	s_xor_b64 s[12:13], vcc, -1
	s_or_b64 s[8:9], s[8:9], s[12:13]
	s_and_saveexec_b64 s[78:79], s[8:9]
	s_xor_b64 s[8:9], exec, s[78:79]
; %bb.18:                               ;   in Loop: Header=BB29_10 Depth=1
	v_add_u32_e32 v2, v183, v237
	v_add_u32_e32 v2, 0x80, v2
	ds_write2st64_b32 v2, v103, v103 offset0:16 offset1:17
                                        ; implicit-def: $vgpr2
; %bb.19:                               ;   in Loop: Header=BB29_10 Depth=1
	s_andn2_saveexec_b64 s[8:9], s[8:9]
	s_cbranch_execz .LBB29_21
; %bb.20:                               ;   in Loop: Header=BB29_10 Depth=1
	v_mad_u64_u32 v[2:3], s[78:79], v2, s57, v[130:131]
	v_ashrrev_i32_e32 v3, 31, v2
	v_lshl_add_u64 v[2:3], v[2:3], 3, v[170:171]
	global_load_dwordx2 v[4:5], v[2:3], off
	s_nop 0
	global_load_dwordx2 v[2:3], v[2:3], off offset:512
	s_waitcnt vmcnt(1)
	v_cvt_pk_f16_f32 v4, v4, v5
	s_waitcnt vmcnt(0)
	v_cvt_pk_f16_f32 v2, v2, v3
	v_pk_mul_f16 v3, v4, v232
	v_pk_mul_f16 v2, v2, v232
	ds_write2st64_b32 v240, v3, v2 offset1:1
.LBB29_21:                              ;   in Loop: Header=BB29_10 Depth=1
	s_or_b64 exec, exec, s[8:9]
	v_add_u32_e32 v2, v241, v101
	v_cmp_le_i32_e32 vcc, s36, v2
	s_or_b64 s[8:9], vcc, s[12:13]
	s_and_saveexec_b64 s[78:79], s[8:9]
	s_xor_b64 s[8:9], exec, s[78:79]
; %bb.22:                               ;   in Loop: Header=BB29_10 Depth=1
	v_add_u32_e32 v2, v183, v237
	ds_write2st64_b32 v2, v103, v103 offset0:33 offset1:34
                                        ; implicit-def: $vgpr2
; %bb.23:                               ;   in Loop: Header=BB29_10 Depth=1
	s_andn2_saveexec_b64 s[8:9], s[8:9]
	s_cbranch_execz .LBB29_25
; %bb.24:                               ;   in Loop: Header=BB29_10 Depth=1
	v_mad_u64_u32 v[2:3], s[78:79], v2, s57, v[130:131]
	v_ashrrev_i32_e32 v3, 31, v2
	v_lshl_add_u64 v[2:3], v[2:3], 3, v[170:171]
	global_load_dwordx2 v[4:5], v[2:3], off
	s_nop 0
	global_load_dwordx2 v[2:3], v[2:3], off offset:512
	s_waitcnt vmcnt(1)
	v_cvt_pk_f16_f32 v4, v4, v5
	s_waitcnt vmcnt(0)
	v_cvt_pk_f16_f32 v2, v2, v3
	v_pk_mul_f16 v3, v4, v232
	v_pk_mul_f16 v2, v2, v232
	ds_write2st64_b32 v242, v3, v2 offset1:1
.LBB29_25:                              ;   in Loop: Header=BB29_10 Depth=1
	s_or_b64 exec, exec, s[8:9]
	v_add_u32_e32 v2, v243, v101
	v_cmp_le_i32_e32 vcc, s36, v2
	s_or_b64 s[8:9], vcc, s[12:13]
	s_and_saveexec_b64 s[78:79], s[8:9]
	s_xor_b64 s[8:9], exec, s[78:79]
; %bb.26:                               ;   in Loop: Header=BB29_10 Depth=1
	v_add_u32_e32 v2, v183, v237
	v_add_u32_e32 v2, 0x80, v2
	ds_write2st64_b32 v2, v103, v103 offset0:49 offset1:50
                                        ; implicit-def: $vgpr2
; %bb.27:                               ;   in Loop: Header=BB29_10 Depth=1
	s_andn2_saveexec_b64 s[8:9], s[8:9]
	s_cbranch_execz .LBB29_29
; %bb.28:                               ;   in Loop: Header=BB29_10 Depth=1
	v_mad_u64_u32 v[2:3], s[78:79], v2, s57, v[130:131]
	v_ashrrev_i32_e32 v3, 31, v2
	v_lshl_add_u64 v[2:3], v[2:3], 3, v[170:171]
	global_load_dwordx2 v[4:5], v[2:3], off
	s_nop 0
	global_load_dwordx2 v[2:3], v[2:3], off offset:512
	s_waitcnt vmcnt(1)
	v_cvt_pk_f16_f32 v4, v4, v5
	s_waitcnt vmcnt(0)
	v_cvt_pk_f16_f32 v2, v2, v3
	v_pk_mul_f16 v3, v4, v232
	v_pk_mul_f16 v2, v2, v232
	ds_write2st64_b32 v244, v3, v2 offset1:1
.LBB29_29:                              ;   in Loop: Header=BB29_10 Depth=1
	s_or_b64 exec, exec, s[8:9]
	v_add_u32_e32 v2, v245, v101
	v_cmp_le_i32_e32 vcc, s36, v2
	s_or_b64 s[8:9], vcc, s[12:13]
	s_and_saveexec_b64 s[78:79], s[8:9]
	s_xor_b64 s[8:9], exec, s[78:79]
; %bb.30:                               ;   in Loop: Header=BB29_10 Depth=1
	v_add_u32_e32 v2, v183, v237
	ds_write2st64_b32 v2, v103, v103 offset0:66 offset1:67
                                        ; implicit-def: $vgpr2
; %bb.31:                               ;   in Loop: Header=BB29_10 Depth=1
	s_andn2_saveexec_b64 s[8:9], s[8:9]
	s_cbranch_execz .LBB29_33
; %bb.32:                               ;   in Loop: Header=BB29_10 Depth=1
	v_mad_u64_u32 v[2:3], s[78:79], v2, s57, v[130:131]
	v_ashrrev_i32_e32 v3, 31, v2
	v_lshl_add_u64 v[2:3], v[2:3], 3, v[170:171]
	global_load_dwordx2 v[4:5], v[2:3], off
	s_nop 0
	global_load_dwordx2 v[2:3], v[2:3], off offset:512
	s_waitcnt vmcnt(1)
	v_cvt_pk_f16_f32 v4, v4, v5
	s_waitcnt vmcnt(0)
	v_cvt_pk_f16_f32 v2, v2, v3
	v_pk_mul_f16 v3, v4, v232
	v_pk_mul_f16 v2, v2, v232
	ds_write2st64_b32 v246, v3, v2 offset1:1
.LBB29_33:                              ;   in Loop: Header=BB29_10 Depth=1
	s_or_b64 exec, exec, s[8:9]
	v_add_u32_e32 v2, v247, v101
	v_cmp_le_i32_e32 vcc, s36, v2
	s_or_b64 s[8:9], vcc, s[12:13]
	;; [unrolled: 57-line block ×3, first 2 shown]
	s_and_saveexec_b64 s[12:13], s[8:9]
	s_xor_b64 s[8:9], exec, s[12:13]
; %bb.42:                               ;   in Loop: Header=BB29_10 Depth=1
	v_add_u32_e32 v2, v183, v237
	v_add_u32_e32 v2, 0x80, v2
	ds_write2st64_b32 v2, v103, v103 offset0:115 offset1:116
                                        ; implicit-def: $vgpr2
; %bb.43:                               ;   in Loop: Header=BB29_10 Depth=1
	s_andn2_saveexec_b64 s[8:9], s[8:9]
	s_cbranch_execz .LBB29_45
; %bb.44:                               ;   in Loop: Header=BB29_10 Depth=1
	v_mad_u64_u32 v[2:3], s[12:13], v2, s57, v[130:131]
	v_ashrrev_i32_e32 v3, 31, v2
	v_lshl_add_u64 v[2:3], v[2:3], 3, v[170:171]
	global_load_dwordx2 v[4:5], v[2:3], off
	s_nop 0
	global_load_dwordx2 v[2:3], v[2:3], off offset:512
	s_waitcnt vmcnt(1)
	v_cvt_pk_f16_f32 v4, v4, v5
	s_waitcnt vmcnt(0)
	v_cvt_pk_f16_f32 v2, v2, v3
	v_pk_mul_f16 v3, v4, v232
	v_pk_mul_f16 v2, v2, v232
	ds_write2st64_b32 v252, v3, v2 offset1:1
.LBB29_45:                              ;   in Loop: Header=BB29_10 Depth=1
	s_or_b64 exec, exec, s[8:9]
	s_waitcnt lgkmcnt(0)
	s_barrier
	ds_read2_b64 v[30:33], v184 offset1:4
	ds_read2_b64 v[26:29], v184 offset0:8 offset1:12
	ds_read2_b64 v[22:25], v184 offset0:16 offset1:20
	;; [unrolled: 1-line block ×7, first 2 shown]
	s_add_i32 s12, s98, -1
	s_cmp_lt_i32 s76, s12
	s_mov_b64 s[8:9], -1
	s_waitcnt lgkmcnt(0)
	s_barrier
                                        ; implicit-def: $vgpr229
                                        ; implicit-def: $vgpr222
                                        ; implicit-def: $vgpr226
	s_cbranch_scc1 .LBB29_47
; %bb.46:                               ;   in Loop: Header=BB29_10 Depth=1
	v_and_b32_e32 v34, 64, v224
	v_add_u32_e32 v229, 64, v34
	v_xor_b32_e32 v222, 32, v224
	v_xor_b32_e32 v226, 16, v224
	s_mov_b64 s[8:9], 0
.LBB29_47:                              ;   in Loop: Header=BB29_10 Depth=1
	v_add_u32_e32 v34, v101, v185
	v_mul_hi_u32 v35, s46, v34
	v_add_u32_e32 v35, v34, v35
	v_lshrrev_b32_e32 v35, s47, v35
	v_mul_lo_u32 v35, v35, s36
	v_sub_u32_e32 v34, v34, v35
	s_andn2_b64 vcc, exec, s[8:9]
	v_mad_i64_i32 v[172:173], s[8:9], v34, s44, 0
	s_cbranch_vccnz .LBB29_51
; %bb.48:                               ;   in Loop: Header=BB29_10 Depth=1
	v_lshl_add_u64 v[34:35], v[172:173], 1, v[158:159]
	v_lshlrev_b32_e32 v102, 1, v120
	v_mbcnt_hi_u32_b32 v255, -1, v254
	v_lshl_add_u64 v[174:175], v[34:35], 0, v[102:103]
	v_and_b32_e32 v34, 64, v255
	v_add_u32_e32 v229, 64, v34
	v_xor_b32_e32 v222, 32, v255
	v_cmp_lt_i32_e32 vcc, v222, v229
	v_xor_b32_e32 v226, 16, v255
	s_lshl_b32 s8, s76, 6
	v_cndmask_b32_e32 v34, v255, v222, vcc
	v_cmp_lt_i32_e32 vcc, v226, v229
	v_lshlrev_b32_e32 v223, 2, v34
	v_mov_b32_e32 v94, 0
	v_cndmask_b32_e32 v34, v255, v226, vcc
	v_lshlrev_b32_e32 v220, 2, v34
	v_mov_b32_e32 v227, 0xfeffffff
	v_mov_b32_e32 v225, 0
	;; [unrolled: 1-line block ×33, first 2 shown]
.LBB29_49:                              ;   Parent Loop BB29_10 Depth=1
                                        ; =>  This Inner Loop Header: Depth=2
	s_ashr_i32 s9, s8, 31
	v_lshl_add_u64 v[34:35], s[8:9], 1, v[174:175]
	global_load_dword v34, v[34:35], off
	s_mul_hi_i32 s79, s8, s34
	s_mul_i32 s78, s8, s34
	s_lshl_b64 s[78:79], s[78:79], 2
	v_lshlrev_b32_e32 v102, 2, v100
	v_add_u32_e32 v40, 0x4000, v188
	v_mov_b32_e32 v53, v227
	v_mov_b32_e32 v52, v225
	s_add_i32 s76, s76, 1
	s_waitcnt vmcnt(0)
	ds_write_b32 v195, v34 offset:33792
	v_lshl_add_u64 v[34:35], v[156:157], 0, s[78:79]
	v_lshl_add_u64 v[36:37], v[104:105], 2, v[34:35]
	;; [unrolled: 1-line block ×7, first 2 shown]
	global_load_dwordx4 v[34:37], v[36:37], off
	v_lshl_add_u64 v[48:49], v[48:49], 0, v[102:103]
	v_lshl_add_u64 v[56:57], v[56:57], 0, v[102:103]
	s_mul_hi_i32 s79, s8, s38
	s_mul_i32 s78, s8, s38
	s_lshl_b64 s[78:79], s[78:79], 2
	s_add_i32 s8, s8, 64
	s_cmp_lt_i32 s76, s12
	s_waitcnt vmcnt(0)
	ds_write_b128 v186, v[34:37]
	global_load_dwordx4 v[34:37], v[48:49], off
	s_waitcnt vmcnt(0)
	ds_write_b128 v233, v[34:37]
	global_load_dwordx4 v[34:37], v[56:57], off
	;; [unrolled: 3-line block ×3, first 2 shown]
	s_waitcnt vmcnt(0)
	ds_write_b128 v235, v[34:37]
	s_waitcnt lgkmcnt(0)
	s_barrier
	ds_read2_b64 v[34:37], v188 offset1:4
	s_waitcnt lgkmcnt(0)
	v_mfma_f32_16x16x16_f16 v[208:211], v[34:35], v[30:31], 0
	v_mfma_f32_16x16x16_f16 v[34:37], v[36:37], v[32:33], v[208:211]
	s_nop 6
	ds_read2_b64 v[208:211], v188 offset0:8 offset1:12
	s_waitcnt lgkmcnt(0)
	v_mfma_f32_16x16x16_f16 v[34:37], v[208:209], v[26:27], v[34:37]
	v_mfma_f32_16x16x16_f16 v[34:37], v[210:211], v[28:29], v[34:37]
	ds_read2_b64 v[208:211], v188 offset0:16 offset1:20
	s_waitcnt lgkmcnt(0)
	v_mfma_f32_16x16x16_f16 v[34:37], v[208:209], v[22:23], v[34:37]
	v_mfma_f32_16x16x16_f16 v[34:37], v[210:211], v[24:25], v[34:37]
	;; [unrolled: 4-line block ×8, first 2 shown]
	s_nop 6
	ds_read2_b64 v[212:215], v40 offset0:72 offset1:76
	s_waitcnt lgkmcnt(0)
	v_mfma_f32_16x16x16_f16 v[208:211], v[212:213], v[26:27], v[208:211]
	v_mfma_f32_16x16x16_f16 v[208:211], v[214:215], v[28:29], v[208:211]
	ds_read2_b64 v[212:215], v40 offset0:80 offset1:84
	s_waitcnt lgkmcnt(0)
	v_mfma_f32_16x16x16_f16 v[208:211], v[212:213], v[22:23], v[208:211]
	v_mfma_f32_16x16x16_f16 v[208:211], v[214:215], v[24:25], v[208:211]
	;; [unrolled: 4-line block ×6, first 2 shown]
	ds_read2_b64 v[212:215], v40 offset0:120 offset1:124
	v_add_u32_e32 v40, 0x8400, v189
	s_waitcnt lgkmcnt(0)
	s_barrier
	ds_read2_b32 v[48:49], v40 offset1:1
	v_mfma_f32_16x16x16_f16 v[208:211], v[212:213], v[2:3], v[208:211]
	s_waitcnt lgkmcnt(0)
	v_cvt_f32_f16_e32 v40, v48
	v_cvt_f32_f16_sdwa v45, v48 dst_sel:DWORD dst_unused:UNUSED_PAD src0_sel:WORD_1
	v_add_f32_e32 v34, v34, v40
	v_cvt_f32_f16_e32 v40, v49
	v_add_f32_e32 v35, v35, v45
	v_cvt_f32_f16_sdwa v45, v49 dst_sel:DWORD dst_unused:UNUSED_PAD src0_sel:WORD_1
	v_mfma_f32_16x16x16_f16 v[208:211], v[214:215], v[4:5], v[208:211]
	v_add_f32_e32 v36, v36, v40
	ds_read_b32 v40, v196 offset:33792
	v_add_f32_e32 v37, v37, v45
	v_add_f32_e32 v57, 0x40051340, v35
	;; [unrolled: 1-line block ×3, first 2 shown]
	s_waitcnt lgkmcnt(0)
	v_cvt_f32_f16_e32 v45, v40
	v_cvt_f32_f16_sdwa v40, v40 dst_sel:DWORD dst_unused:UNUSED_PAD src0_sel:WORD_1
	v_add_f32_e32 v45, v208, v45
	v_add_f32_e32 v48, v209, v40
	ds_read_b32 v40, v197 offset:33792
	s_waitcnt lgkmcnt(0)
	v_cvt_f32_f16_e32 v49, v40
	v_cvt_f32_f16_sdwa v40, v40 dst_sel:DWORD dst_unused:UNUSED_PAD src0_sel:WORD_1
	v_add_f32_e32 v49, v210, v49
	v_add_f32_e32 v56, v211, v40
	v_add_f32_e32 v40, 0x40051340, v34
	v_max3_f32 v40, v53, v40, v57
	v_add_f32_e32 v57, 0x40051340, v36
	v_max3_f32 v40, v40, v57, v60
	v_add_f32_e32 v57, 0x40051340, v45
	v_add_f32_e32 v60, 0x40051340, v48
	v_max3_f32 v40, v40, v57, v60
	v_add_f32_e32 v57, 0x40051340, v49
	v_add_f32_e32 v60, 0x40051340, v56
	v_max3_f32 v40, v40, v57, v60
	ds_bpermute_b32 v57, v223, v40
	s_waitcnt lgkmcnt(0)
	v_max_f32_e32 v57, v57, v57
	v_max_f32_e32 v40, v40, v57
	ds_bpermute_b32 v57, v220, v40
	s_waitcnt lgkmcnt(0)
	v_max_f32_e32 v57, v57, v57
	v_max_f32_e32 v227, v40, v57
	v_sub_f32_e32 v34, v34, v227
	v_mul_f32_e32 v40, 0x3fb8aa3b, v34
	v_fma_f32 v57, v34, s45, -v40
	v_rndne_f32_e32 v60, v40
	v_fmac_f32_e32 v57, 0x32a5705f, v34
	v_sub_f32_e32 v40, v40, v60
	v_add_f32_e32 v40, v40, v57
	v_exp_f32_e32 v40, v40
	v_cvt_i32_f32_e32 v57, v60
	v_cmp_ngt_f32_e32 vcc, s69, v34
	v_sub_f32_e32 v35, v35, v227
	v_sub_f32_e32 v36, v36, v227
	v_ldexp_f32 v40, v40, v57
	v_cndmask_b32_e32 v40, 0, v40, vcc
	v_cmp_nlt_f32_e32 vcc, s94, v34
	v_sub_f32_e32 v37, v37, v227
	v_sub_f32_e32 v53, v53, v227
	v_cndmask_b32_e32 v34, v230, v40, vcc
	v_mul_f32_e32 v40, 0x3fb8aa3b, v35
	v_fma_f32 v57, v35, s45, -v40
	v_rndne_f32_e32 v60, v40
	v_fmac_f32_e32 v57, 0x32a5705f, v35
	v_sub_f32_e32 v40, v40, v60
	v_add_f32_e32 v40, v40, v57
	v_exp_f32_e32 v40, v40
	v_cvt_i32_f32_e32 v57, v60
	v_cmp_ngt_f32_e32 vcc, s69, v35
	v_ldexp_f32 v40, v40, v57
	v_mul_f32_e32 v57, 0x3fb8aa3b, v36
	v_fma_f32 v60, v36, s45, -v57
	v_rndne_f32_e32 v61, v57
	v_fmac_f32_e32 v60, 0x32a5705f, v36
	v_sub_f32_e32 v57, v57, v61
	v_add_f32_e32 v57, v57, v60
	v_exp_f32_e32 v57, v57
	v_cvt_i32_f32_e32 v60, v61
	v_cndmask_b32_e32 v40, 0, v40, vcc
	v_cmp_nlt_f32_e32 vcc, s94, v35
	v_ldexp_f32 v57, v57, v60
	s_nop 0
	v_cndmask_b32_e32 v35, v230, v40, vcc
	v_cmp_ngt_f32_e32 vcc, s69, v36
	v_add_f32_e32 v40, v34, v35
	s_nop 0
	v_cndmask_b32_e32 v57, 0, v57, vcc
	v_cmp_nlt_f32_e32 vcc, s94, v36
	s_nop 1
	v_cndmask_b32_e32 v36, v230, v57, vcc
	v_add_f32_e32 v57, v36, v40
	v_mul_f32_e32 v40, 0x3fb8aa3b, v37
	v_fma_f32 v60, v37, s45, -v40
	v_rndne_f32_e32 v61, v40
	v_fmac_f32_e32 v60, 0x32a5705f, v37
	v_sub_f32_e32 v40, v40, v61
	v_add_f32_e32 v40, v40, v60
	v_exp_f32_e32 v40, v40
	v_cvt_i32_f32_e32 v60, v61
	v_cmp_ngt_f32_e32 vcc, s69, v37
	v_ldexp_f32 v40, v40, v60
	s_nop 0
	v_cndmask_b32_e32 v40, 0, v40, vcc
	v_cmp_nlt_f32_e32 vcc, s94, v37
	v_sub_f32_e32 v37, v45, v227
	v_mul_f32_e32 v45, 0x3fb8aa3b, v37
	v_fma_f32 v60, v37, s45, -v45
	v_rndne_f32_e32 v61, v45
	v_fmac_f32_e32 v60, 0x32a5705f, v37
	v_sub_f32_e32 v45, v45, v61
	v_add_f32_e32 v45, v45, v60
	v_exp_f32_e32 v45, v45
	v_cvt_i32_f32_e32 v60, v61
	v_cndmask_b32_e32 v40, v230, v40, vcc
	v_cmp_ngt_f32_e32 vcc, s69, v37
	v_add_f32_e32 v57, v40, v57
	v_ldexp_f32 v45, v45, v60
	v_cndmask_b32_e32 v45, 0, v45, vcc
	v_cmp_nlt_f32_e32 vcc, s94, v37
	s_nop 1
	v_cndmask_b32_e32 v37, v230, v45, vcc
	v_sub_f32_e32 v45, v48, v227
	v_mul_f32_e32 v48, 0x3fb8aa3b, v45
	v_fma_f32 v60, v45, s45, -v48
	v_rndne_f32_e32 v61, v48
	v_fmac_f32_e32 v60, 0x32a5705f, v45
	v_sub_f32_e32 v48, v48, v61
	v_add_f32_e32 v48, v48, v60
	v_exp_f32_e32 v48, v48
	v_cvt_i32_f32_e32 v60, v61
	v_cmp_ngt_f32_e32 vcc, s69, v45
	v_add_f32_e32 v57, v37, v57
	v_ldexp_f32 v48, v48, v60
	v_cndmask_b32_e32 v48, 0, v48, vcc
	v_cmp_nlt_f32_e32 vcc, s94, v45
	s_nop 1
	v_cndmask_b32_e32 v45, v230, v48, vcc
	v_sub_f32_e32 v48, v49, v227
	v_mul_f32_e32 v49, 0x3fb8aa3b, v48
	v_fma_f32 v60, v48, s45, -v49
	v_rndne_f32_e32 v61, v49
	v_fmac_f32_e32 v60, 0x32a5705f, v48
	v_sub_f32_e32 v49, v49, v61
	v_add_f32_e32 v49, v49, v60
	v_exp_f32_e32 v49, v49
	v_cvt_i32_f32_e32 v60, v61
	v_cmp_ngt_f32_e32 vcc, s69, v48
	v_add_f32_e32 v57, v45, v57
	v_cvt_pk_f16_f32 v96, v37, v45
	v_ldexp_f32 v49, v49, v60
	v_cndmask_b32_e32 v49, 0, v49, vcc
	v_cmp_nlt_f32_e32 vcc, s94, v48
	s_nop 1
	v_cndmask_b32_e32 v48, v230, v49, vcc
	v_sub_f32_e32 v49, v56, v227
	v_mul_f32_e32 v56, 0x3fb8aa3b, v49
	v_fma_f32 v60, v49, s45, -v56
	v_rndne_f32_e32 v61, v56
	v_fmac_f32_e32 v60, 0x32a5705f, v49
	v_sub_f32_e32 v56, v56, v61
	v_add_f32_e32 v56, v56, v60
	v_exp_f32_e32 v56, v56
	v_cvt_i32_f32_e32 v60, v61
	v_cmp_ngt_f32_e32 vcc, s69, v49
	v_add_f32_e32 v57, v48, v57
	v_ldexp_f32 v56, v56, v60
	v_cndmask_b32_e32 v56, 0, v56, vcc
	v_cmp_nlt_f32_e32 vcc, s94, v49
	s_nop 1
	v_cndmask_b32_e32 v49, v230, v56, vcc
	v_mul_f32_e32 v56, 0x3fb8aa3b, v53
	v_add_f32_e32 v225, v49, v57
	v_fma_f32 v57, v53, s45, -v56
	v_rndne_f32_e32 v60, v56
	v_fmac_f32_e32 v57, 0x32a5705f, v53
	v_sub_f32_e32 v56, v56, v60
	v_add_f32_e32 v56, v56, v57
	v_exp_f32_e32 v56, v56
	v_cvt_i32_f32_e32 v57, v60
	v_cmp_ngt_f32_e32 vcc, s69, v53
	v_cvt_pk_f16_f32 v97, v48, v49
	v_ldexp_f32 v56, v56, v57
	v_cndmask_b32_e32 v56, 0, v56, vcc
	v_cmp_nlt_f32_e32 vcc, s94, v53
	s_nop 1
	v_cndmask_b32_e32 v56, v230, v56, vcc
	v_cmp_le_f32_e32 vcc, s95, v53
	s_nop 1
	v_cndmask_b32_e32 v53, 0, v56, vcc
	v_fmac_f32_e32 v225, v52, v53
	v_cvt_f16_f32_e32 v52, v53
	v_mul_u32_u24_e32 v52, 0x10001, v52
	v_pk_mul_f16 v44, v44, v52
	v_pk_mul_f16 v41, v41, v52
	;; [unrolled: 1-line block ×32, first 2 shown]
	v_lshl_add_u64 v[52:53], v[154:155], 0, s[78:79]
	v_lshl_add_u64 v[56:57], v[112:113], 2, v[52:53]
	;; [unrolled: 1-line block ×3, first 2 shown]
	global_load_dwordx4 v[92:95], v[56:57], off
	v_lshl_add_u64 v[60:61], v[114:115], 2, v[52:53]
	v_lshl_add_u64 v[60:61], v[60:61], 0, v[102:103]
	;; [unrolled: 1-line block ×6, first 2 shown]
	v_cvt_f32_f16_e32 v208, v44
	v_cvt_f32_f16_sdwa v209, v44 dst_sel:DWORD dst_unused:UNUSED_PAD src0_sel:WORD_1
	v_cvt_f32_f16_e32 v210, v41
	v_cvt_f32_f16_sdwa v211, v41 dst_sel:DWORD dst_unused:UNUSED_PAD src0_sel:WORD_1
	s_waitcnt vmcnt(0)
	ds_write_b128 v186, v[92:95]
	global_load_dwordx4 v[92:95], v[60:61], off
	s_waitcnt vmcnt(0)
	ds_write_b128 v233, v[92:95]
	global_load_dwordx4 v[92:95], v[64:65], off
	;; [unrolled: 3-line block ×3, first 2 shown]
	s_waitcnt vmcnt(0)
	ds_write_b128 v235, v[92:95]
	s_waitcnt lgkmcnt(0)
	s_barrier
	ds_read_u16 v52, v190 offset:528
	ds_read_u16 v53, v190 offset:1056
	ds_read_u16 v41, v191
	ds_read_u16 v44, v191 offset:32
	v_cvt_pk_f16_f32 v95, v36, v40
	v_cvt_pk_f16_f32 v94, v34, v35
	s_waitcnt lgkmcnt(1)
	v_perm_b32 v53, v41, v53, s96
	ds_read_u16 v41, v190
	ds_read_u16 v56, v190 offset:32
	s_waitcnt lgkmcnt(1)
	v_perm_b32 v52, v52, v41, s96
	s_nop 1
	v_mfma_f32_16x16x16_f16 v[208:211], v[52:53], v[94:95], v[208:211]
	ds_read_u16 v41, v190 offset:16896
	ds_read_u16 v52, v190 offset:17424
	;; [unrolled: 1-line block ×4, first 2 shown]
	s_nop 3
	v_cvt_f16_f32_e32 v34, v208
	v_cvt_f16_f32_e32 v35, v209
	;; [unrolled: 1-line block ×4, first 2 shown]
	v_cvt_f32_f16_e32 v208, v34
	v_cvt_f32_f16_e32 v209, v35
	v_cvt_f32_f16_e32 v211, v40
	s_waitcnt lgkmcnt(0)
	v_perm_b32 v35, v57, v53, s96
	v_perm_b32 v34, v52, v41, s96
	ds_read_u16 v40, v190 offset:560
	ds_read_u16 v41, v190 offset:1088
	v_cvt_f32_f16_e32 v210, v36
	s_nop 1
	v_mfma_f32_16x16x16_f16 v[34:37], v[34:35], v[96:97], v[208:211]
	s_nop 2
	v_cvt_f32_f16_e32 v208, v39
	v_cvt_f32_f16_sdwa v209, v39 dst_sel:DWORD dst_unused:UNUSED_PAD src0_sel:WORD_1
	v_cvt_f32_f16_e32 v210, v38
	v_cvt_f32_f16_sdwa v211, v38 dst_sel:DWORD dst_unused:UNUSED_PAD src0_sel:WORD_1
	s_waitcnt lgkmcnt(0)
	v_perm_b32 v39, v44, v41, s96
	v_perm_b32 v38, v40, v56, s96
	ds_read_u16 v44, v190 offset:16928
	ds_read_u16 v48, v190 offset:17456
	;; [unrolled: 1-line block ×4, first 2 shown]
	v_mfma_f32_16x16x16_f16 v[38:41], v[38:39], v[94:95], v[208:211]
	s_waitcnt lgkmcnt(0)
	v_perm_b32 v45, v49, v45, s96
	v_perm_b32 v44, v48, v44, s96
	v_cvt_f32_f16_e32 v208, v43
	s_nop 3
	v_cvt_f16_f32_e32 v38, v38
	v_cvt_f16_f32_e32 v39, v39
	;; [unrolled: 1-line block ×4, first 2 shown]
	v_cvt_f32_f16_e32 v38, v38
	v_cvt_f32_f16_e32 v39, v39
	;; [unrolled: 1-line block ×4, first 2 shown]
	v_cvt_f32_f16_sdwa v209, v43 dst_sel:DWORD dst_unused:UNUSED_PAD src0_sel:WORD_1
	v_cvt_f32_f16_e32 v210, v42
	v_mfma_f32_16x16x16_f16 v[38:41], v[44:45], v[96:97], v[38:41]
	ds_read_u16 v44, v190 offset:64
	ds_read_u16 v45, v190 offset:592
	;; [unrolled: 1-line block ×4, first 2 shown]
	v_cvt_f32_f16_sdwa v211, v42 dst_sel:DWORD dst_unused:UNUSED_PAD src0_sel:WORD_1
	s_waitcnt lgkmcnt(2)
	v_perm_b32 v42, v45, v44, s96
	s_nop 0
	v_cvt_pk_f16_f32 v39, v38, v39
	s_waitcnt lgkmcnt(0)
	v_perm_b32 v43, v49, v48, s96
	ds_read_u16 v48, v190 offset:16960
	ds_read_u16 v52, v190 offset:17488
	ds_read_u16 v49, v190 offset:18016
	ds_read_u16 v53, v191 offset:16960
	v_mfma_f32_16x16x16_f16 v[42:45], v[42:43], v[94:95], v[208:211]
	s_waitcnt lgkmcnt(0)
	v_perm_b32 v49, v53, v49, s96
	v_perm_b32 v48, v52, v48, s96
	v_cvt_f32_f16_e32 v208, v47
	s_nop 3
	v_cvt_f16_f32_e32 v42, v42
	v_cvt_f16_f32_e32 v43, v43
	v_cvt_f16_f32_e32 v44, v44
	v_cvt_f16_f32_e32 v45, v45
	v_cvt_f32_f16_e32 v42, v42
	v_cvt_f32_f16_e32 v43, v43
	v_cvt_f32_f16_e32 v44, v44
	v_cvt_f32_f16_e32 v45, v45
	v_cvt_f32_f16_sdwa v209, v47 dst_sel:DWORD dst_unused:UNUSED_PAD src0_sel:WORD_1
	v_cvt_f32_f16_e32 v210, v46
	v_mfma_f32_16x16x16_f16 v[42:45], v[48:49], v[96:97], v[42:45]
	ds_read_u16 v48, v190 offset:96
	ds_read_u16 v49, v190 offset:624
	ds_read_u16 v52, v190 offset:1152
	ds_read_u16 v53, v191 offset:96
	v_cvt_f32_f16_sdwa v211, v46 dst_sel:DWORD dst_unused:UNUSED_PAD src0_sel:WORD_1
	v_cvt_pk_f16_f32 v38, v40, v41
	s_waitcnt lgkmcnt(2)
	v_perm_b32 v46, v49, v48, s96
	v_cvt_pk_f16_f32 v43, v42, v43
	s_waitcnt lgkmcnt(0)
	v_perm_b32 v47, v53, v52, s96
	ds_read_u16 v52, v190 offset:16992
	ds_read_u16 v56, v190 offset:17520
	ds_read_u16 v53, v190 offset:18048
	ds_read_u16 v57, v191 offset:16992
	v_mfma_f32_16x16x16_f16 v[46:49], v[46:47], v[94:95], v[208:211]
	s_waitcnt lgkmcnt(0)
	v_perm_b32 v53, v57, v53, s96
	v_perm_b32 v52, v56, v52, s96
	v_cvt_f32_f16_e32 v208, v51
	s_nop 3
	v_cvt_f16_f32_e32 v46, v46
	v_cvt_f16_f32_e32 v47, v47
	v_cvt_f16_f32_e32 v48, v48
	v_cvt_f16_f32_e32 v49, v49
	v_cvt_f32_f16_e32 v46, v46
	v_cvt_f32_f16_e32 v47, v47
	v_cvt_f32_f16_e32 v48, v48
	v_cvt_f32_f16_e32 v49, v49
	v_cvt_f32_f16_sdwa v209, v51 dst_sel:DWORD dst_unused:UNUSED_PAD src0_sel:WORD_1
	v_cvt_f32_f16_e32 v210, v50
	v_mfma_f32_16x16x16_f16 v[46:49], v[52:53], v[96:97], v[46:49]
	ds_read_u16 v52, v190 offset:128
	ds_read_u16 v53, v190 offset:656
	ds_read_u16 v56, v190 offset:1184
	ds_read_u16 v57, v191 offset:128
	v_cvt_f32_f16_sdwa v211, v50 dst_sel:DWORD dst_unused:UNUSED_PAD src0_sel:WORD_1
	v_cvt_pk_f16_f32 v42, v44, v45
	s_waitcnt lgkmcnt(2)
	v_perm_b32 v50, v53, v52, s96
	;; [unrolled: 32-line block ×11, first 2 shown]
	v_cvt_pk_f16_f32 v83, v82, v83
	s_waitcnt lgkmcnt(0)
	v_perm_b32 v87, v93, v92, s96
	v_cvt_pk_f16_f32 v82, v84, v85
	v_cvt_pk_f16_f32 v44, v34, v35
	v_mfma_f32_16x16x16_f16 v[86:89], v[86:87], v[94:95], v[208:211]
	ds_read_u16 v92, v190 offset:17312
	ds_read_u16 v102, v190 offset:17840
	;; [unrolled: 1-line block ×4, first 2 shown]
	v_cvt_f32_f16_sdwa v209, v91 dst_sel:DWORD dst_unused:UNUSED_PAD src0_sel:WORD_1
	v_cvt_f32_f16_e32 v210, v90
	s_nop 1
	v_cvt_f16_f32_e32 v86, v86
	v_cvt_f16_f32_e32 v87, v87
	;; [unrolled: 1-line block ×4, first 2 shown]
	s_waitcnt lgkmcnt(0)
	v_perm_b32 v93, v208, v93, s96
	v_perm_b32 v92, v102, v92, s96
	v_cvt_f32_f16_e32 v86, v86
	v_cvt_f32_f16_e32 v87, v87
	;; [unrolled: 1-line block ×5, first 2 shown]
	v_cvt_f32_f16_sdwa v211, v90 dst_sel:DWORD dst_unused:UNUSED_PAD src0_sel:WORD_1
	v_mfma_f32_16x16x16_f16 v[86:89], v[92:93], v[96:97], v[86:89]
	ds_read_u16 v92, v190 offset:448
	ds_read_u16 v93, v190 offset:976
	;; [unrolled: 1-line block ×4, first 2 shown]
	v_cvt_pk_f16_f32 v41, v36, v37
	s_waitcnt lgkmcnt(2)
	v_perm_b32 v90, v93, v92, s96
	s_nop 0
	v_cvt_pk_f16_f32 v87, v86, v87
	s_waitcnt lgkmcnt(0)
	v_perm_b32 v91, v212, v102, s96
	v_cvt_pk_f16_f32 v86, v88, v89
	s_nop 0
	v_mfma_f32_16x16x16_f16 v[90:93], v[90:91], v[94:95], v[208:211]
	ds_read_u16 v102, v190 offset:17344
	s_nop 1
	ds_read_u16 v208, v190 offset:17872
	ds_read_u16 v209, v190 offset:18400
	;; [unrolled: 1-line block ×3, first 2 shown]
	v_cvt_f32_f16_sdwa v211, v221 dst_sel:DWORD dst_unused:UNUSED_PAD src0_sel:WORD_1
	s_nop 0
	v_cvt_f16_f32_e32 v90, v90
	v_cvt_f16_f32_e32 v91, v91
	;; [unrolled: 1-line block ×4, first 2 shown]
	s_waitcnt lgkmcnt(2)
	v_perm_b32 v208, v208, v102, s96
	ds_read_u16 v102, v190 offset:480
	ds_read_u16 v212, v190 offset:1008
	ds_read_u16 v213, v190 offset:1536
	ds_read_u16 v214, v191 offset:480
	s_waitcnt lgkmcnt(4)
	v_perm_b32 v209, v210, v209, s96
	v_cvt_f32_f16_e32 v90, v90
	v_cvt_f32_f16_e32 v91, v91
	;; [unrolled: 1-line block ×4, first 2 shown]
	s_waitcnt lgkmcnt(0)
	v_perm_b32 v213, v214, v213, s96
	v_perm_b32 v212, v212, v102, s96
	v_mfma_f32_16x16x16_f16 v[90:93], v[208:209], v[96:97], v[90:93]
	v_cvt_f32_f16_e32 v208, v218
	v_cvt_f32_f16_sdwa v209, v218 dst_sel:DWORD dst_unused:UNUSED_PAD src0_sel:WORD_1
	v_cvt_f32_f16_e32 v210, v221
	s_nop 1
	v_mfma_f32_16x16x16_f16 v[208:211], v[212:213], v[94:95], v[208:211]
	ds_read_u16 v212, v190 offset:17376
	ds_read_u16 v213, v190 offset:17904
	;; [unrolled: 1-line block ×4, first 2 shown]
	v_cvt_pk_f16_f32 v91, v90, v91
	v_cvt_pk_f16_f32 v90, v92, v93
	s_nop 1
	v_cvt_f16_f32_e32 v94, v208
	v_cvt_f16_f32_e32 v95, v209
	;; [unrolled: 1-line block ×4, first 2 shown]
	v_cvt_f32_f16_e32 v208, v94
	v_cvt_f32_f16_e32 v209, v95
	s_waitcnt lgkmcnt(0)
	v_perm_b32 v95, v215, v214, s96
	v_perm_b32 v94, v213, v212, s96
	v_cvt_f32_f16_e32 v210, v102
	v_cvt_f32_f16_e32 v211, v211
	s_barrier
	s_nop 0
	v_mfma_f32_16x16x16_f16 v[94:97], v[94:95], v[96:97], v[208:211]
	s_nop 7
	v_cvt_pk_f16_f32 v94, v94, v95
	v_cvt_pk_f16_f32 v95, v96, v97
	s_cbranch_scc1 .LBB29_49
	s_branch .LBB29_52
.LBB29_50:                              ;   in Loop: Header=BB29_10 Depth=1
	s_cbranch_execz .LBB29_9
	s_branch .LBB29_221
.LBB29_51:                              ;   in Loop: Header=BB29_10 Depth=1
	v_mov_b32_e32 v227, 0xfeffffff
	v_mov_b32_e32 v225, 0
	;; [unrolled: 1-line block ×35, first 2 shown]
.LBB29_52:                              ;   in Loop: Header=BB29_10 Depth=1
	s_lshl_b32 s8, s76, 6
	s_ashr_i32 s9, s8, 31
	s_lshl_b64 s[12:13], s[8:9], 1
	v_lshl_add_u64 v[34:35], v[158:159], 0, s[12:13]
	v_lshl_add_u64 v[34:35], v[172:173], 1, v[34:35]
	v_lshlrev_b32_e32 v102, 1, v120
	v_lshl_add_u64 v[34:35], v[34:35], 0, v[102:103]
	global_load_dword v34, v[34:35], off
	s_mul_hi_i32 s13, s34, s8
	s_mul_i32 s12, s34, s8
	s_lshl_b64 s[12:13], s[12:13], 2
	v_lshlrev_b32_e32 v102, 2, v100
	v_add_u32_e32 v40, 0x4000, v188
	v_cmp_lt_i32_e32 vcc, v222, v229
	s_mul_hi_i32 s9, s38, s8
	s_mul_i32 s8, s38, s8
	s_lshl_b64 s[8:9], s[8:9], 2
	s_waitcnt vmcnt(0)
	ds_write_b32 v195, v34 offset:33792
	v_lshl_add_u64 v[34:35], v[156:157], 0, s[12:13]
	v_lshl_add_u64 v[36:37], v[104:105], 2, v[34:35]
	;; [unrolled: 1-line block ×7, first 2 shown]
	global_load_dwordx4 v[34:37], v[36:37], off
	v_lshl_add_u64 v[48:49], v[48:49], 0, v[102:103]
	v_lshl_add_u64 v[52:53], v[52:53], 0, v[102:103]
	s_waitcnt vmcnt(0)
	ds_write_b128 v186, v[34:37]
	global_load_dwordx4 v[34:37], v[48:49], off
	s_waitcnt vmcnt(0)
	ds_write_b128 v233, v[34:37]
	global_load_dwordx4 v[34:37], v[52:53], off
	;; [unrolled: 3-line block ×3, first 2 shown]
	s_waitcnt vmcnt(0)
	ds_write_b128 v235, v[34:37]
	s_waitcnt lgkmcnt(0)
	s_barrier
	ds_read2_b64 v[34:37], v188 offset1:4
	s_waitcnt lgkmcnt(0)
	v_mfma_f32_16x16x16_f16 v[172:175], v[34:35], v[30:31], 0
	v_mfma_f32_16x16x16_f16 v[34:37], v[36:37], v[32:33], v[172:175]
	s_nop 6
	ds_read2_b64 v[172:175], v188 offset0:8 offset1:12
	s_waitcnt lgkmcnt(0)
	v_mfma_f32_16x16x16_f16 v[34:37], v[172:173], v[26:27], v[34:37]
	v_mfma_f32_16x16x16_f16 v[34:37], v[174:175], v[28:29], v[34:37]
	ds_read2_b64 v[172:175], v188 offset0:16 offset1:20
	s_waitcnt lgkmcnt(0)
	v_mfma_f32_16x16x16_f16 v[34:37], v[172:173], v[22:23], v[34:37]
	v_mfma_f32_16x16x16_f16 v[34:37], v[174:175], v[24:25], v[34:37]
	;; [unrolled: 4-line block ×9, first 2 shown]
	s_nop 6
	ds_read2_b64 v[30:33], v40 offset0:80 offset1:84
	s_waitcnt lgkmcnt(0)
	v_mfma_f32_16x16x16_f16 v[26:29], v[30:31], v[22:23], v[26:29]
	v_mfma_f32_16x16x16_f16 v[22:25], v[32:33], v[24:25], v[26:29]
	s_nop 6
	ds_read2_b64 v[26:29], v40 offset0:88 offset1:92
	s_waitcnt lgkmcnt(0)
	v_mfma_f32_16x16x16_f16 v[22:25], v[26:27], v[18:19], v[22:25]
	v_mfma_f32_16x16x16_f16 v[18:21], v[28:29], v[20:21], v[22:25]
	;; [unrolled: 5-line block ×5, first 2 shown]
	s_nop 6
	ds_read2_b64 v[10:13], v40 offset0:120 offset1:124
	s_waitcnt lgkmcnt(0)
	v_mfma_f32_16x16x16_f16 v[6:9], v[10:11], v[2:3], v[6:9]
	v_add_u32_e32 v2, 0x8400, v189
	s_barrier
	ds_read2_b32 v[2:3], v2 offset1:1
	v_mfma_f32_16x16x16_f16 v[10:13], v[12:13], v[4:5], v[6:9]
	s_waitcnt lgkmcnt(0)
	v_cvt_f32_f16_e32 v4, v2
	v_cvt_f32_f16_sdwa v2, v2 dst_sel:DWORD dst_unused:UNUSED_PAD src0_sel:WORD_1
	s_nop 0
	v_add_f32_e32 v6, v34, v4
	v_add_f32_e32 v7, v35, v2
	v_cvt_f32_f16_e32 v2, v3
	v_cvt_f32_f16_sdwa v3, v3 dst_sel:DWORD dst_unused:UNUSED_PAD src0_sel:WORD_1
	v_add_f32_e32 v8, v36, v2
	ds_read_b32 v2, v196 offset:33792
	v_add_f32_e32 v9, v37, v3
	s_waitcnt lgkmcnt(0)
	v_cvt_f32_f16_e32 v3, v2
	v_cvt_f32_f16_sdwa v2, v2 dst_sel:DWORD dst_unused:UNUSED_PAD src0_sel:WORD_1
	v_add_f32_e32 v5, v10, v3
	v_add_f32_e32 v4, v11, v2
	ds_read_b32 v2, v197 offset:33792
	v_add_f32_e32 v10, 0x40051340, v6
	v_add_f32_e32 v11, 0x40051340, v7
	v_max3_f32 v10, v227, v10, v11
	v_add_f32_e32 v11, 0x40051340, v8
	s_waitcnt lgkmcnt(0)
	v_cvt_f32_f16_e32 v3, v2
	v_cvt_f32_f16_sdwa v2, v2 dst_sel:DWORD dst_unused:UNUSED_PAD src0_sel:WORD_1
	v_add_f32_e32 v3, v12, v3
	v_add_f32_e32 v12, 0x40051340, v9
	;; [unrolled: 1-line block ×3, first 2 shown]
	v_max3_f32 v10, v10, v11, v12
	v_add_f32_e32 v11, 0x40051340, v5
	v_add_f32_e32 v12, 0x40051340, v4
	v_max3_f32 v10, v10, v11, v12
	v_add_f32_e32 v11, 0x40051340, v3
	v_add_f32_e32 v12, 0x40051340, v2
	v_max3_f32 v10, v10, v11, v12
	v_cndmask_b32_e32 v11, v255, v222, vcc
	v_lshlrev_b32_e32 v37, 2, v11
	ds_bpermute_b32 v11, v37, v10
	v_cmp_lt_i32_e32 vcc, v226, v229
	s_waitcnt lgkmcnt(0)
	v_max_f32_e32 v11, v11, v11
	v_max_f32_e32 v10, v10, v11
	v_cndmask_b32_e32 v11, v255, v226, vcc
	v_lshlrev_b32_e32 v40, 2, v11
	ds_bpermute_b32 v11, v40, v10
	s_waitcnt lgkmcnt(0)
	v_max_f32_e32 v11, v11, v11
	v_max_f32_e32 v36, v10, v11
	v_sub_f32_e32 v6, v6, v36
	v_mul_f32_e32 v10, 0x3fb8aa3b, v6
	v_fma_f32 v11, v6, s45, -v10
	v_rndne_f32_e32 v12, v10
	v_fmac_f32_e32 v11, 0x32a5705f, v6
	v_sub_f32_e32 v10, v10, v12
	v_add_f32_e32 v10, v10, v11
	v_exp_f32_e32 v10, v10
	v_cvt_i32_f32_e32 v11, v12
	v_cmp_ngt_f32_e32 vcc, s69, v6
	v_sub_f32_e32 v7, v7, v36
	v_sub_f32_e32 v8, v8, v36
	v_ldexp_f32 v10, v10, v11
	v_cndmask_b32_e32 v10, 0, v10, vcc
	v_cmp_nlt_f32_e32 vcc, s94, v6
	v_sub_f32_e32 v9, v9, v36
	v_sub_f32_e32 v5, v5, v36
	v_cndmask_b32_e32 v6, v230, v10, vcc
	v_mul_f32_e32 v10, 0x3fb8aa3b, v7
	v_fma_f32 v11, v7, s45, -v10
	v_rndne_f32_e32 v12, v10
	v_fmac_f32_e32 v11, 0x32a5705f, v7
	v_sub_f32_e32 v10, v10, v12
	v_add_f32_e32 v10, v10, v11
	v_exp_f32_e32 v10, v10
	v_cvt_i32_f32_e32 v11, v12
	v_cmp_ngt_f32_e32 vcc, s69, v7
	v_sub_f32_e32 v4, v4, v36
	v_sub_f32_e32 v3, v3, v36
	v_ldexp_f32 v10, v10, v11
	v_mul_f32_e32 v11, 0x3fb8aa3b, v8
	v_fma_f32 v12, v8, s45, -v11
	v_rndne_f32_e32 v13, v11
	v_fmac_f32_e32 v12, 0x32a5705f, v8
	v_sub_f32_e32 v11, v11, v13
	v_add_f32_e32 v11, v11, v12
	v_exp_f32_e32 v11, v11
	v_cvt_i32_f32_e32 v12, v13
	v_cndmask_b32_e32 v10, 0, v10, vcc
	v_cmp_nlt_f32_e32 vcc, s94, v7
	v_sub_f32_e32 v2, v2, v36
	v_ldexp_f32 v11, v11, v12
	v_cndmask_b32_e32 v7, v230, v10, vcc
	v_cmp_ngt_f32_e32 vcc, s69, v8
	v_add_f32_e32 v10, v6, v7
	s_nop 0
	v_cndmask_b32_e32 v11, 0, v11, vcc
	v_cmp_nlt_f32_e32 vcc, s94, v8
	s_nop 1
	v_cndmask_b32_e32 v8, v230, v11, vcc
	v_mul_f32_e32 v11, 0x3fb8aa3b, v9
	v_fma_f32 v12, v9, s45, -v11
	v_rndne_f32_e32 v13, v11
	v_fmac_f32_e32 v12, 0x32a5705f, v9
	v_sub_f32_e32 v11, v11, v13
	v_add_f32_e32 v11, v11, v12
	v_exp_f32_e32 v11, v11
	v_cvt_i32_f32_e32 v12, v13
	v_cmp_ngt_f32_e32 vcc, s69, v9
	v_add_f32_e32 v10, v8, v10
	v_ldexp_f32 v11, v11, v12
	v_cndmask_b32_e32 v11, 0, v11, vcc
	v_cmp_nlt_f32_e32 vcc, s94, v9
	s_nop 1
	v_cndmask_b32_e32 v9, v230, v11, vcc
	v_mul_f32_e32 v11, 0x3fb8aa3b, v5
	v_fma_f32 v12, v5, s45, -v11
	v_rndne_f32_e32 v13, v11
	v_fmac_f32_e32 v12, 0x32a5705f, v5
	v_sub_f32_e32 v11, v11, v13
	v_add_f32_e32 v11, v11, v12
	v_exp_f32_e32 v11, v11
	v_cvt_i32_f32_e32 v12, v13
	v_cmp_ngt_f32_e32 vcc, s69, v5
	v_add_f32_e32 v10, v9, v10
	v_ldexp_f32 v11, v11, v12
	v_cndmask_b32_e32 v11, 0, v11, vcc
	v_cmp_nlt_f32_e32 vcc, s94, v5
	s_nop 1
	v_cndmask_b32_e32 v34, v230, v11, vcc
	v_add_f32_e32 v5, v34, v10
	v_mul_f32_e32 v10, 0x3fb8aa3b, v4
	v_fma_f32 v11, v4, s45, -v10
	v_rndne_f32_e32 v12, v10
	v_fmac_f32_e32 v11, 0x32a5705f, v4
	v_sub_f32_e32 v10, v10, v12
	v_add_f32_e32 v10, v10, v11
	v_exp_f32_e32 v10, v10
	v_cvt_i32_f32_e32 v11, v12
	v_cmp_ngt_f32_e32 vcc, s69, v4
	v_ldexp_f32 v10, v10, v11
	s_nop 0
	v_cndmask_b32_e32 v10, 0, v10, vcc
	v_cmp_nlt_f32_e32 vcc, s94, v4
	s_nop 1
	v_cndmask_b32_e32 v57, v230, v10, vcc
	v_add_f32_e32 v4, v57, v5
	v_mul_f32_e32 v5, 0x3fb8aa3b, v3
	v_fma_f32 v10, v3, s45, -v5
	v_rndne_f32_e32 v11, v5
	v_fmac_f32_e32 v10, 0x32a5705f, v3
	v_sub_f32_e32 v5, v5, v11
	v_add_f32_e32 v5, v5, v10
	v_exp_f32_e32 v5, v5
	v_cvt_i32_f32_e32 v10, v11
	v_cmp_ngt_f32_e32 vcc, s69, v3
	v_cvt_pk_f16_f32 v34, v34, v57
	v_ldexp_f32 v5, v5, v10
	v_cndmask_b32_e32 v5, 0, v5, vcc
	v_cmp_nlt_f32_e32 vcc, s94, v3
	s_nop 1
	v_cndmask_b32_e32 v35, v230, v5, vcc
	v_add_f32_e32 v3, v35, v4
	v_mul_f32_e32 v4, 0x3fb8aa3b, v2
	v_fma_f32 v5, v2, s45, -v4
	v_rndne_f32_e32 v10, v4
	v_fmac_f32_e32 v5, 0x32a5705f, v2
	v_sub_f32_e32 v4, v4, v10
	v_add_f32_e32 v4, v4, v5
	v_exp_f32_e32 v4, v4
	v_cvt_i32_f32_e32 v5, v10
	v_cmp_ngt_f32_e32 vcc, s69, v2
	v_ldexp_f32 v4, v4, v5
	s_nop 0
	v_cndmask_b32_e32 v4, 0, v4, vcc
	v_cmp_nlt_f32_e32 vcc, s94, v2
	v_sub_f32_e32 v2, v227, v36
	s_nop 0
	v_cndmask_b32_e32 v60, v230, v4, vcc
	v_add_f32_e32 v45, v60, v3
	v_mul_f32_e32 v3, 0x3fb8aa3b, v2
	v_fma_f32 v4, v2, s45, -v3
	v_rndne_f32_e32 v5, v3
	v_fmac_f32_e32 v4, 0x32a5705f, v2
	v_sub_f32_e32 v3, v3, v5
	v_add_f32_e32 v3, v3, v4
	v_exp_f32_e32 v3, v3
	v_cvt_i32_f32_e32 v4, v5
	v_cmp_ngt_f32_e32 vcc, s69, v2
	v_cvt_pk_f16_f32 v35, v35, v60
	v_ldexp_f32 v3, v3, v4
	v_cndmask_b32_e32 v3, 0, v3, vcc
	v_cmp_nlt_f32_e32 vcc, s94, v2
	s_nop 1
	v_cndmask_b32_e32 v3, v230, v3, vcc
	v_cmp_le_f32_e32 vcc, s95, v2
	s_nop 1
	v_cndmask_b32_e32 v2, 0, v3, vcc
	v_fmac_f32_e32 v45, v225, v2
	v_cvt_f16_f32_e32 v2, v2
	v_cmp_ne_u64_e32 vcc, 0, v[152:153]
	s_and_b64 s[12:13], s[0:1], vcc
	v_mul_u32_u24_e32 v2, 0x10001, v2
	v_pk_mul_f16 v44, v44, v2
	v_pk_mul_f16 v41, v41, v2
	;; [unrolled: 1-line block ×32, first 2 shown]
	v_lshl_add_u64 v[2:3], v[154:155], 0, s[8:9]
	v_lshl_add_u64 v[4:5], v[112:113], 2, v[2:3]
	;; [unrolled: 1-line block ×7, first 2 shown]
	global_load_dwordx4 v[2:5], v[4:5], off
	v_lshl_add_u64 v[38:39], v[38:39], 0, v[102:103]
	v_lshl_add_u64 v[46:47], v[46:47], 0, v[102:103]
	v_cvt_f32_f16_sdwa v57, v11 dst_sel:DWORD dst_unused:UNUSED_PAD src0_sel:WORD_1
	v_cvt_f32_f16_e32 v58, v10
	v_cvt_f32_f16_sdwa v59, v10 dst_sel:DWORD dst_unused:UNUSED_PAD src0_sel:WORD_1
	v_cvt_f32_f16_e32 v60, v13
	;; [unrolled: 2-line block ×17, first 2 shown]
	v_cvt_f32_f16_sdwa v93, v48 dst_sel:DWORD dst_unused:UNUSED_PAD src0_sel:WORD_1
	s_waitcnt vmcnt(0)
	ds_write_b128 v186, v[2:5]
	global_load_dwordx4 v[2:5], v[38:39], off
	s_waitcnt vmcnt(0)
	ds_write_b128 v233, v[2:5]
	global_load_dwordx4 v[2:5], v[46:47], off
	;; [unrolled: 3-line block ×3, first 2 shown]
	s_waitcnt vmcnt(0)
	ds_write_b128 v235, v[2:5]
	s_waitcnt lgkmcnt(0)
	s_barrier
	ds_read_u16 v38, v190 offset:528
	ds_read_u16 v39, v190 offset:1056
	v_cvt_f32_f16_e32 v4, v41
	v_cvt_f32_f16_sdwa v5, v41 dst_sel:DWORD dst_unused:UNUSED_PAD src0_sel:WORD_1
	ds_read_u16 v41, v191
	ds_read_u16 v42, v191 offset:32
	v_cvt_f32_f16_e32 v2, v44
	v_cvt_f32_f16_sdwa v3, v44 dst_sel:DWORD dst_unused:UNUSED_PAD src0_sel:WORD_1
	s_waitcnt lgkmcnt(1)
	v_perm_b32 v47, v41, v39, s96
	ds_read_u16 v39, v190
	ds_read_u16 v50, v190 offset:32
	s_waitcnt lgkmcnt(1)
	v_perm_b32 v46, v38, v39, s96
	v_cvt_pk_f16_f32 v39, v8, v9
	v_cvt_pk_f16_f32 v38, v6, v7
	ds_read_u16 v6, v190 offset:16896
	ds_read_u16 v8, v190 offset:17424
	;; [unrolled: 1-line block ×4, first 2 shown]
	v_mfma_f32_16x16x16_f16 v[2:5], v[46:47], v[38:39], v[2:5]
	s_waitcnt lgkmcnt(2)
	v_perm_b32 v6, v8, v6, s96
	s_waitcnt lgkmcnt(0)
	v_perm_b32 v7, v9, v7, s96
	ds_read_u16 v8, v190 offset:560
	ds_read_u16 v9, v190 offset:1088
	s_nop 1
	v_cvt_f16_f32_e32 v2, v2
	v_cvt_f16_f32_e32 v3, v3
	;; [unrolled: 1-line block ×4, first 2 shown]
	v_cvt_f32_f16_e32 v2, v2
	v_cvt_f32_f16_e32 v3, v3
	v_cvt_f32_f16_e32 v4, v4
	v_cvt_f32_f16_e32 v5, v5
	s_waitcnt lgkmcnt(0)
	v_perm_b32 v9, v42, v9, s96
	v_perm_b32 v8, v8, v50, s96
	v_mfma_f32_16x16x16_f16 v[2:5], v[6:7], v[34:35], v[2:5]
	v_cvt_f32_f16_e32 v6, v53
	v_cvt_f32_f16_sdwa v7, v53 dst_sel:DWORD dst_unused:UNUSED_PAD src0_sel:WORD_1
	s_nop 5
	v_cvt_f16_f32_e32 v4, v4
	v_cvt_f16_f32_e32 v5, v5
	;; [unrolled: 1-line block ×4, first 2 shown]
	v_perm_b32 v41, v5, v4, s96
	v_cvt_f32_f16_e32 v4, v56
	v_cvt_f32_f16_sdwa v5, v56 dst_sel:DWORD dst_unused:UNUSED_PAD src0_sel:WORD_1
	v_cvt_f32_f16_e32 v56, v11
	v_perm_b32 v44, v46, v44, s96
	v_mfma_f32_16x16x16_f16 v[4:7], v[8:9], v[38:39], v[4:7]
	ds_read_u16 v8, v190 offset:16928
	ds_read_u16 v42, v190 offset:17456
	;; [unrolled: 1-line block ×4, first 2 shown]
	s_nop 3
	v_cvt_f16_f32_e32 v4, v4
	v_cvt_f16_f32_e32 v5, v5
	;; [unrolled: 1-line block ×4, first 2 shown]
	s_waitcnt lgkmcnt(0)
	v_perm_b32 v9, v47, v9, s96
	v_perm_b32 v8, v42, v8, s96
	v_cvt_f32_f16_e32 v4, v4
	v_cvt_f32_f16_e32 v5, v5
	;; [unrolled: 1-line block ×4, first 2 shown]
	ds_read_u16 v47, v190 offset:64
	ds_read_u16 v54, v190 offset:592
	;; [unrolled: 1-line block ×4, first 2 shown]
	v_mfma_f32_16x16x16_f16 v[4:7], v[8:9], v[34:35], v[4:7]
	v_cvt_f32_f16_e32 v8, v43
	s_waitcnt lgkmcnt(0)
	v_perm_b32 v53, v55, v53, s96
	v_cvt_f32_f16_sdwa v9, v43 dst_sel:DWORD dst_unused:UNUSED_PAD src0_sel:WORD_1
	s_nop 3
	v_cvt_f16_f32_e32 v6, v6
	v_cvt_f16_f32_e32 v7, v7
	;; [unrolled: 1-line block ×4, first 2 shown]
	v_perm_b32 v42, v7, v6, s96
	v_cvt_f32_f16_e32 v6, v52
	v_cvt_f32_f16_sdwa v7, v52 dst_sel:DWORD dst_unused:UNUSED_PAD src0_sel:WORD_1
	v_perm_b32 v52, v54, v47, s96
	v_perm_b32 v50, v51, v50, s96
	s_nop 0
	v_mfma_f32_16x16x16_f16 v[6:9], v[52:53], v[38:39], v[6:9]
	ds_read_u16 v43, v190 offset:16960
	ds_read_u16 v47, v190 offset:17488
	;; [unrolled: 1-line block ×4, first 2 shown]
	s_nop 3
	v_cvt_f16_f32_e32 v6, v6
	v_cvt_f16_f32_e32 v7, v7
	;; [unrolled: 1-line block ×4, first 2 shown]
	s_waitcnt lgkmcnt(0)
	v_perm_b32 v53, v53, v52, s96
	v_perm_b32 v52, v47, v43, s96
	v_cvt_f32_f16_e32 v6, v6
	v_cvt_f32_f16_e32 v7, v7
	;; [unrolled: 1-line block ×4, first 2 shown]
	s_nop 1
	v_mfma_f32_16x16x16_f16 v[6:9], v[52:53], v[34:35], v[6:9]
	s_nop 7
	v_cvt_f16_f32_e32 v8, v8
	v_cvt_f16_f32_e32 v9, v9
	;; [unrolled: 1-line block ×4, first 2 shown]
	v_perm_b32 v43, v9, v8, s96
	ds_read_u16 v8, v190 offset:96
	ds_read_u16 v47, v190 offset:624
	ds_read_u16 v9, v190 offset:1152
	ds_read_u16 v52, v191 offset:96
	v_perm_b32 v53, v54, v53, s96
	s_waitcnt lgkmcnt(2)
	v_perm_b32 v8, v47, v8, s96
	s_waitcnt lgkmcnt(0)
	v_perm_b32 v9, v52, v9, s96
	s_nop 1
	v_mfma_f32_16x16x16_f16 v[8:11], v[8:9], v[38:39], v[56:59]
	ds_read_u16 v47, v190 offset:16992
	ds_read_u16 v52, v190 offset:17520
	;; [unrolled: 1-line block ×4, first 2 shown]
	s_nop 3
	v_cvt_f16_f32_e32 v8, v8
	v_cvt_f16_f32_e32 v9, v9
	;; [unrolled: 1-line block ×4, first 2 shown]
	s_waitcnt lgkmcnt(0)
	v_perm_b32 v57, v56, v55, s96
	v_perm_b32 v56, v52, v47, s96
	v_cvt_f32_f16_e32 v8, v8
	v_cvt_f32_f16_e32 v9, v9
	;; [unrolled: 1-line block ×4, first 2 shown]
	s_nop 1
	v_mfma_f32_16x16x16_f16 v[8:11], v[56:57], v[34:35], v[8:11]
	s_nop 7
	v_cvt_f16_f32_e32 v10, v10
	v_cvt_f16_f32_e32 v11, v11
	v_cvt_f16_f32_e32 v57, v8
	v_cvt_f16_f32_e32 v58, v9
	v_perm_b32 v47, v11, v10, s96
	ds_read_u16 v10, v190 offset:128
	ds_read_u16 v52, v190 offset:656
	;; [unrolled: 1-line block ×4, first 2 shown]
	v_perm_b32 v57, v58, v57, s96
	s_waitcnt lgkmcnt(2)
	v_perm_b32 v10, v52, v10, s96
	s_waitcnt lgkmcnt(0)
	v_perm_b32 v11, v55, v11, s96
	ds_read_u16 v52, v190 offset:17024
	ds_read_u16 v55, v190 offset:17552
	;; [unrolled: 1-line block ×4, first 2 shown]
	v_mfma_f32_16x16x16_f16 v[10:13], v[10:11], v[38:39], v[60:63]
	s_waitcnt lgkmcnt(0)
	s_nop 1
	v_perm_b32 v61, v59, v56, s96
	v_perm_b32 v60, v55, v52, s96
	s_nop 2
	v_cvt_f16_f32_e32 v10, v10
	v_cvt_f16_f32_e32 v11, v11
	;; [unrolled: 1-line block ×4, first 2 shown]
	v_cvt_f32_f16_e32 v10, v10
	v_cvt_f32_f16_e32 v11, v11
	;; [unrolled: 1-line block ×4, first 2 shown]
	s_nop 1
	v_mfma_f32_16x16x16_f16 v[10:13], v[60:61], v[34:35], v[10:13]
	s_nop 7
	v_cvt_f16_f32_e32 v12, v12
	v_cvt_f16_f32_e32 v13, v13
	;; [unrolled: 1-line block ×4, first 2 shown]
	v_perm_b32 v52, v13, v12, s96
	ds_read_u16 v12, v190 offset:160
	ds_read_u16 v55, v190 offset:688
	;; [unrolled: 1-line block ×4, first 2 shown]
	v_perm_b32 v61, v62, v61, s96
	s_waitcnt lgkmcnt(2)
	v_perm_b32 v12, v55, v12, s96
	s_waitcnt lgkmcnt(0)
	v_perm_b32 v13, v56, v13, s96
	ds_read_u16 v55, v190 offset:17056
	ds_read_u16 v56, v190 offset:17584
	;; [unrolled: 1-line block ×4, first 2 shown]
	v_mfma_f32_16x16x16_f16 v[12:15], v[12:13], v[38:39], v[64:67]
	s_waitcnt lgkmcnt(0)
	s_nop 1
	v_perm_b32 v65, v60, v59, s96
	v_perm_b32 v64, v56, v55, s96
	v_cvt_f32_f16_e32 v66, v17
	s_nop 1
	v_cvt_f16_f32_e32 v12, v12
	v_cvt_f16_f32_e32 v13, v13
	;; [unrolled: 1-line block ×4, first 2 shown]
	v_cvt_f32_f16_e32 v12, v12
	v_cvt_f32_f16_e32 v13, v13
	;; [unrolled: 1-line block ×4, first 2 shown]
	v_cvt_f32_f16_sdwa v67, v17 dst_sel:DWORD dst_unused:UNUSED_PAD src0_sel:WORD_1
	s_nop 0
	v_mfma_f32_16x16x16_f16 v[12:15], v[64:65], v[34:35], v[12:15]
	s_nop 7
	v_cvt_f16_f32_e32 v14, v14
	v_cvt_f16_f32_e32 v15, v15
	v_cvt_f16_f32_e32 v64, v12
	v_cvt_f16_f32_e32 v65, v13
	v_perm_b32 v55, v15, v14, s96
	ds_read_u16 v14, v190 offset:192
	ds_read_u16 v56, v190 offset:720
	;; [unrolled: 1-line block ×4, first 2 shown]
	v_perm_b32 v64, v65, v64, s96
	s_waitcnt lgkmcnt(2)
	v_perm_b32 v14, v56, v14, s96
	s_waitcnt lgkmcnt(0)
	v_perm_b32 v15, v59, v15, s96
	ds_read_u16 v56, v190 offset:17088
	ds_read_u16 v59, v190 offset:17616
	ds_read_u16 v60, v190 offset:18144
	ds_read_u16 v63, v191 offset:17088
	v_mfma_f32_16x16x16_f16 v[14:17], v[14:15], v[38:39], v[66:69]
	s_waitcnt lgkmcnt(0)
	s_nop 1
	v_perm_b32 v67, v63, v60, s96
	v_perm_b32 v66, v59, v56, s96
	s_nop 2
	v_cvt_f16_f32_e32 v14, v14
	v_cvt_f16_f32_e32 v15, v15
	;; [unrolled: 1-line block ×4, first 2 shown]
	v_cvt_f32_f16_e32 v14, v14
	v_cvt_f32_f16_e32 v15, v15
	;; [unrolled: 1-line block ×4, first 2 shown]
	s_nop 1
	v_mfma_f32_16x16x16_f16 v[14:17], v[66:67], v[34:35], v[14:17]
	s_nop 7
	v_cvt_f16_f32_e32 v16, v16
	v_cvt_f16_f32_e32 v17, v17
	;; [unrolled: 1-line block ×4, first 2 shown]
	v_perm_b32 v59, v17, v16, s96
	ds_read_u16 v16, v190 offset:224
	ds_read_u16 v56, v190 offset:752
	;; [unrolled: 1-line block ×4, first 2 shown]
	v_perm_b32 v67, v68, v67, s96
	s_waitcnt lgkmcnt(2)
	v_perm_b32 v16, v56, v16, s96
	s_waitcnt lgkmcnt(0)
	v_perm_b32 v17, v60, v17, s96
	s_nop 1
	v_mfma_f32_16x16x16_f16 v[70:73], v[16:17], v[38:39], v[70:73]
	ds_read_u16 v16, v190 offset:17120
	ds_read_u16 v17, v190 offset:17648
	;; [unrolled: 1-line block ×4, first 2 shown]
	s_nop 3
	v_cvt_f16_f32_e32 v18, v70
	v_cvt_f16_f32_e32 v19, v71
	;; [unrolled: 1-line block ×4, first 2 shown]
	v_cvt_f32_f16_e32 v70, v18
	v_cvt_f32_f16_e32 v71, v19
	s_waitcnt lgkmcnt(0)
	v_perm_b32 v19, v66, v63, s96
	v_perm_b32 v18, v17, v16, s96
	v_cvt_f32_f16_e32 v72, v56
	v_cvt_f32_f16_e32 v73, v60
	s_nop 1
	v_mfma_f32_16x16x16_f16 v[16:19], v[18:19], v[34:35], v[70:73]
	s_nop 7
	v_cvt_f16_f32_e32 v18, v18
	v_cvt_f16_f32_e32 v19, v19
	v_cvt_f16_f32_e32 v73, v16
	v_cvt_f16_f32_e32 v74, v17
	v_perm_b32 v72, v19, v18, s96
	ds_read_u16 v18, v190 offset:256
	ds_read_u16 v56, v190 offset:784
	ds_read_u16 v19, v190 offset:1312
	ds_read_u16 v60, v191 offset:256
	v_perm_b32 v73, v74, v73, s96
	s_waitcnt lgkmcnt(2)
	v_perm_b32 v18, v56, v18, s96
	s_waitcnt lgkmcnt(0)
	v_perm_b32 v19, v60, v19, s96
	ds_read_u16 v56, v190 offset:17152
	ds_read_u16 v60, v190 offset:17680
	ds_read_u16 v63, v190 offset:18208
	ds_read_u16 v66, v191 offset:17152
	v_mfma_f32_16x16x16_f16 v[18:21], v[18:19], v[38:39], v[76:79]
	s_waitcnt lgkmcnt(0)
	v_perm_b32 v71, v66, v63, s96
	v_perm_b32 v70, v60, v56, s96
	v_cvt_f32_f16_e32 v78, v23
	s_nop 3
	v_cvt_f16_f32_e32 v18, v18
	v_cvt_f16_f32_e32 v19, v19
	v_cvt_f16_f32_e32 v20, v20
	v_cvt_f16_f32_e32 v21, v21
	v_cvt_f32_f16_e32 v18, v18
	v_cvt_f32_f16_e32 v19, v19
	v_cvt_f32_f16_e32 v20, v20
	v_cvt_f32_f16_e32 v21, v21
	v_cvt_f32_f16_sdwa v79, v23 dst_sel:DWORD dst_unused:UNUSED_PAD src0_sel:WORD_1
	s_nop 0
	v_mfma_f32_16x16x16_f16 v[18:21], v[70:71], v[34:35], v[18:21]
	s_nop 7
	v_cvt_f16_f32_e32 v20, v20
	v_cvt_f16_f32_e32 v21, v21
	v_cvt_f16_f32_e32 v75, v18
	v_cvt_f16_f32_e32 v76, v19
	v_perm_b32 v56, v21, v20, s96
	ds_read_u16 v20, v190 offset:288
	ds_read_u16 v60, v190 offset:816
	ds_read_u16 v21, v190 offset:1344
	ds_read_u16 v63, v191 offset:288
	v_perm_b32 v75, v76, v75, s96
	s_waitcnt lgkmcnt(2)
	v_perm_b32 v20, v60, v20, s96
	s_waitcnt lgkmcnt(0)
	v_perm_b32 v21, v63, v21, s96
	ds_read_u16 v60, v190 offset:17184
	ds_read_u16 v63, v190 offset:17712
	ds_read_u16 v66, v190 offset:18240
	ds_read_u16 v69, v191 offset:17184
	v_mfma_f32_16x16x16_f16 v[20:23], v[20:21], v[38:39], v[78:81]
	s_waitcnt lgkmcnt(0)
	v_perm_b32 v71, v69, v66, s96
	v_perm_b32 v70, v63, v60, s96
	v_cvt_f32_f16_e32 v80, v25
	s_nop 3
	v_cvt_f16_f32_e32 v20, v20
	v_cvt_f16_f32_e32 v21, v21
	v_cvt_f16_f32_e32 v22, v22
	v_cvt_f16_f32_e32 v23, v23
	v_cvt_f32_f16_e32 v20, v20
	v_cvt_f32_f16_e32 v21, v21
	v_cvt_f32_f16_e32 v22, v22
	v_cvt_f32_f16_e32 v23, v23
	v_cvt_f32_f16_sdwa v81, v25 dst_sel:DWORD dst_unused:UNUSED_PAD src0_sel:WORD_1
	;; [unrolled: 36-line block ×3, first 2 shown]
	s_nop 0
	v_mfma_f32_16x16x16_f16 v[22:25], v[70:71], v[34:35], v[22:25]
	s_nop 7
	v_cvt_f16_f32_e32 v24, v24
	v_cvt_f16_f32_e32 v25, v25
	;; [unrolled: 1-line block ×4, first 2 shown]
	v_perm_b32 v63, v25, v24, s96
	ds_read_u16 v24, v190 offset:352
	ds_read_u16 v66, v190 offset:880
	;; [unrolled: 1-line block ×4, first 2 shown]
	s_waitcnt lgkmcnt(2)
	v_perm_b32 v24, v66, v24, s96
	s_waitcnt lgkmcnt(0)
	v_perm_b32 v25, v69, v25, s96
	ds_read_u16 v66, v190 offset:17248
	ds_read_u16 v69, v190 offset:17776
	;; [unrolled: 1-line block ×4, first 2 shown]
	v_mfma_f32_16x16x16_f16 v[24:27], v[24:25], v[38:39], v[82:85]
	s_waitcnt lgkmcnt(0)
	v_perm_b32 v71, v71, v70, s96
	v_perm_b32 v70, v69, v66, s96
	v_cvt_f32_f16_e32 v84, v29
	s_nop 3
	v_cvt_f16_f32_e32 v24, v24
	v_cvt_f16_f32_e32 v25, v25
	;; [unrolled: 1-line block ×4, first 2 shown]
	v_cvt_f32_f16_e32 v24, v24
	v_cvt_f32_f16_e32 v25, v25
	;; [unrolled: 1-line block ×4, first 2 shown]
	v_cvt_f32_f16_sdwa v85, v29 dst_sel:DWORD dst_unused:UNUSED_PAD src0_sel:WORD_1
	s_nop 0
	v_mfma_f32_16x16x16_f16 v[24:27], v[70:71], v[34:35], v[24:27]
	s_nop 7
	v_cvt_f16_f32_e32 v26, v26
	v_cvt_f16_f32_e32 v27, v27
	;; [unrolled: 1-line block ×4, first 2 shown]
	v_perm_b32 v66, v27, v26, s96
	ds_read_u16 v26, v190 offset:384
	ds_read_u16 v69, v190 offset:912
	;; [unrolled: 1-line block ×4, first 2 shown]
	s_waitcnt lgkmcnt(2)
	v_perm_b32 v26, v69, v26, s96
	s_waitcnt lgkmcnt(0)
	v_perm_b32 v27, v70, v27, s96
	ds_read_u16 v69, v190 offset:17280
	ds_read_u16 v70, v190 offset:17808
	;; [unrolled: 1-line block ×4, first 2 shown]
	v_mfma_f32_16x16x16_f16 v[26:29], v[26:27], v[38:39], v[84:87]
	s_waitcnt lgkmcnt(0)
	v_perm_b32 v71, v83, v71, s96
	v_perm_b32 v70, v70, v69, s96
	v_cvt_f32_f16_e32 v86, v31
	s_nop 3
	v_cvt_f16_f32_e32 v26, v26
	v_cvt_f16_f32_e32 v27, v27
	;; [unrolled: 1-line block ×4, first 2 shown]
	v_cvt_f32_f16_e32 v26, v26
	v_cvt_f32_f16_e32 v27, v27
	;; [unrolled: 1-line block ×4, first 2 shown]
	v_cvt_f32_f16_sdwa v87, v31 dst_sel:DWORD dst_unused:UNUSED_PAD src0_sel:WORD_1
	s_nop 0
	v_mfma_f32_16x16x16_f16 v[26:29], v[70:71], v[34:35], v[26:29]
	s_nop 7
	v_cvt_f16_f32_e32 v28, v28
	v_cvt_f16_f32_e32 v29, v29
	;; [unrolled: 1-line block ×4, first 2 shown]
	v_perm_b32 v69, v29, v28, s96
	ds_read_u16 v28, v190 offset:416
	ds_read_u16 v70, v190 offset:944
	;; [unrolled: 1-line block ×4, first 2 shown]
	s_waitcnt lgkmcnt(2)
	v_perm_b32 v28, v70, v28, s96
	s_waitcnt lgkmcnt(0)
	v_perm_b32 v29, v71, v29, s96
	s_nop 1
	v_mfma_f32_16x16x16_f16 v[28:31], v[28:29], v[38:39], v[86:89]
	ds_read_u16 v70, v190 offset:17312
	ds_read_u16 v85, v190 offset:17840
	;; [unrolled: 1-line block ×4, first 2 shown]
	v_cvt_f32_f16_e32 v88, v33
	v_cvt_f32_f16_sdwa v89, v33 dst_sel:DWORD dst_unused:UNUSED_PAD src0_sel:WORD_1
	s_nop 1
	v_cvt_f16_f32_e32 v28, v28
	v_cvt_f16_f32_e32 v29, v29
	;; [unrolled: 1-line block ×4, first 2 shown]
	s_waitcnt lgkmcnt(0)
	v_perm_b32 v71, v86, v71, s96
	v_perm_b32 v70, v85, v70, s96
	v_cvt_f32_f16_e32 v28, v28
	v_cvt_f32_f16_e32 v29, v29
	;; [unrolled: 1-line block ×4, first 2 shown]
	s_nop 1
	v_mfma_f32_16x16x16_f16 v[28:31], v[70:71], v[34:35], v[28:31]
	s_nop 7
	v_cvt_f16_f32_e32 v30, v30
	v_cvt_f16_f32_e32 v31, v31
	;; [unrolled: 1-line block ×4, first 2 shown]
	v_perm_b32 v70, v31, v30, s96
	ds_read_u16 v30, v190 offset:448
	ds_read_u16 v71, v190 offset:976
	;; [unrolled: 1-line block ×4, first 2 shown]
	s_waitcnt lgkmcnt(2)
	v_perm_b32 v30, v71, v30, s96
	s_waitcnt lgkmcnt(0)
	v_perm_b32 v31, v87, v31, s96
	s_nop 1
	v_mfma_f32_16x16x16_f16 v[30:33], v[30:31], v[38:39], v[88:91]
	ds_read_u16 v71, v190 offset:17344
	ds_read_u16 v87, v190 offset:17872
	s_nop 0
	ds_read_u16 v88, v190 offset:18400
	ds_read_u16 v89, v191 offset:17344
	v_cvt_f32_f16_e32 v90, v49
	v_cvt_f32_f16_sdwa v91, v49 dst_sel:DWORD dst_unused:UNUSED_PAD src0_sel:WORD_1
	s_nop 0
	v_cvt_f16_f32_e32 v30, v30
	v_cvt_f16_f32_e32 v31, v31
	;; [unrolled: 1-line block ×4, first 2 shown]
	s_waitcnt lgkmcnt(0)
	v_perm_b32 v89, v89, v88, s96
	v_perm_b32 v88, v87, v71, s96
	v_cvt_f32_f16_e32 v30, v30
	v_cvt_f32_f16_e32 v31, v31
	v_cvt_f32_f16_e32 v32, v32
	v_cvt_f32_f16_e32 v33, v33
	s_nop 1
	v_mfma_f32_16x16x16_f16 v[30:33], v[88:89], v[34:35], v[30:33]
	s_nop 7
	v_cvt_f16_f32_e32 v32, v32
	v_cvt_f16_f32_e32 v33, v33
	;; [unrolled: 1-line block ×4, first 2 shown]
	v_perm_b32 v71, v33, v32, s96
	ds_read_u16 v32, v190 offset:480
	ds_read_u16 v89, v190 offset:1008
	;; [unrolled: 1-line block ×4, first 2 shown]
	s_waitcnt lgkmcnt(2)
	v_perm_b32 v32, v89, v32, s96
	s_waitcnt lgkmcnt(0)
	v_perm_b32 v33, v94, v33, s96
	s_nop 1
	v_mfma_f32_16x16x16_f16 v[90:93], v[32:33], v[38:39], v[90:93]
	s_nop 7
	v_cvt_f16_f32_e32 v38, v90
	ds_read_u16 v32, v190 offset:17376
	ds_read_u16 v33, v190 offset:17904
	ds_read_u16 v89, v190 offset:18432
	ds_read_u16 v90, v191 offset:17376
	v_cvt_f16_f32_e32 v39, v91
	v_cvt_f16_f32_e32 v48, v92
	;; [unrolled: 1-line block ×3, first 2 shown]
	v_cvt_f32_f16_e32 v92, v38
	v_cvt_f32_f16_e32 v93, v39
	s_waitcnt lgkmcnt(0)
	v_perm_b32 v39, v90, v89, s96
	v_perm_b32 v38, v33, v32, s96
	v_cvt_f32_f16_e32 v94, v48
	v_cvt_f32_f16_e32 v95, v49
	v_perm_b32 v48, v82, v81, s96
	v_perm_b32 v49, v80, v79, s96
	v_mfma_f32_16x16x16_f16 v[32:35], v[38:39], v[34:35], v[92:95]
	s_barrier
	s_nop 6
	v_cvt_f16_f32_e32 v34, v34
	v_cvt_f16_f32_e32 v35, v35
	;; [unrolled: 1-line block ×4, first 2 shown]
	v_perm_b32 v34, v35, v34, s96
	ds_bpermute_b32 v35, v37, v45
	s_waitcnt lgkmcnt(0)
	v_add_f32_e32 v35, v45, v35
	ds_bpermute_b32 v37, v40, v35
	v_perm_b32 v45, v84, v83, s96
	s_waitcnt lgkmcnt(0)
	v_add_f32_e32 v37, v35, v37
	v_perm_b32 v35, v39, v38, s96
	v_perm_b32 v38, v88, v87, s96
	;; [unrolled: 1-line block ×3, first 2 shown]
	s_and_saveexec_b64 s[8:9], s[12:13]
	s_cbranch_execz .LBB29_54
; %bb.53:                               ;   in Loop: Header=BB29_10 Depth=1
	v_lshlrev_b32_e32 v35, 2, v124
	v_readfirstlane_b32 s12, v152
	v_readfirstlane_b32 s13, v153
	v_cvt_pk_f16_f32 v38, v2, v3
	v_max_f32_e32 v2, v36, v36
	v_cvt_pk_f16_f32 v4, v4, v5
	v_cvt_pk_f16_f32 v5, v6, v7
	v_cvt_pk_f16_f32 v7, v10, v11
	global_load_dword v35, v35, s[12:13]
	v_cvt_pk_f16_f32 v10, v16, v17
	v_cvt_pk_f16_f32 v11, v18, v19
	;; [unrolled: 1-line block ×10, first 2 shown]
	s_waitcnt vmcnt(0)
	v_max_f32_e32 v3, v35, v35
	v_max_f32_e32 v2, v2, v3
	v_sub_f32_e32 v3, v36, v2
	v_sub_f32_e32 v17, v35, v2
	v_mul_f32_e32 v18, 0x3fb8aa3b, v3
	v_mul_f32_e32 v19, 0x3fb8aa3b, v17
	v_fma_f32 v20, v3, s45, -v18
	v_rndne_f32_e32 v21, v18
	v_fma_f32 v22, v17, s45, -v19
	v_rndne_f32_e32 v23, v19
	v_fmac_f32_e32 v20, 0x32a5705f, v3
	v_sub_f32_e32 v18, v18, v21
	v_fmac_f32_e32 v22, 0x32a5705f, v17
	v_sub_f32_e32 v19, v19, v23
	v_add_f32_e32 v18, v18, v20
	v_cvt_i32_f32_e32 v21, v21
	v_add_f32_e32 v19, v19, v22
	v_exp_f32_e32 v18, v18
	v_cvt_i32_f32_e32 v23, v23
	v_exp_f32_e32 v19, v19
	v_cmp_ngt_f32_e32 vcc, s69, v3
	v_ldexp_f32 v18, v18, v21
	v_cvt_pk_f16_f32 v20, v30, v31
	v_ldexp_f32 v19, v19, v23
	v_cndmask_b32_e32 v18, 0, v18, vcc
	v_cmp_ngt_f32_e32 vcc, s69, v17
	v_cvt_pk_f16_f32 v22, v32, v33
	s_nop 0
	v_cndmask_b32_e32 v19, 0, v19, vcc
	v_cmp_nlt_f32_e32 vcc, s94, v3
	s_nop 1
	v_cndmask_b32_e32 v18, v230, v18, vcc
	v_cmp_le_f32_e32 vcc, s95, v3
	s_nop 1
	v_cndmask_b32_e32 v18, 0, v18, vcc
	v_cvt_f16_f32_e32 v21, v18
	v_cmp_nlt_f32_e32 vcc, s94, v17
	v_mul_u32_u24_e32 v17, 0x10001, v21
	s_nop 0
	v_cndmask_b32_e32 v3, v230, v19, vcc
	v_fmac_f32_e32 v3, v37, v18
	v_pk_mul_f16 v44, v38, v17
	v_pk_mul_f16 v41, v41, v17
	;; [unrolled: 1-line block ×32, first 2 shown]
	v_mov_b64_e32 v[36:37], v[2:3]
.LBB29_54:                              ;   in Loop: Header=BB29_10 Depth=1
	s_or_b64 exec, exec, s[8:9]
	s_and_saveexec_b64 s[8:9], s[4:5]
; %bb.55:                               ;   in Loop: Header=BB29_10 Depth=1
	v_add_u32_e32 v2, 0, v198
	ds_write2_b32 v2, v36, v37 offset0:64 offset1:65
; %bb.56:                               ;   in Loop: Header=BB29_10 Depth=1
	s_or_b64 exec, exec, s[8:9]
	s_waitcnt lgkmcnt(0)
	s_barrier
	s_and_saveexec_b64 s[8:9], s[10:11]
	s_xor_b64 s[8:9], exec, s[8:9]
	s_cbranch_execz .LBB29_58
; %bb.57:                               ;   in Loop: Header=BB29_10 Depth=1
	s_barrier
                                        ; implicit-def: $vgpr40
.LBB29_58:                              ;   in Loop: Header=BB29_10 Depth=1
	s_andn2_saveexec_b64 s[8:9], s[8:9]
	s_cbranch_execz .LBB29_64
; %bb.59:                               ;   in Loop: Header=BB29_10 Depth=1
	v_add_u32_e32 v3, 0, v199
	ds_read_b64 v[6:7], v3 offset:256
	s_waitcnt lgkmcnt(0)
	s_barrier
	ds_bpermute_b32 v2, v40, v6
	v_max_f32_e32 v4, v6, v6
	s_waitcnt lgkmcnt(0)
	v_max_f32_e32 v2, v2, v2
	v_max_f32_e32 v2, v4, v2
	v_sub_f32_e32 v4, v6, v2
	v_mul_f32_e32 v5, 0x3fb8aa3b, v4
	v_fma_f32 v6, v4, s45, -v5
	v_rndne_f32_e32 v8, v5
	v_fmac_f32_e32 v6, 0x32a5705f, v4
	v_sub_f32_e32 v5, v5, v8
	v_add_f32_e32 v5, v5, v6
	v_cvt_i32_f32_e32 v8, v8
	v_exp_f32_e32 v5, v5
	v_cmp_ngt_f32_e32 vcc, s69, v4
	v_ldexp_f32 v5, v5, v8
	s_nop 0
	v_cndmask_b32_e32 v5, 0, v5, vcc
	v_cmp_nlt_f32_e32 vcc, s94, v4
	s_nop 1
	v_cndmask_b32_e32 v4, v230, v5, vcc
	v_mul_f32_e32 v5, v7, v4
	ds_bpermute_b32 v5, v40, v5
	s_waitcnt lgkmcnt(0)
	v_fmac_f32_e32 v5, v7, v4
	s_and_saveexec_b64 s[12:13], s[6:7]
; %bb.60:                               ;   in Loop: Header=BB29_10 Depth=1
	ds_write_b64 v3, v[4:5] offset:256
; %bb.61:                               ;   in Loop: Header=BB29_10 Depth=1
	s_or_b64 exec, exec, s[12:13]
	s_and_saveexec_b64 s[12:13], s[4:5]
	s_cbranch_execz .LBB29_63
; %bb.62:                               ;   in Loop: Header=BB29_10 Depth=1
	v_mov_b32_e32 v3, v5
	global_store_dwordx2 v[126:127], v[2:3], off
.LBB29_63:                              ;   in Loop: Header=BB29_10 Depth=1
	s_or_b64 exec, exec, s[12:13]
.LBB29_64:                              ;   in Loop: Header=BB29_10 Depth=1
	s_or_b64 exec, exec, s[8:9]
	v_add_u32_e32 v3, v187, v200
	v_add_u32_e32 v2, v253, v101
	ds_write2_b32 v3, v44, v41 offset1:1
	ds_write2_b32 v3, v50, v42 offset0:8 offset1:9
	ds_write2_b32 v3, v53, v43 offset0:16 offset1:17
	;; [unrolled: 1-line block ×7, first 2 shown]
	s_waitcnt lgkmcnt(0)
	s_barrier
	s_and_saveexec_b64 s[12:13], s[0:1]
	s_cbranch_execz .LBB29_142
; %bb.65:                               ;   in Loop: Header=BB29_10 Depth=1
	v_or_b32_e32 v4, v128, v131
	v_cmp_gt_i32_e64 s[8:9], s36, v2
	v_cmp_gt_i32_e32 vcc, s3, v4
	s_and_b64 s[76:77], s[8:9], vcc
	v_mov_b32_e32 v4, 0x47
	s_and_saveexec_b64 s[8:9], s[76:77]
	s_cbranch_execz .LBB29_67
; %bb.66:                               ;   in Loop: Header=BB29_10 Depth=1
	v_mad_u64_u32 v[4:5], s[76:77], v2, s37, v[128:129]
	v_add_u32_e32 v5, v183, v201
	ds_read2st64_b32 v[6:7], v5 offset1:17
	v_add_u32_e32 v5, 0, v201
	ds_read2st64_b32 v[8:9], v5 offset0:1 offset1:18
	v_lshl_add_u32 v4, v4, 7, v98
	v_ashrrev_i32_e32 v5, 31, v4
	s_waitcnt lgkmcnt(1)
	v_cvt_f32_f16_e32 v10, v6
	v_cvt_f32_f16_sdwa v11, v6 dst_sel:DWORD dst_unused:UNUSED_PAD src0_sel:WORD_1
	v_cvt_f32_f16_e32 v6, v7
	v_cvt_f32_f16_sdwa v7, v7 dst_sel:DWORD dst_unused:UNUSED_PAD src0_sel:WORD_1
	v_lshl_add_u64 v[4:5], v[4:5], 3, v[150:151]
	s_waitcnt lgkmcnt(0)
	v_pk_fma_f32 v[10:11], v[8:9], v[10:11], 0 op_sel_hi:[0,1,0]
	v_mov_b32_e32 v8, v9
	v_pk_fma_f32 v[6:7], v[8:9], v[6:7], v[10:11] op_sel_hi:[0,1,1]
	global_store_dwordx2 v[4:5], v[6:7], off
	v_mov_b32_e32 v4, 0
.LBB29_67:                              ;   in Loop: Header=BB29_10 Depth=1
	s_or_b64 exec, exec, s[8:9]
	v_cmp_gt_i32_e64 s[8:9], s97, v4
	s_mov_b64 s[76:77], -1
	s_and_saveexec_b64 s[78:79], s[8:9]
; %bb.68:                               ;   in Loop: Header=BB29_10 Depth=1
	v_cmp_eq_u32_e64 s[8:9], 0, v4
	s_orn2_b64 s[76:77], s[8:9], exec
; %bb.69:                               ;   in Loop: Header=BB29_10 Depth=1
	s_or_b64 exec, exec, s[78:79]
	s_and_b64 exec, exec, s[76:77]
	s_cbranch_execz .LBB29_142
; %bb.70:                               ;   in Loop: Header=BB29_10 Depth=1
	v_add_u32_e32 v5, v202, v101
	v_cmp_gt_i32_e64 s[8:9], s36, v5
	s_and_b64 s[76:77], s[8:9], vcc
	v_mov_b32_e32 v4, 0x47
	s_and_saveexec_b64 s[8:9], s[76:77]
	s_cbranch_execz .LBB29_72
; %bb.71:                               ;   in Loop: Header=BB29_10 Depth=1
	v_mad_u64_u32 v[4:5], s[76:77], v5, s37, v[128:129]
	v_add_u32_e32 v5, v183, v203
	ds_read2st64_b32 v[6:7], v5 offset1:17
	v_add_u32_e32 v5, 0, v203
	ds_read2st64_b32 v[8:9], v5 offset0:1 offset1:18
	v_lshl_add_u32 v4, v4, 7, v98
	v_ashrrev_i32_e32 v5, 31, v4
	s_waitcnt lgkmcnt(1)
	v_cvt_f32_f16_e32 v10, v6
	v_cvt_f32_f16_sdwa v11, v6 dst_sel:DWORD dst_unused:UNUSED_PAD src0_sel:WORD_1
	v_cvt_f32_f16_e32 v6, v7
	v_cvt_f32_f16_sdwa v7, v7 dst_sel:DWORD dst_unused:UNUSED_PAD src0_sel:WORD_1
	v_lshl_add_u64 v[4:5], v[4:5], 3, v[150:151]
	s_waitcnt lgkmcnt(0)
	v_pk_fma_f32 v[10:11], v[8:9], v[10:11], 0 op_sel_hi:[0,1,0]
	v_mov_b32_e32 v8, v9
	v_pk_fma_f32 v[6:7], v[8:9], v[6:7], v[10:11] op_sel_hi:[0,1,1]
	global_store_dwordx2 v[4:5], v[6:7], off
	v_mov_b32_e32 v4, 0
.LBB29_72:                              ;   in Loop: Header=BB29_10 Depth=1
	s_or_b64 exec, exec, s[8:9]
	v_cmp_gt_i32_e64 s[8:9], s97, v4
	s_mov_b64 s[76:77], -1
	s_and_saveexec_b64 s[78:79], s[8:9]
; %bb.73:                               ;   in Loop: Header=BB29_10 Depth=1
	v_cmp_eq_u32_e64 s[8:9], 0, v4
	s_orn2_b64 s[76:77], s[8:9], exec
; %bb.74:                               ;   in Loop: Header=BB29_10 Depth=1
	s_or_b64 exec, exec, s[78:79]
	s_and_b64 exec, exec, s[76:77]
	s_cbranch_execz .LBB29_142
; %bb.75:                               ;   in Loop: Header=BB29_10 Depth=1
	v_add_u32_e32 v5, v204, v101
	v_cmp_gt_i32_e64 s[8:9], s36, v5
	;; [unrolled: 39-line block ×3, first 2 shown]
	s_and_b64 s[76:77], s[8:9], vcc
	v_mov_b32_e32 v4, 0x47
	s_and_saveexec_b64 s[8:9], s[76:77]
	s_cbranch_execz .LBB29_82
; %bb.81:                               ;   in Loop: Header=BB29_10 Depth=1
	v_mad_u64_u32 v[4:5], s[76:77], v5, s37, v[128:129]
	v_add_u32_e32 v5, v183, v207
	ds_read2st64_b32 v[6:7], v5 offset1:17
	v_add_u32_e32 v5, 0, v207
	ds_read2st64_b32 v[8:9], v5 offset0:1 offset1:18
	v_lshl_add_u32 v4, v4, 7, v98
	v_ashrrev_i32_e32 v5, 31, v4
	s_waitcnt lgkmcnt(1)
	v_cvt_f32_f16_e32 v10, v6
	v_cvt_f32_f16_sdwa v11, v6 dst_sel:DWORD dst_unused:UNUSED_PAD src0_sel:WORD_1
	v_cvt_f32_f16_e32 v6, v7
	v_cvt_f32_f16_sdwa v7, v7 dst_sel:DWORD dst_unused:UNUSED_PAD src0_sel:WORD_1
	v_lshl_add_u64 v[4:5], v[4:5], 3, v[150:151]
	s_waitcnt lgkmcnt(0)
	v_pk_fma_f32 v[10:11], v[8:9], v[10:11], 0 op_sel_hi:[0,1,0]
	v_mov_b32_e32 v8, v9
	v_pk_fma_f32 v[6:7], v[8:9], v[6:7], v[10:11] op_sel_hi:[0,1,1]
	global_store_dwordx2 v[4:5], v[6:7], off
	v_mov_b32_e32 v4, 0
.LBB29_82:                              ;   in Loop: Header=BB29_10 Depth=1
	s_or_b64 exec, exec, s[8:9]
	v_cmp_gt_i32_e64 s[8:9], s97, v4
	s_mov_b64 s[76:77], -1
	s_and_saveexec_b64 s[78:79], s[8:9]
; %bb.83:                               ;   in Loop: Header=BB29_10 Depth=1
	v_cmp_eq_u32_e64 s[8:9], 0, v4
	s_orn2_b64 s[76:77], s[8:9], exec
; %bb.84:                               ;   in Loop: Header=BB29_10 Depth=1
	s_or_b64 exec, exec, s[78:79]
	s_and_b64 exec, exec, s[76:77]
	s_cbranch_execz .LBB29_142
; %bb.85:                               ;   in Loop: Header=BB29_10 Depth=1
	scratch_load_dword v4, off, off         ; 4-byte Folded Reload
	s_waitcnt vmcnt(0)
	v_add_u32_e32 v5, v4, v101
	v_cmp_gt_i32_e64 s[8:9], s36, v5
	s_and_b64 s[76:77], s[8:9], vcc
	v_mov_b32_e32 v4, 0x47
	s_and_saveexec_b64 s[8:9], s[76:77]
	s_cbranch_execz .LBB29_87
; %bb.86:                               ;   in Loop: Header=BB29_10 Depth=1
	scratch_load_dword v8, off, off offset:4 ; 4-byte Folded Reload
	v_mad_u64_u32 v[4:5], s[76:77], v5, s37, v[128:129]
	v_lshl_add_u32 v4, v4, 7, v98
	s_waitcnt vmcnt(0)
	v_add_u32_e32 v5, v183, v8
	ds_read2st64_b32 v[6:7], v5 offset1:17
	v_add_u32_e32 v5, 0, v8
	ds_read2st64_b32 v[8:9], v5 offset0:1 offset1:18
	v_ashrrev_i32_e32 v5, 31, v4
	v_lshl_add_u64 v[4:5], v[4:5], 3, v[150:151]
	s_waitcnt lgkmcnt(1)
	v_cvt_f32_f16_e32 v10, v6
	v_cvt_f32_f16_sdwa v11, v6 dst_sel:DWORD dst_unused:UNUSED_PAD src0_sel:WORD_1
	v_cvt_f32_f16_e32 v6, v7
	v_cvt_f32_f16_sdwa v7, v7 dst_sel:DWORD dst_unused:UNUSED_PAD src0_sel:WORD_1
	s_waitcnt lgkmcnt(0)
	v_pk_fma_f32 v[10:11], v[8:9], v[10:11], 0 op_sel_hi:[0,1,0]
	v_mov_b32_e32 v8, v9
	v_pk_fma_f32 v[6:7], v[8:9], v[6:7], v[10:11] op_sel_hi:[0,1,1]
	global_store_dwordx2 v[4:5], v[6:7], off
	v_mov_b32_e32 v4, 0
.LBB29_87:                              ;   in Loop: Header=BB29_10 Depth=1
	s_or_b64 exec, exec, s[8:9]
	v_cmp_gt_i32_e64 s[8:9], s97, v4
	s_mov_b64 s[76:77], -1
	s_and_saveexec_b64 s[78:79], s[8:9]
; %bb.88:                               ;   in Loop: Header=BB29_10 Depth=1
	v_cmp_eq_u32_e64 s[8:9], 0, v4
	s_orn2_b64 s[76:77], s[8:9], exec
; %bb.89:                               ;   in Loop: Header=BB29_10 Depth=1
	s_or_b64 exec, exec, s[78:79]
	s_and_b64 exec, exec, s[76:77]
	s_cbranch_execz .LBB29_142
; %bb.90:                               ;   in Loop: Header=BB29_10 Depth=1
	scratch_load_dword v4, off, off offset:8 ; 4-byte Folded Reload
	s_waitcnt vmcnt(0)
	v_add_u32_e32 v5, v4, v101
	v_cmp_gt_i32_e64 s[8:9], s36, v5
	s_and_b64 s[76:77], s[8:9], vcc
	v_mov_b32_e32 v4, 0x47
	s_and_saveexec_b64 s[8:9], s[76:77]
	s_cbranch_execz .LBB29_92
; %bb.91:                               ;   in Loop: Header=BB29_10 Depth=1
	scratch_load_dword v8, off, off offset:12 ; 4-byte Folded Reload
	v_mad_u64_u32 v[4:5], s[76:77], v5, s37, v[128:129]
	v_lshl_add_u32 v4, v4, 7, v98
	s_waitcnt vmcnt(0)
	v_add_u32_e32 v5, v183, v8
	ds_read2st64_b32 v[6:7], v5 offset1:17
	v_add_u32_e32 v5, 0, v8
	ds_read2st64_b32 v[8:9], v5 offset0:1 offset1:18
	v_ashrrev_i32_e32 v5, 31, v4
	v_lshl_add_u64 v[4:5], v[4:5], 3, v[150:151]
	s_waitcnt lgkmcnt(1)
	v_cvt_f32_f16_e32 v10, v6
	v_cvt_f32_f16_sdwa v11, v6 dst_sel:DWORD dst_unused:UNUSED_PAD src0_sel:WORD_1
	v_cvt_f32_f16_e32 v6, v7
	v_cvt_f32_f16_sdwa v7, v7 dst_sel:DWORD dst_unused:UNUSED_PAD src0_sel:WORD_1
	s_waitcnt lgkmcnt(0)
	v_pk_fma_f32 v[10:11], v[8:9], v[10:11], 0 op_sel_hi:[0,1,0]
	v_mov_b32_e32 v8, v9
	v_pk_fma_f32 v[6:7], v[8:9], v[6:7], v[10:11] op_sel_hi:[0,1,1]
	global_store_dwordx2 v[4:5], v[6:7], off
	v_mov_b32_e32 v4, 0
.LBB29_92:                              ;   in Loop: Header=BB29_10 Depth=1
	s_or_b64 exec, exec, s[8:9]
	v_cmp_gt_i32_e64 s[8:9], s97, v4
	s_mov_b64 s[76:77], -1
	s_and_saveexec_b64 s[78:79], s[8:9]
; %bb.93:                               ;   in Loop: Header=BB29_10 Depth=1
	v_cmp_eq_u32_e64 s[8:9], 0, v4
	s_orn2_b64 s[76:77], s[8:9], exec
; %bb.94:                               ;   in Loop: Header=BB29_10 Depth=1
	s_or_b64 exec, exec, s[78:79]
	s_and_b64 exec, exec, s[76:77]
	s_cbranch_execz .LBB29_142
; %bb.95:                               ;   in Loop: Header=BB29_10 Depth=1
	scratch_load_dword v4, off, off offset:16 ; 4-byte Folded Reload
	s_waitcnt vmcnt(0)
	v_add_u32_e32 v5, v4, v101
	v_cmp_gt_i32_e64 s[8:9], s36, v5
	s_and_b64 s[76:77], s[8:9], vcc
	v_mov_b32_e32 v4, 0x47
	s_and_saveexec_b64 s[8:9], s[76:77]
	s_cbranch_execz .LBB29_97
; %bb.96:                               ;   in Loop: Header=BB29_10 Depth=1
	scratch_load_dword v8, off, off offset:20 ; 4-byte Folded Reload
	v_mad_u64_u32 v[4:5], s[76:77], v5, s37, v[128:129]
	v_lshl_add_u32 v4, v4, 7, v98
	s_waitcnt vmcnt(0)
	v_add_u32_e32 v5, v183, v8
	ds_read2st64_b32 v[6:7], v5 offset1:17
	v_add_u32_e32 v5, 0, v8
	ds_read2st64_b32 v[8:9], v5 offset0:1 offset1:18
	v_ashrrev_i32_e32 v5, 31, v4
	v_lshl_add_u64 v[4:5], v[4:5], 3, v[150:151]
	s_waitcnt lgkmcnt(1)
	v_cvt_f32_f16_e32 v10, v6
	v_cvt_f32_f16_sdwa v11, v6 dst_sel:DWORD dst_unused:UNUSED_PAD src0_sel:WORD_1
	v_cvt_f32_f16_e32 v6, v7
	v_cvt_f32_f16_sdwa v7, v7 dst_sel:DWORD dst_unused:UNUSED_PAD src0_sel:WORD_1
	s_waitcnt lgkmcnt(0)
	v_pk_fma_f32 v[10:11], v[8:9], v[10:11], 0 op_sel_hi:[0,1,0]
	v_mov_b32_e32 v8, v9
	v_pk_fma_f32 v[6:7], v[8:9], v[6:7], v[10:11] op_sel_hi:[0,1,1]
	global_store_dwordx2 v[4:5], v[6:7], off
	v_mov_b32_e32 v4, 0
.LBB29_97:                              ;   in Loop: Header=BB29_10 Depth=1
	s_or_b64 exec, exec, s[8:9]
	v_cmp_gt_i32_e64 s[8:9], s97, v4
	s_mov_b64 s[76:77], -1
	s_and_saveexec_b64 s[78:79], s[8:9]
; %bb.98:                               ;   in Loop: Header=BB29_10 Depth=1
	v_cmp_eq_u32_e64 s[8:9], 0, v4
	s_orn2_b64 s[76:77], s[8:9], exec
; %bb.99:                               ;   in Loop: Header=BB29_10 Depth=1
	s_or_b64 exec, exec, s[78:79]
	s_and_b64 exec, exec, s[76:77]
	s_cbranch_execz .LBB29_142
; %bb.100:                              ;   in Loop: Header=BB29_10 Depth=1
	scratch_load_dword v4, off, off offset:24 ; 4-byte Folded Reload
	s_waitcnt vmcnt(0)
	v_add_u32_e32 v5, v4, v101
	v_cmp_gt_i32_e64 s[8:9], s36, v5
	s_and_b64 s[76:77], s[8:9], vcc
	v_mov_b32_e32 v4, 0x47
	s_and_saveexec_b64 s[8:9], s[76:77]
	s_cbranch_execz .LBB29_102
; %bb.101:                              ;   in Loop: Header=BB29_10 Depth=1
	scratch_load_dword v8, off, off offset:28 ; 4-byte Folded Reload
	v_mad_u64_u32 v[4:5], s[76:77], v5, s37, v[128:129]
	v_lshl_add_u32 v4, v4, 7, v98
	s_waitcnt vmcnt(0)
	v_add_u32_e32 v5, v183, v8
	ds_read2st64_b32 v[6:7], v5 offset1:17
	v_add_u32_e32 v5, 0, v8
	ds_read2st64_b32 v[8:9], v5 offset0:1 offset1:18
	v_ashrrev_i32_e32 v5, 31, v4
	v_lshl_add_u64 v[4:5], v[4:5], 3, v[150:151]
	s_waitcnt lgkmcnt(1)
	v_cvt_f32_f16_e32 v10, v6
	v_cvt_f32_f16_sdwa v11, v6 dst_sel:DWORD dst_unused:UNUSED_PAD src0_sel:WORD_1
	v_cvt_f32_f16_e32 v6, v7
	v_cvt_f32_f16_sdwa v7, v7 dst_sel:DWORD dst_unused:UNUSED_PAD src0_sel:WORD_1
	s_waitcnt lgkmcnt(0)
	v_pk_fma_f32 v[10:11], v[8:9], v[10:11], 0 op_sel_hi:[0,1,0]
	v_mov_b32_e32 v8, v9
	v_pk_fma_f32 v[6:7], v[8:9], v[6:7], v[10:11] op_sel_hi:[0,1,1]
	global_store_dwordx2 v[4:5], v[6:7], off
	v_mov_b32_e32 v4, 0
.LBB29_102:                             ;   in Loop: Header=BB29_10 Depth=1
	s_or_b64 exec, exec, s[8:9]
	v_cmp_gt_i32_e64 s[8:9], s97, v4
	s_mov_b64 s[76:77], -1
	s_and_saveexec_b64 s[78:79], s[8:9]
; %bb.103:                              ;   in Loop: Header=BB29_10 Depth=1
	v_cmp_eq_u32_e64 s[8:9], 0, v4
	s_orn2_b64 s[76:77], s[8:9], exec
; %bb.104:                              ;   in Loop: Header=BB29_10 Depth=1
	s_or_b64 exec, exec, s[78:79]
	s_and_b64 exec, exec, s[76:77]
	s_cbranch_execz .LBB29_142
; %bb.105:                              ;   in Loop: Header=BB29_10 Depth=1
	scratch_load_dword v4, off, off offset:32 ; 4-byte Folded Reload
	s_waitcnt vmcnt(0)
	v_add_u32_e32 v5, v4, v101
	v_cmp_gt_i32_e64 s[8:9], s36, v5
	s_and_b64 s[76:77], s[8:9], vcc
	v_mov_b32_e32 v4, 0x47
	s_and_saveexec_b64 s[8:9], s[76:77]
	s_cbranch_execz .LBB29_107
; %bb.106:                              ;   in Loop: Header=BB29_10 Depth=1
	scratch_load_dword v8, off, off offset:36 ; 4-byte Folded Reload
	v_mad_u64_u32 v[4:5], s[76:77], v5, s37, v[128:129]
	v_lshl_add_u32 v4, v4, 7, v98
	s_waitcnt vmcnt(0)
	v_add_u32_e32 v5, v183, v8
	ds_read2st64_b32 v[6:7], v5 offset1:17
	v_add_u32_e32 v5, 0, v8
	ds_read2st64_b32 v[8:9], v5 offset0:1 offset1:18
	v_ashrrev_i32_e32 v5, 31, v4
	v_lshl_add_u64 v[4:5], v[4:5], 3, v[150:151]
	s_waitcnt lgkmcnt(1)
	v_cvt_f32_f16_e32 v10, v6
	v_cvt_f32_f16_sdwa v11, v6 dst_sel:DWORD dst_unused:UNUSED_PAD src0_sel:WORD_1
	v_cvt_f32_f16_e32 v6, v7
	v_cvt_f32_f16_sdwa v7, v7 dst_sel:DWORD dst_unused:UNUSED_PAD src0_sel:WORD_1
	s_waitcnt lgkmcnt(0)
	v_pk_fma_f32 v[10:11], v[8:9], v[10:11], 0 op_sel_hi:[0,1,0]
	v_mov_b32_e32 v8, v9
	v_pk_fma_f32 v[6:7], v[8:9], v[6:7], v[10:11] op_sel_hi:[0,1,1]
	global_store_dwordx2 v[4:5], v[6:7], off
	v_mov_b32_e32 v4, 0
.LBB29_107:                             ;   in Loop: Header=BB29_10 Depth=1
	s_or_b64 exec, exec, s[8:9]
	v_cmp_gt_i32_e64 s[8:9], s97, v4
	s_mov_b64 s[76:77], -1
	s_and_saveexec_b64 s[78:79], s[8:9]
; %bb.108:                              ;   in Loop: Header=BB29_10 Depth=1
	v_cmp_eq_u32_e64 s[8:9], 0, v4
	s_orn2_b64 s[76:77], s[8:9], exec
; %bb.109:                              ;   in Loop: Header=BB29_10 Depth=1
	s_or_b64 exec, exec, s[78:79]
	s_and_b64 exec, exec, s[76:77]
	s_cbranch_execz .LBB29_142
; %bb.110:                              ;   in Loop: Header=BB29_10 Depth=1
	scratch_load_dword v4, off, off offset:40 ; 4-byte Folded Reload
	s_waitcnt vmcnt(0)
	v_add_u32_e32 v5, v4, v101
	v_cmp_gt_i32_e64 s[8:9], s36, v5
	s_and_b64 s[76:77], s[8:9], vcc
	v_mov_b32_e32 v4, 0x47
	s_and_saveexec_b64 s[8:9], s[76:77]
	s_cbranch_execz .LBB29_112
; %bb.111:                              ;   in Loop: Header=BB29_10 Depth=1
	scratch_load_dword v8, off, off offset:44 ; 4-byte Folded Reload
	v_mad_u64_u32 v[4:5], s[76:77], v5, s37, v[128:129]
	v_lshl_add_u32 v4, v4, 7, v98
	s_waitcnt vmcnt(0)
	v_add_u32_e32 v5, v183, v8
	ds_read2st64_b32 v[6:7], v5 offset1:17
	v_add_u32_e32 v5, 0, v8
	ds_read2st64_b32 v[8:9], v5 offset0:1 offset1:18
	v_ashrrev_i32_e32 v5, 31, v4
	v_lshl_add_u64 v[4:5], v[4:5], 3, v[150:151]
	s_waitcnt lgkmcnt(1)
	v_cvt_f32_f16_e32 v10, v6
	v_cvt_f32_f16_sdwa v11, v6 dst_sel:DWORD dst_unused:UNUSED_PAD src0_sel:WORD_1
	v_cvt_f32_f16_e32 v6, v7
	v_cvt_f32_f16_sdwa v7, v7 dst_sel:DWORD dst_unused:UNUSED_PAD src0_sel:WORD_1
	s_waitcnt lgkmcnt(0)
	v_pk_fma_f32 v[10:11], v[8:9], v[10:11], 0 op_sel_hi:[0,1,0]
	v_mov_b32_e32 v8, v9
	v_pk_fma_f32 v[6:7], v[8:9], v[6:7], v[10:11] op_sel_hi:[0,1,1]
	global_store_dwordx2 v[4:5], v[6:7], off
	v_mov_b32_e32 v4, 0
.LBB29_112:                             ;   in Loop: Header=BB29_10 Depth=1
	s_or_b64 exec, exec, s[8:9]
	v_cmp_gt_i32_e64 s[8:9], s97, v4
	s_mov_b64 s[76:77], -1
	s_and_saveexec_b64 s[78:79], s[8:9]
; %bb.113:                              ;   in Loop: Header=BB29_10 Depth=1
	v_cmp_eq_u32_e64 s[8:9], 0, v4
	s_orn2_b64 s[76:77], s[8:9], exec
; %bb.114:                              ;   in Loop: Header=BB29_10 Depth=1
	s_or_b64 exec, exec, s[78:79]
	s_and_b64 exec, exec, s[76:77]
	s_cbranch_execz .LBB29_142
; %bb.115:                              ;   in Loop: Header=BB29_10 Depth=1
	scratch_load_dword v4, off, off offset:48 ; 4-byte Folded Reload
	s_waitcnt vmcnt(0)
	v_add_u32_e32 v5, v4, v101
	v_cmp_gt_i32_e64 s[8:9], s36, v5
	s_and_b64 s[76:77], s[8:9], vcc
	v_mov_b32_e32 v4, 0x47
	s_and_saveexec_b64 s[8:9], s[76:77]
	s_cbranch_execz .LBB29_117
; %bb.116:                              ;   in Loop: Header=BB29_10 Depth=1
	scratch_load_dword v8, off, off offset:52 ; 4-byte Folded Reload
	v_mad_u64_u32 v[4:5], s[76:77], v5, s37, v[128:129]
	v_lshl_add_u32 v4, v4, 7, v98
	s_waitcnt vmcnt(0)
	v_add_u32_e32 v5, v183, v8
	ds_read2st64_b32 v[6:7], v5 offset1:17
	v_add_u32_e32 v5, 0, v8
	ds_read2st64_b32 v[8:9], v5 offset0:1 offset1:18
	v_ashrrev_i32_e32 v5, 31, v4
	v_lshl_add_u64 v[4:5], v[4:5], 3, v[150:151]
	s_waitcnt lgkmcnt(1)
	v_cvt_f32_f16_e32 v10, v6
	v_cvt_f32_f16_sdwa v11, v6 dst_sel:DWORD dst_unused:UNUSED_PAD src0_sel:WORD_1
	v_cvt_f32_f16_e32 v6, v7
	v_cvt_f32_f16_sdwa v7, v7 dst_sel:DWORD dst_unused:UNUSED_PAD src0_sel:WORD_1
	s_waitcnt lgkmcnt(0)
	v_pk_fma_f32 v[10:11], v[8:9], v[10:11], 0 op_sel_hi:[0,1,0]
	v_mov_b32_e32 v8, v9
	v_pk_fma_f32 v[6:7], v[8:9], v[6:7], v[10:11] op_sel_hi:[0,1,1]
	global_store_dwordx2 v[4:5], v[6:7], off
	v_mov_b32_e32 v4, 0
.LBB29_117:                             ;   in Loop: Header=BB29_10 Depth=1
	s_or_b64 exec, exec, s[8:9]
	v_cmp_gt_i32_e64 s[8:9], s97, v4
	s_mov_b64 s[76:77], -1
	s_and_saveexec_b64 s[78:79], s[8:9]
; %bb.118:                              ;   in Loop: Header=BB29_10 Depth=1
	v_cmp_eq_u32_e64 s[8:9], 0, v4
	s_orn2_b64 s[76:77], s[8:9], exec
; %bb.119:                              ;   in Loop: Header=BB29_10 Depth=1
	s_or_b64 exec, exec, s[78:79]
	s_and_b64 exec, exec, s[76:77]
	s_cbranch_execz .LBB29_142
; %bb.120:                              ;   in Loop: Header=BB29_10 Depth=1
	scratch_load_dword v4, off, off offset:56 ; 4-byte Folded Reload
	s_waitcnt vmcnt(0)
	v_add_u32_e32 v5, v4, v101
	v_cmp_gt_i32_e64 s[8:9], s36, v5
	s_and_b64 s[76:77], s[8:9], vcc
	v_mov_b32_e32 v4, 0x47
	s_and_saveexec_b64 s[8:9], s[76:77]
	s_cbranch_execz .LBB29_122
; %bb.121:                              ;   in Loop: Header=BB29_10 Depth=1
	scratch_load_dword v8, off, off offset:60 ; 4-byte Folded Reload
	v_mad_u64_u32 v[4:5], s[76:77], v5, s37, v[128:129]
	v_lshl_add_u32 v4, v4, 7, v98
	s_waitcnt vmcnt(0)
	v_add_u32_e32 v5, v183, v8
	ds_read2st64_b32 v[6:7], v5 offset1:17
	v_add_u32_e32 v5, 0, v8
	ds_read2st64_b32 v[8:9], v5 offset0:1 offset1:18
	v_ashrrev_i32_e32 v5, 31, v4
	v_lshl_add_u64 v[4:5], v[4:5], 3, v[150:151]
	s_waitcnt lgkmcnt(1)
	v_cvt_f32_f16_e32 v10, v6
	v_cvt_f32_f16_sdwa v11, v6 dst_sel:DWORD dst_unused:UNUSED_PAD src0_sel:WORD_1
	v_cvt_f32_f16_e32 v6, v7
	v_cvt_f32_f16_sdwa v7, v7 dst_sel:DWORD dst_unused:UNUSED_PAD src0_sel:WORD_1
	s_waitcnt lgkmcnt(0)
	v_pk_fma_f32 v[10:11], v[8:9], v[10:11], 0 op_sel_hi:[0,1,0]
	v_mov_b32_e32 v8, v9
	v_pk_fma_f32 v[6:7], v[8:9], v[6:7], v[10:11] op_sel_hi:[0,1,1]
	global_store_dwordx2 v[4:5], v[6:7], off
	v_mov_b32_e32 v4, 0
.LBB29_122:                             ;   in Loop: Header=BB29_10 Depth=1
	s_or_b64 exec, exec, s[8:9]
	v_cmp_gt_i32_e64 s[8:9], s97, v4
	s_mov_b64 s[76:77], -1
	s_and_saveexec_b64 s[78:79], s[8:9]
; %bb.123:                              ;   in Loop: Header=BB29_10 Depth=1
	v_cmp_eq_u32_e64 s[8:9], 0, v4
	s_orn2_b64 s[76:77], s[8:9], exec
; %bb.124:                              ;   in Loop: Header=BB29_10 Depth=1
	s_or_b64 exec, exec, s[78:79]
	s_and_b64 exec, exec, s[76:77]
	s_cbranch_execz .LBB29_142
; %bb.125:                              ;   in Loop: Header=BB29_10 Depth=1
	scratch_load_dword v4, off, off offset:64 ; 4-byte Folded Reload
	s_waitcnt vmcnt(0)
	v_add_u32_e32 v5, v4, v101
	v_cmp_gt_i32_e64 s[8:9], s36, v5
	s_and_b64 s[76:77], s[8:9], vcc
	v_mov_b32_e32 v4, 0x47
	s_and_saveexec_b64 s[8:9], s[76:77]
	s_cbranch_execz .LBB29_127
; %bb.126:                              ;   in Loop: Header=BB29_10 Depth=1
	scratch_load_dword v8, off, off offset:68 ; 4-byte Folded Reload
	v_mad_u64_u32 v[4:5], s[76:77], v5, s37, v[128:129]
	v_lshl_add_u32 v4, v4, 7, v98
	s_waitcnt vmcnt(0)
	v_add_u32_e32 v5, v183, v8
	ds_read2st64_b32 v[6:7], v5 offset1:17
	v_add_u32_e32 v5, 0, v8
	ds_read2st64_b32 v[8:9], v5 offset0:1 offset1:18
	v_ashrrev_i32_e32 v5, 31, v4
	v_lshl_add_u64 v[4:5], v[4:5], 3, v[150:151]
	s_waitcnt lgkmcnt(1)
	v_cvt_f32_f16_e32 v10, v6
	v_cvt_f32_f16_sdwa v11, v6 dst_sel:DWORD dst_unused:UNUSED_PAD src0_sel:WORD_1
	v_cvt_f32_f16_e32 v6, v7
	v_cvt_f32_f16_sdwa v7, v7 dst_sel:DWORD dst_unused:UNUSED_PAD src0_sel:WORD_1
	s_waitcnt lgkmcnt(0)
	v_pk_fma_f32 v[10:11], v[8:9], v[10:11], 0 op_sel_hi:[0,1,0]
	v_mov_b32_e32 v8, v9
	v_pk_fma_f32 v[6:7], v[8:9], v[6:7], v[10:11] op_sel_hi:[0,1,1]
	global_store_dwordx2 v[4:5], v[6:7], off
	v_mov_b32_e32 v4, 0
.LBB29_127:                             ;   in Loop: Header=BB29_10 Depth=1
	s_or_b64 exec, exec, s[8:9]
	v_cmp_gt_i32_e64 s[8:9], s97, v4
	s_mov_b64 s[76:77], -1
	s_and_saveexec_b64 s[78:79], s[8:9]
; %bb.128:                              ;   in Loop: Header=BB29_10 Depth=1
	v_cmp_eq_u32_e64 s[8:9], 0, v4
	s_orn2_b64 s[76:77], s[8:9], exec
; %bb.129:                              ;   in Loop: Header=BB29_10 Depth=1
	s_or_b64 exec, exec, s[78:79]
	s_and_b64 exec, exec, s[76:77]
	s_cbranch_execz .LBB29_142
; %bb.130:                              ;   in Loop: Header=BB29_10 Depth=1
	scratch_load_dword v4, off, off offset:72 ; 4-byte Folded Reload
	s_waitcnt vmcnt(0)
	v_add_u32_e32 v5, v4, v101
	v_cmp_gt_i32_e64 s[8:9], s36, v5
	s_and_b64 s[76:77], s[8:9], vcc
	v_mov_b32_e32 v4, 0x47
	s_and_saveexec_b64 s[8:9], s[76:77]
	s_cbranch_execz .LBB29_132
; %bb.131:                              ;   in Loop: Header=BB29_10 Depth=1
	scratch_load_dword v8, off, off offset:76 ; 4-byte Folded Reload
	v_mad_u64_u32 v[4:5], s[76:77], v5, s37, v[128:129]
	v_lshl_add_u32 v4, v4, 7, v98
	s_waitcnt vmcnt(0)
	v_add_u32_e32 v5, v183, v8
	ds_read2st64_b32 v[6:7], v5 offset1:17
	v_add_u32_e32 v5, 0, v8
	ds_read2st64_b32 v[8:9], v5 offset0:1 offset1:18
	v_ashrrev_i32_e32 v5, 31, v4
	v_lshl_add_u64 v[4:5], v[4:5], 3, v[150:151]
	s_waitcnt lgkmcnt(1)
	v_cvt_f32_f16_e32 v10, v6
	v_cvt_f32_f16_sdwa v11, v6 dst_sel:DWORD dst_unused:UNUSED_PAD src0_sel:WORD_1
	v_cvt_f32_f16_e32 v6, v7
	v_cvt_f32_f16_sdwa v7, v7 dst_sel:DWORD dst_unused:UNUSED_PAD src0_sel:WORD_1
	s_waitcnt lgkmcnt(0)
	v_pk_fma_f32 v[10:11], v[8:9], v[10:11], 0 op_sel_hi:[0,1,0]
	v_mov_b32_e32 v8, v9
	v_pk_fma_f32 v[6:7], v[8:9], v[6:7], v[10:11] op_sel_hi:[0,1,1]
	global_store_dwordx2 v[4:5], v[6:7], off
	v_mov_b32_e32 v4, 0
.LBB29_132:                             ;   in Loop: Header=BB29_10 Depth=1
	s_or_b64 exec, exec, s[8:9]
	v_cmp_gt_i32_e64 s[8:9], s97, v4
	s_mov_b64 s[76:77], -1
	s_and_saveexec_b64 s[78:79], s[8:9]
; %bb.133:                              ;   in Loop: Header=BB29_10 Depth=1
	v_cmp_eq_u32_e64 s[8:9], 0, v4
	s_orn2_b64 s[76:77], s[8:9], exec
; %bb.134:                              ;   in Loop: Header=BB29_10 Depth=1
	s_or_b64 exec, exec, s[78:79]
	s_and_b64 exec, exec, s[76:77]
	s_cbranch_execz .LBB29_142
; %bb.135:                              ;   in Loop: Header=BB29_10 Depth=1
	scratch_load_dword v4, off, off offset:80 ; 4-byte Folded Reload
	s_waitcnt vmcnt(0)
	v_add_u32_e32 v5, v4, v101
	v_cmp_gt_i32_e64 s[8:9], s36, v5
	s_and_b64 s[76:77], s[8:9], vcc
	v_mov_b32_e32 v4, 0x47
	s_and_saveexec_b64 s[8:9], s[76:77]
	s_cbranch_execz .LBB29_137
; %bb.136:                              ;   in Loop: Header=BB29_10 Depth=1
	scratch_load_dword v8, off, off offset:84 ; 4-byte Folded Reload
	v_mad_u64_u32 v[4:5], s[76:77], v5, s37, v[128:129]
	v_lshl_add_u32 v4, v4, 7, v98
	s_waitcnt vmcnt(0)
	v_add_u32_e32 v5, v183, v8
	ds_read2st64_b32 v[6:7], v5 offset1:17
	v_add_u32_e32 v5, 0, v8
	ds_read2st64_b32 v[8:9], v5 offset0:1 offset1:18
	v_ashrrev_i32_e32 v5, 31, v4
	v_lshl_add_u64 v[4:5], v[4:5], 3, v[150:151]
	s_waitcnt lgkmcnt(1)
	v_cvt_f32_f16_e32 v10, v6
	v_cvt_f32_f16_sdwa v11, v6 dst_sel:DWORD dst_unused:UNUSED_PAD src0_sel:WORD_1
	v_cvt_f32_f16_e32 v6, v7
	v_cvt_f32_f16_sdwa v7, v7 dst_sel:DWORD dst_unused:UNUSED_PAD src0_sel:WORD_1
	s_waitcnt lgkmcnt(0)
	v_pk_fma_f32 v[10:11], v[8:9], v[10:11], 0 op_sel_hi:[0,1,0]
	v_mov_b32_e32 v8, v9
	v_pk_fma_f32 v[6:7], v[8:9], v[6:7], v[10:11] op_sel_hi:[0,1,1]
	global_store_dwordx2 v[4:5], v[6:7], off
	v_mov_b32_e32 v4, 0
.LBB29_137:                             ;   in Loop: Header=BB29_10 Depth=1
	s_or_b64 exec, exec, s[8:9]
	v_cmp_gt_i32_e64 s[8:9], s97, v4
	s_mov_b64 s[76:77], -1
	s_and_saveexec_b64 s[78:79], s[8:9]
; %bb.138:                              ;   in Loop: Header=BB29_10 Depth=1
	v_cmp_eq_u32_e64 s[8:9], 0, v4
	s_orn2_b64 s[76:77], s[8:9], exec
; %bb.139:                              ;   in Loop: Header=BB29_10 Depth=1
	s_or_b64 exec, exec, s[78:79]
	s_and_b64 exec, exec, s[76:77]
	s_cbranch_execz .LBB29_142
; %bb.140:                              ;   in Loop: Header=BB29_10 Depth=1
	scratch_load_dword v4, off, off offset:88 ; 4-byte Folded Reload
	s_waitcnt vmcnt(0)
	v_add_u32_e32 v4, v4, v101
	v_cmp_gt_i32_e64 s[8:9], s36, v4
	s_and_b64 s[8:9], s[8:9], vcc
	s_and_b64 exec, exec, s[8:9]
	s_cbranch_execz .LBB29_142
; %bb.141:                              ;   in Loop: Header=BB29_10 Depth=1
	scratch_load_dword v8, off, off offset:92 ; 4-byte Folded Reload
	v_mad_u64_u32 v[4:5], s[8:9], v4, s37, v[128:129]
	v_lshl_add_u32 v4, v4, 7, v98
	s_waitcnt vmcnt(0)
	v_add_u32_e32 v5, v183, v8
	ds_read2st64_b32 v[6:7], v5 offset1:17
	v_add_u32_e32 v5, 0, v8
	ds_read2st64_b32 v[8:9], v5 offset0:1 offset1:18
	v_ashrrev_i32_e32 v5, 31, v4
	v_lshl_add_u64 v[4:5], v[4:5], 3, v[150:151]
	s_waitcnt lgkmcnt(1)
	v_cvt_f32_f16_e32 v10, v6
	v_cvt_f32_f16_sdwa v11, v6 dst_sel:DWORD dst_unused:UNUSED_PAD src0_sel:WORD_1
	v_cvt_f32_f16_e32 v6, v7
	v_cvt_f32_f16_sdwa v7, v7 dst_sel:DWORD dst_unused:UNUSED_PAD src0_sel:WORD_1
	s_waitcnt lgkmcnt(0)
	v_pk_fma_f32 v[10:11], v[8:9], v[10:11], 0 op_sel_hi:[0,1,0]
	v_mov_b32_e32 v8, v9
	v_pk_fma_f32 v[6:7], v[8:9], v[6:7], v[10:11] op_sel_hi:[0,1,1]
	global_store_dwordx2 v[4:5], v[6:7], off
.LBB29_142:                             ;   in Loop: Header=BB29_10 Depth=1
	s_or_b64 exec, exec, s[12:13]
	s_barrier
	ds_write2_b32 v3, v75, v56 offset1:1
	ds_write2_b32 v3, v77, v60 offset0:8 offset1:9
	ds_write2_b32 v3, v49, v63 offset0:16 offset1:17
	;; [unrolled: 1-line block ×7, first 2 shown]
	s_waitcnt lgkmcnt(0)
	s_barrier
	s_and_saveexec_b64 s[12:13], s[0:1]
	s_cbranch_execz .LBB29_220
; %bb.143:                              ;   in Loop: Header=BB29_10 Depth=1
	v_or_b32_e32 v3, v128, v131
	v_cmp_gt_i32_e64 s[8:9], s36, v2
	v_cmp_gt_i32_e32 vcc, s3, v3
	s_and_b64 s[76:77], s[8:9], vcc
	v_mov_b32_e32 v3, 0x47
	s_and_saveexec_b64 s[8:9], s[76:77]
	s_cbranch_execz .LBB29_145
; %bb.144:                              ;   in Loop: Header=BB29_10 Depth=1
	v_mad_u64_u32 v[2:3], s[76:77], v2, s37, v[128:129]
	v_add_u32_e32 v3, v183, v201
	ds_read2st64_b32 v[4:5], v3 offset1:17
	v_add_u32_e32 v3, 0, v201
	ds_read2st64_b32 v[6:7], v3 offset0:1 offset1:18
	v_lshl_add_u32 v2, v2, 7, v236
	v_ashrrev_i32_e32 v3, 31, v2
	s_waitcnt lgkmcnt(1)
	v_cvt_f32_f16_e32 v8, v4
	v_cvt_f32_f16_sdwa v9, v4 dst_sel:DWORD dst_unused:UNUSED_PAD src0_sel:WORD_1
	v_cvt_f32_f16_e32 v4, v5
	v_cvt_f32_f16_sdwa v5, v5 dst_sel:DWORD dst_unused:UNUSED_PAD src0_sel:WORD_1
	v_lshl_add_u64 v[2:3], v[2:3], 3, v[150:151]
	s_waitcnt lgkmcnt(0)
	v_pk_fma_f32 v[8:9], v[6:7], v[8:9], 0 op_sel_hi:[0,1,0]
	v_mov_b32_e32 v6, v7
	v_pk_fma_f32 v[4:5], v[6:7], v[4:5], v[8:9] op_sel_hi:[0,1,1]
	global_store_dwordx2 v[2:3], v[4:5], off
	v_mov_b32_e32 v3, 0
.LBB29_145:                             ;   in Loop: Header=BB29_10 Depth=1
	s_or_b64 exec, exec, s[8:9]
	v_cmp_gt_i32_e64 s[8:9], s97, v3
	s_mov_b64 s[76:77], -1
	s_and_saveexec_b64 s[78:79], s[8:9]
; %bb.146:                              ;   in Loop: Header=BB29_10 Depth=1
	v_cmp_eq_u32_e64 s[8:9], 0, v3
	s_orn2_b64 s[76:77], s[8:9], exec
; %bb.147:                              ;   in Loop: Header=BB29_10 Depth=1
	s_or_b64 exec, exec, s[78:79]
	s_and_b64 exec, exec, s[76:77]
	s_cbranch_execz .LBB29_220
; %bb.148:                              ;   in Loop: Header=BB29_10 Depth=1
	v_add_u32_e32 v3, v202, v101
	v_cmp_gt_i32_e64 s[8:9], s36, v3
	s_and_b64 s[76:77], s[8:9], vcc
	v_mov_b32_e32 v2, 0x47
	s_and_saveexec_b64 s[8:9], s[76:77]
	s_cbranch_execz .LBB29_150
; %bb.149:                              ;   in Loop: Header=BB29_10 Depth=1
	v_mad_u64_u32 v[2:3], s[76:77], v3, s37, v[128:129]
	v_add_u32_e32 v3, v183, v203
	ds_read2st64_b32 v[4:5], v3 offset1:17
	v_add_u32_e32 v3, 0, v203
	ds_read2st64_b32 v[6:7], v3 offset0:1 offset1:18
	v_lshl_add_u32 v2, v2, 7, v236
	v_ashrrev_i32_e32 v3, 31, v2
	s_waitcnt lgkmcnt(1)
	v_cvt_f32_f16_e32 v8, v4
	v_cvt_f32_f16_sdwa v9, v4 dst_sel:DWORD dst_unused:UNUSED_PAD src0_sel:WORD_1
	v_cvt_f32_f16_e32 v4, v5
	v_cvt_f32_f16_sdwa v5, v5 dst_sel:DWORD dst_unused:UNUSED_PAD src0_sel:WORD_1
	v_lshl_add_u64 v[2:3], v[2:3], 3, v[150:151]
	s_waitcnt lgkmcnt(0)
	v_pk_fma_f32 v[8:9], v[6:7], v[8:9], 0 op_sel_hi:[0,1,0]
	v_mov_b32_e32 v6, v7
	v_pk_fma_f32 v[4:5], v[6:7], v[4:5], v[8:9] op_sel_hi:[0,1,1]
	global_store_dwordx2 v[2:3], v[4:5], off
	v_mov_b32_e32 v2, 0
.LBB29_150:                             ;   in Loop: Header=BB29_10 Depth=1
	s_or_b64 exec, exec, s[8:9]
	v_cmp_gt_i32_e64 s[8:9], s97, v2
	s_mov_b64 s[76:77], -1
	s_and_saveexec_b64 s[78:79], s[8:9]
; %bb.151:                              ;   in Loop: Header=BB29_10 Depth=1
	v_cmp_eq_u32_e64 s[8:9], 0, v2
	s_orn2_b64 s[76:77], s[8:9], exec
; %bb.152:                              ;   in Loop: Header=BB29_10 Depth=1
	s_or_b64 exec, exec, s[78:79]
	s_and_b64 exec, exec, s[76:77]
	s_cbranch_execz .LBB29_220
; %bb.153:                              ;   in Loop: Header=BB29_10 Depth=1
	v_add_u32_e32 v3, v204, v101
	v_cmp_gt_i32_e64 s[8:9], s36, v3
	s_and_b64 s[76:77], s[8:9], vcc
	v_mov_b32_e32 v2, 0x47
	s_and_saveexec_b64 s[8:9], s[76:77]
	s_cbranch_execz .LBB29_155
; %bb.154:                              ;   in Loop: Header=BB29_10 Depth=1
	v_mad_u64_u32 v[2:3], s[76:77], v3, s37, v[128:129]
	v_add_u32_e32 v3, v183, v205
	ds_read2st64_b32 v[4:5], v3 offset1:17
	v_add_u32_e32 v3, 0, v205
	ds_read2st64_b32 v[6:7], v3 offset0:1 offset1:18
	v_lshl_add_u32 v2, v2, 7, v236
	v_ashrrev_i32_e32 v3, 31, v2
	s_waitcnt lgkmcnt(1)
	v_cvt_f32_f16_e32 v8, v4
	v_cvt_f32_f16_sdwa v9, v4 dst_sel:DWORD dst_unused:UNUSED_PAD src0_sel:WORD_1
	v_cvt_f32_f16_e32 v4, v5
	v_cvt_f32_f16_sdwa v5, v5 dst_sel:DWORD dst_unused:UNUSED_PAD src0_sel:WORD_1
	v_lshl_add_u64 v[2:3], v[2:3], 3, v[150:151]
	s_waitcnt lgkmcnt(0)
	v_pk_fma_f32 v[8:9], v[6:7], v[8:9], 0 op_sel_hi:[0,1,0]
	v_mov_b32_e32 v6, v7
	v_pk_fma_f32 v[4:5], v[6:7], v[4:5], v[8:9] op_sel_hi:[0,1,1]
	global_store_dwordx2 v[2:3], v[4:5], off
	v_mov_b32_e32 v2, 0
.LBB29_155:                             ;   in Loop: Header=BB29_10 Depth=1
	s_or_b64 exec, exec, s[8:9]
	v_cmp_gt_i32_e64 s[8:9], s97, v2
	s_mov_b64 s[76:77], -1
	s_and_saveexec_b64 s[78:79], s[8:9]
; %bb.156:                              ;   in Loop: Header=BB29_10 Depth=1
	v_cmp_eq_u32_e64 s[8:9], 0, v2
	s_orn2_b64 s[76:77], s[8:9], exec
; %bb.157:                              ;   in Loop: Header=BB29_10 Depth=1
	s_or_b64 exec, exec, s[78:79]
	s_and_b64 exec, exec, s[76:77]
	s_cbranch_execz .LBB29_220
; %bb.158:                              ;   in Loop: Header=BB29_10 Depth=1
	v_add_u32_e32 v3, v206, v101
	v_cmp_gt_i32_e64 s[8:9], s36, v3
	s_and_b64 s[76:77], s[8:9], vcc
	v_mov_b32_e32 v2, 0x47
	s_and_saveexec_b64 s[8:9], s[76:77]
	s_cbranch_execz .LBB29_160
; %bb.159:                              ;   in Loop: Header=BB29_10 Depth=1
	v_mad_u64_u32 v[2:3], s[76:77], v3, s37, v[128:129]
	v_add_u32_e32 v3, v183, v207
	ds_read2st64_b32 v[4:5], v3 offset1:17
	v_add_u32_e32 v3, 0, v207
	ds_read2st64_b32 v[6:7], v3 offset0:1 offset1:18
	v_lshl_add_u32 v2, v2, 7, v236
	v_ashrrev_i32_e32 v3, 31, v2
	s_waitcnt lgkmcnt(1)
	v_cvt_f32_f16_e32 v8, v4
	v_cvt_f32_f16_sdwa v9, v4 dst_sel:DWORD dst_unused:UNUSED_PAD src0_sel:WORD_1
	v_cvt_f32_f16_e32 v4, v5
	v_cvt_f32_f16_sdwa v5, v5 dst_sel:DWORD dst_unused:UNUSED_PAD src0_sel:WORD_1
	v_lshl_add_u64 v[2:3], v[2:3], 3, v[150:151]
	s_waitcnt lgkmcnt(0)
	v_pk_fma_f32 v[8:9], v[6:7], v[8:9], 0 op_sel_hi:[0,1,0]
	v_mov_b32_e32 v6, v7
	v_pk_fma_f32 v[4:5], v[6:7], v[4:5], v[8:9] op_sel_hi:[0,1,1]
	global_store_dwordx2 v[2:3], v[4:5], off
	v_mov_b32_e32 v2, 0
.LBB29_160:                             ;   in Loop: Header=BB29_10 Depth=1
	s_or_b64 exec, exec, s[8:9]
	v_cmp_gt_i32_e64 s[8:9], s97, v2
	s_mov_b64 s[76:77], -1
	s_and_saveexec_b64 s[78:79], s[8:9]
; %bb.161:                              ;   in Loop: Header=BB29_10 Depth=1
	v_cmp_eq_u32_e64 s[8:9], 0, v2
	s_orn2_b64 s[76:77], s[8:9], exec
; %bb.162:                              ;   in Loop: Header=BB29_10 Depth=1
	s_or_b64 exec, exec, s[78:79]
	s_and_b64 exec, exec, s[76:77]
	s_cbranch_execz .LBB29_220
; %bb.163:                              ;   in Loop: Header=BB29_10 Depth=1
	scratch_load_dword v2, off, off         ; 4-byte Folded Reload
	s_waitcnt vmcnt(0)
	v_add_u32_e32 v3, v2, v101
	v_cmp_gt_i32_e64 s[8:9], s36, v3
	s_and_b64 s[76:77], s[8:9], vcc
	v_mov_b32_e32 v2, 0x47
	s_and_saveexec_b64 s[8:9], s[76:77]
	s_cbranch_execz .LBB29_165
; %bb.164:                              ;   in Loop: Header=BB29_10 Depth=1
	scratch_load_dword v6, off, off offset:4 ; 4-byte Folded Reload
	v_mad_u64_u32 v[2:3], s[76:77], v3, s37, v[128:129]
	v_lshl_add_u32 v2, v2, 7, v236
	s_waitcnt vmcnt(0)
	v_add_u32_e32 v3, v183, v6
	ds_read2st64_b32 v[4:5], v3 offset1:17
	v_add_u32_e32 v3, 0, v6
	ds_read2st64_b32 v[6:7], v3 offset0:1 offset1:18
	v_ashrrev_i32_e32 v3, 31, v2
	v_lshl_add_u64 v[2:3], v[2:3], 3, v[150:151]
	s_waitcnt lgkmcnt(1)
	v_cvt_f32_f16_e32 v8, v4
	v_cvt_f32_f16_sdwa v9, v4 dst_sel:DWORD dst_unused:UNUSED_PAD src0_sel:WORD_1
	v_cvt_f32_f16_e32 v4, v5
	v_cvt_f32_f16_sdwa v5, v5 dst_sel:DWORD dst_unused:UNUSED_PAD src0_sel:WORD_1
	s_waitcnt lgkmcnt(0)
	v_pk_fma_f32 v[8:9], v[6:7], v[8:9], 0 op_sel_hi:[0,1,0]
	v_mov_b32_e32 v6, v7
	v_pk_fma_f32 v[4:5], v[6:7], v[4:5], v[8:9] op_sel_hi:[0,1,1]
	global_store_dwordx2 v[2:3], v[4:5], off
	v_mov_b32_e32 v2, 0
.LBB29_165:                             ;   in Loop: Header=BB29_10 Depth=1
	s_or_b64 exec, exec, s[8:9]
	v_cmp_gt_i32_e64 s[8:9], s97, v2
	s_mov_b64 s[76:77], -1
	s_and_saveexec_b64 s[78:79], s[8:9]
; %bb.166:                              ;   in Loop: Header=BB29_10 Depth=1
	v_cmp_eq_u32_e64 s[8:9], 0, v2
	s_orn2_b64 s[76:77], s[8:9], exec
; %bb.167:                              ;   in Loop: Header=BB29_10 Depth=1
	s_or_b64 exec, exec, s[78:79]
	s_and_b64 exec, exec, s[76:77]
	s_cbranch_execz .LBB29_220
; %bb.168:                              ;   in Loop: Header=BB29_10 Depth=1
	scratch_load_dword v2, off, off offset:8 ; 4-byte Folded Reload
	s_waitcnt vmcnt(0)
	v_add_u32_e32 v3, v2, v101
	v_cmp_gt_i32_e64 s[8:9], s36, v3
	s_and_b64 s[76:77], s[8:9], vcc
	v_mov_b32_e32 v2, 0x47
	s_and_saveexec_b64 s[8:9], s[76:77]
	s_cbranch_execz .LBB29_170
; %bb.169:                              ;   in Loop: Header=BB29_10 Depth=1
	scratch_load_dword v6, off, off offset:12 ; 4-byte Folded Reload
	v_mad_u64_u32 v[2:3], s[76:77], v3, s37, v[128:129]
	v_lshl_add_u32 v2, v2, 7, v236
	s_waitcnt vmcnt(0)
	v_add_u32_e32 v3, v183, v6
	ds_read2st64_b32 v[4:5], v3 offset1:17
	v_add_u32_e32 v3, 0, v6
	ds_read2st64_b32 v[6:7], v3 offset0:1 offset1:18
	v_ashrrev_i32_e32 v3, 31, v2
	v_lshl_add_u64 v[2:3], v[2:3], 3, v[150:151]
	s_waitcnt lgkmcnt(1)
	v_cvt_f32_f16_e32 v8, v4
	v_cvt_f32_f16_sdwa v9, v4 dst_sel:DWORD dst_unused:UNUSED_PAD src0_sel:WORD_1
	v_cvt_f32_f16_e32 v4, v5
	v_cvt_f32_f16_sdwa v5, v5 dst_sel:DWORD dst_unused:UNUSED_PAD src0_sel:WORD_1
	s_waitcnt lgkmcnt(0)
	v_pk_fma_f32 v[8:9], v[6:7], v[8:9], 0 op_sel_hi:[0,1,0]
	v_mov_b32_e32 v6, v7
	v_pk_fma_f32 v[4:5], v[6:7], v[4:5], v[8:9] op_sel_hi:[0,1,1]
	global_store_dwordx2 v[2:3], v[4:5], off
	v_mov_b32_e32 v2, 0
.LBB29_170:                             ;   in Loop: Header=BB29_10 Depth=1
	s_or_b64 exec, exec, s[8:9]
	v_cmp_gt_i32_e64 s[8:9], s97, v2
	s_mov_b64 s[76:77], -1
	s_and_saveexec_b64 s[78:79], s[8:9]
; %bb.171:                              ;   in Loop: Header=BB29_10 Depth=1
	v_cmp_eq_u32_e64 s[8:9], 0, v2
	s_orn2_b64 s[76:77], s[8:9], exec
; %bb.172:                              ;   in Loop: Header=BB29_10 Depth=1
	s_or_b64 exec, exec, s[78:79]
	s_and_b64 exec, exec, s[76:77]
	s_cbranch_execz .LBB29_220
; %bb.173:                              ;   in Loop: Header=BB29_10 Depth=1
	scratch_load_dword v2, off, off offset:16 ; 4-byte Folded Reload
	;; [unrolled: 43-line block ×11, first 2 shown]
	s_waitcnt vmcnt(0)
	v_add_u32_e32 v2, v2, v101
	v_cmp_gt_i32_e64 s[8:9], s36, v2
	s_and_b64 s[8:9], s[8:9], vcc
	s_and_b64 exec, exec, s[8:9]
	s_cbranch_execz .LBB29_220
; %bb.219:                              ;   in Loop: Header=BB29_10 Depth=1
	scratch_load_dword v6, off, off offset:92 ; 4-byte Folded Reload
	v_mad_u64_u32 v[2:3], s[8:9], v2, s37, v[128:129]
	v_lshl_add_u32 v2, v2, 7, v236
	s_waitcnt vmcnt(0)
	v_add_u32_e32 v3, v183, v6
	ds_read2st64_b32 v[4:5], v3 offset1:17
	v_add_u32_e32 v3, 0, v6
	ds_read2st64_b32 v[6:7], v3 offset0:1 offset1:18
	v_ashrrev_i32_e32 v3, 31, v2
	v_lshl_add_u64 v[2:3], v[2:3], 3, v[150:151]
	s_waitcnt lgkmcnt(1)
	v_cvt_f32_f16_e32 v8, v4
	v_cvt_f32_f16_sdwa v9, v4 dst_sel:DWORD dst_unused:UNUSED_PAD src0_sel:WORD_1
	v_cvt_f32_f16_e32 v4, v5
	v_cvt_f32_f16_sdwa v5, v5 dst_sel:DWORD dst_unused:UNUSED_PAD src0_sel:WORD_1
	s_waitcnt lgkmcnt(0)
	v_pk_fma_f32 v[8:9], v[6:7], v[8:9], 0 op_sel_hi:[0,1,0]
	v_mov_b32_e32 v6, v7
	v_pk_fma_f32 v[4:5], v[6:7], v[4:5], v[8:9] op_sel_hi:[0,1,1]
	global_store_dwordx2 v[2:3], v[4:5], off
.LBB29_220:                             ;   in Loop: Header=BB29_10 Depth=1
	s_or_b64 exec, exec, s[12:13]
	s_barrier
	s_branch .LBB29_9
.LBB29_221:                             ;   in Loop: Header=BB29_10 Depth=1
	v_cmp_le_i32_e64 s[8:9], s36, v231
	v_cmp_le_i32_e64 s[12:13], s3, v228
	v_cmp_gt_i32_e32 vcc, s3, v228
	s_or_b64 s[8:9], s[8:9], s[12:13]
	s_and_saveexec_b64 s[12:13], s[8:9]
	s_xor_b64 s[8:9], exec, s[12:13]
; %bb.222:                              ;   in Loop: Header=BB29_10 Depth=1
	v_add_u32_e32 v2, v183, v237
	ds_write2st64_b32 v2, v103, v103 offset1:1
                                        ; implicit-def: $vgpr231
; %bb.223:                              ;   in Loop: Header=BB29_10 Depth=1
	s_andn2_saveexec_b64 s[8:9], s[8:9]
	s_cbranch_execz .LBB29_225
; %bb.224:                              ;   in Loop: Header=BB29_10 Depth=1
	v_mad_u64_u32 v[2:3], s[12:13], v231, s57, v[130:131]
	v_ashrrev_i32_e32 v3, 31, v2
	v_lshl_add_u64 v[2:3], v[2:3], 3, v[170:171]
	global_load_dwordx2 v[4:5], v[2:3], off
	s_nop 0
	global_load_dwordx2 v[2:3], v[2:3], off offset:512
	s_waitcnt vmcnt(1)
	v_cvt_pk_f16_f32 v4, v4, v5
	s_waitcnt vmcnt(0)
	v_cvt_pk_f16_f32 v2, v2, v3
	v_pk_mul_f16 v3, v4, v232
	v_pk_mul_f16 v2, v2, v232
	ds_write2st64_b32 v238, v3, v2 offset1:1
.LBB29_225:                             ;   in Loop: Header=BB29_10 Depth=1
	s_or_b64 exec, exec, s[8:9]
	v_add_u32_e32 v2, v239, v101
	v_cmp_le_i32_e64 s[8:9], s36, v2
	s_xor_b64 s[12:13], vcc, -1
	s_or_b64 s[8:9], s[8:9], s[12:13]
	s_and_saveexec_b64 s[76:77], s[8:9]
	s_xor_b64 s[8:9], exec, s[76:77]
; %bb.226:                              ;   in Loop: Header=BB29_10 Depth=1
	v_add_u32_e32 v2, v183, v237
	v_add_u32_e32 v2, 0x80, v2
	ds_write2st64_b32 v2, v103, v103 offset0:16 offset1:17
                                        ; implicit-def: $vgpr2
; %bb.227:                              ;   in Loop: Header=BB29_10 Depth=1
	s_andn2_saveexec_b64 s[8:9], s[8:9]
	s_cbranch_execz .LBB29_229
; %bb.228:                              ;   in Loop: Header=BB29_10 Depth=1
	v_mad_u64_u32 v[2:3], s[76:77], v2, s57, v[130:131]
	v_ashrrev_i32_e32 v3, 31, v2
	v_lshl_add_u64 v[2:3], v[2:3], 3, v[170:171]
	global_load_dwordx2 v[4:5], v[2:3], off
	s_nop 0
	global_load_dwordx2 v[2:3], v[2:3], off offset:512
	s_waitcnt vmcnt(1)
	v_cvt_pk_f16_f32 v4, v4, v5
	s_waitcnt vmcnt(0)
	v_cvt_pk_f16_f32 v2, v2, v3
	v_pk_mul_f16 v3, v4, v232
	v_pk_mul_f16 v2, v2, v232
	ds_write2st64_b32 v240, v3, v2 offset1:1
.LBB29_229:                             ;   in Loop: Header=BB29_10 Depth=1
	s_or_b64 exec, exec, s[8:9]
	v_add_u32_e32 v2, v241, v101
	v_cmp_le_i32_e32 vcc, s36, v2
	s_or_b64 s[8:9], vcc, s[12:13]
	s_and_saveexec_b64 s[76:77], s[8:9]
	s_xor_b64 s[8:9], exec, s[76:77]
; %bb.230:                              ;   in Loop: Header=BB29_10 Depth=1
	v_add_u32_e32 v2, v183, v237
	ds_write2st64_b32 v2, v103, v103 offset0:33 offset1:34
                                        ; implicit-def: $vgpr2
; %bb.231:                              ;   in Loop: Header=BB29_10 Depth=1
	s_andn2_saveexec_b64 s[8:9], s[8:9]
	s_cbranch_execz .LBB29_233
; %bb.232:                              ;   in Loop: Header=BB29_10 Depth=1
	v_mad_u64_u32 v[2:3], s[76:77], v2, s57, v[130:131]
	v_ashrrev_i32_e32 v3, 31, v2
	v_lshl_add_u64 v[2:3], v[2:3], 3, v[170:171]
	global_load_dwordx2 v[4:5], v[2:3], off
	s_nop 0
	global_load_dwordx2 v[2:3], v[2:3], off offset:512
	s_waitcnt vmcnt(1)
	v_cvt_pk_f16_f32 v4, v4, v5
	s_waitcnt vmcnt(0)
	v_cvt_pk_f16_f32 v2, v2, v3
	v_pk_mul_f16 v3, v4, v232
	v_pk_mul_f16 v2, v2, v232
	ds_write2st64_b32 v242, v3, v2 offset1:1
.LBB29_233:                             ;   in Loop: Header=BB29_10 Depth=1
	s_or_b64 exec, exec, s[8:9]
	v_add_u32_e32 v2, v243, v101
	v_cmp_le_i32_e32 vcc, s36, v2
	s_or_b64 s[8:9], vcc, s[12:13]
	s_and_saveexec_b64 s[76:77], s[8:9]
	s_xor_b64 s[8:9], exec, s[76:77]
; %bb.234:                              ;   in Loop: Header=BB29_10 Depth=1
	v_add_u32_e32 v2, v183, v237
	v_add_u32_e32 v2, 0x80, v2
	ds_write2st64_b32 v2, v103, v103 offset0:49 offset1:50
                                        ; implicit-def: $vgpr2
; %bb.235:                              ;   in Loop: Header=BB29_10 Depth=1
	s_andn2_saveexec_b64 s[8:9], s[8:9]
	s_cbranch_execz .LBB29_237
; %bb.236:                              ;   in Loop: Header=BB29_10 Depth=1
	v_mad_u64_u32 v[2:3], s[76:77], v2, s57, v[130:131]
	v_ashrrev_i32_e32 v3, 31, v2
	v_lshl_add_u64 v[2:3], v[2:3], 3, v[170:171]
	global_load_dwordx2 v[4:5], v[2:3], off
	s_nop 0
	global_load_dwordx2 v[2:3], v[2:3], off offset:512
	s_waitcnt vmcnt(1)
	v_cvt_pk_f16_f32 v4, v4, v5
	s_waitcnt vmcnt(0)
	v_cvt_pk_f16_f32 v2, v2, v3
	v_pk_mul_f16 v3, v4, v232
	v_pk_mul_f16 v2, v2, v232
	ds_write2st64_b32 v244, v3, v2 offset1:1
.LBB29_237:                             ;   in Loop: Header=BB29_10 Depth=1
	s_or_b64 exec, exec, s[8:9]
	v_add_u32_e32 v2, v245, v101
	v_cmp_le_i32_e32 vcc, s36, v2
	s_or_b64 s[8:9], vcc, s[12:13]
	s_and_saveexec_b64 s[76:77], s[8:9]
	s_xor_b64 s[8:9], exec, s[76:77]
; %bb.238:                              ;   in Loop: Header=BB29_10 Depth=1
	v_add_u32_e32 v2, v183, v237
	ds_write2st64_b32 v2, v103, v103 offset0:66 offset1:67
                                        ; implicit-def: $vgpr2
; %bb.239:                              ;   in Loop: Header=BB29_10 Depth=1
	s_andn2_saveexec_b64 s[8:9], s[8:9]
	s_cbranch_execz .LBB29_241
; %bb.240:                              ;   in Loop: Header=BB29_10 Depth=1
	v_mad_u64_u32 v[2:3], s[76:77], v2, s57, v[130:131]
	v_ashrrev_i32_e32 v3, 31, v2
	v_lshl_add_u64 v[2:3], v[2:3], 3, v[170:171]
	global_load_dwordx2 v[4:5], v[2:3], off
	s_nop 0
	global_load_dwordx2 v[2:3], v[2:3], off offset:512
	s_waitcnt vmcnt(1)
	v_cvt_pk_f16_f32 v4, v4, v5
	s_waitcnt vmcnt(0)
	v_cvt_pk_f16_f32 v2, v2, v3
	v_pk_mul_f16 v3, v4, v232
	v_pk_mul_f16 v2, v2, v232
	ds_write2st64_b32 v246, v3, v2 offset1:1
.LBB29_241:                             ;   in Loop: Header=BB29_10 Depth=1
	s_or_b64 exec, exec, s[8:9]
	v_add_u32_e32 v2, v247, v101
	v_cmp_le_i32_e32 vcc, s36, v2
	s_or_b64 s[8:9], vcc, s[12:13]
	;; [unrolled: 57-line block ×3, first 2 shown]
	s_and_saveexec_b64 s[12:13], s[8:9]
	s_xor_b64 s[8:9], exec, s[12:13]
; %bb.250:                              ;   in Loop: Header=BB29_10 Depth=1
	v_add_u32_e32 v2, v183, v237
	v_add_u32_e32 v2, 0x80, v2
	ds_write2st64_b32 v2, v103, v103 offset0:115 offset1:116
                                        ; implicit-def: $vgpr2
                                        ; implicit-def: $vgpr170_vgpr171
; %bb.251:                              ;   in Loop: Header=BB29_10 Depth=1
	s_andn2_saveexec_b64 s[8:9], s[8:9]
	s_cbranch_execz .LBB29_253
; %bb.252:                              ;   in Loop: Header=BB29_10 Depth=1
	v_mad_u64_u32 v[2:3], s[12:13], v2, s57, v[130:131]
	v_ashrrev_i32_e32 v3, 31, v2
	v_lshl_add_u64 v[2:3], v[2:3], 3, v[170:171]
	global_load_dwordx2 v[4:5], v[2:3], off
	s_nop 0
	global_load_dwordx2 v[2:3], v[2:3], off offset:512
	s_waitcnt vmcnt(1)
	v_cvt_pk_f16_f32 v4, v4, v5
	s_waitcnt vmcnt(0)
	v_cvt_pk_f16_f32 v2, v2, v3
	v_pk_mul_f16 v3, v4, v232
	v_pk_mul_f16 v2, v2, v232
	ds_write2st64_b32 v252, v3, v2 offset1:1
.LBB29_253:                             ;   in Loop: Header=BB29_10 Depth=1
	s_or_b64 exec, exec, s[8:9]
	s_waitcnt lgkmcnt(0)
	s_barrier
	ds_read2_b64 v[30:33], v184 offset1:4
	ds_read2_b64 v[26:29], v184 offset0:8 offset1:12
	ds_read2_b64 v[22:25], v184 offset0:16 offset1:20
	;; [unrolled: 1-line block ×7, first 2 shown]
	s_cmp_gt_i32 s98, 1
	s_mov_b64 s[8:9], -1
	s_waitcnt lgkmcnt(0)
	s_barrier
                                        ; implicit-def: $vgpr85
                                        ; implicit-def: $vgpr86
                                        ; implicit-def: $vgpr89
                                        ; implicit-def: $vgpr87
	s_cbranch_scc1 .LBB29_255
; %bb.254:                              ;   in Loop: Header=BB29_10 Depth=1
	v_mbcnt_hi_u32_b32 v85, -1, v254
	v_and_b32_e32 v34, 64, v85
	v_add_u32_e32 v86, 64, v34
	v_xor_b32_e32 v89, 32, v85
	v_xor_b32_e32 v87, 16, v85
	s_mov_b64 s[8:9], 0
.LBB29_255:                             ;   in Loop: Header=BB29_10 Depth=1
	v_add_u32_e32 v34, v101, v185
	v_mul_hi_u32 v35, s46, v34
	v_add_u32_e32 v35, v34, v35
	v_lshrrev_b32_e32 v35, s47, v35
	v_mul_lo_u32 v35, v35, s36
	s_andn2_b64 vcc, exec, s[8:9]
	v_sub_u32_e32 v90, v34, v35
	s_cbranch_vccnz .LBB29_259
; %bb.256:                              ;   in Loop: Header=BB29_10 Depth=1
	v_mbcnt_hi_u32_b32 v85, -1, v254
	v_and_b32_e32 v34, 64, v85
	v_add_u32_e32 v86, 64, v34
	v_xor_b32_e32 v89, 32, v85
	v_cmp_lt_i32_e32 vcc, v89, v86
	v_xor_b32_e32 v87, 16, v85
	s_add_i32 s8, s98, -1
	v_cndmask_b32_e32 v34, v85, v89, vcc
	v_cmp_lt_i32_e32 vcc, v87, v86
	v_lshlrev_b32_e32 v102, 2, v34
	v_mov_b32_e32 v80, 0
	v_cndmask_b32_e32 v34, v85, v87, vcc
	v_lshlrev_b32_e32 v170, 2, v34
	v_mad_i64_i32 v[34:35], s[12:13], s68, v90, v[164:165]
	v_lshl_add_u64 v[62:63], v[132:133], 0, v[34:35]
	v_lshl_add_u64 v[34:35], v[166:167], 0, v[168:169]
	;; [unrolled: 1-line block ×11, first 2 shown]
	v_mov_b32_e32 v84, 0xfeffffff
	v_mov_b32_e32 v88, 0
	s_mov_b32 s9, s8
	v_mov_b32_e32 v81, 0
	v_mov_b32_e32 v83, 0
	;; [unrolled: 1-line block ×31, first 2 shown]
.LBB29_257:                             ;   Parent Loop BB29_10 Depth=1
                                        ; =>  This Inner Loop Header: Depth=2
	global_load_dword v34, v[62:63], off
	v_lshl_add_u64 v[44:45], v[74:75], 0, v[122:123]
	v_lshl_add_u64 v[48:49], v[76:77], 0, v[122:123]
	;; [unrolled: 1-line block ×3, first 2 shown]
	v_mov_b32_e32 v53, v84
	v_mov_b32_e32 v52, v88
	s_add_i32 s9, s9, -1
	v_lshl_add_u64 v[62:63], v[62:63], 0, s[74:75]
	v_lshl_add_u64 v[74:75], v[74:75], 0, s[72:73]
	;; [unrolled: 1-line block ×4, first 2 shown]
	s_cmp_lg_u32 s9, 0
	s_waitcnt vmcnt(0)
	ds_write_b32 v195, v34 offset:33792
	v_lshl_add_u64 v[34:35], v[72:73], 0, v[122:123]
	global_load_dwordx4 v[34:37], v[34:35], off
	v_lshl_add_u64 v[72:73], v[72:73], 0, s[72:73]
	s_waitcnt vmcnt(0)
	ds_write_b128 v186, v[34:37]
	global_load_dwordx4 v[34:37], v[44:45], off
	v_add_u32_e32 v44, 0x4000, v188
	s_waitcnt vmcnt(0)
	ds_write_b128 v233, v[34:37]
	global_load_dwordx4 v[34:37], v[48:49], off
	s_waitcnt vmcnt(0)
	ds_write_b128 v234, v[34:37]
	global_load_dwordx4 v[34:37], v[56:57], off
	s_waitcnt vmcnt(0)
	ds_write_b128 v235, v[34:37]
	s_waitcnt lgkmcnt(0)
	s_barrier
	ds_read2_b64 v[34:37], v188 offset1:4
	s_waitcnt lgkmcnt(0)
	v_mfma_f32_16x16x16_f16 v[172:175], v[34:35], v[30:31], 0
	v_mfma_f32_16x16x16_f16 v[34:37], v[36:37], v[32:33], v[172:175]
	s_nop 6
	ds_read2_b64 v[172:175], v188 offset0:8 offset1:12
	s_waitcnt lgkmcnt(0)
	v_mfma_f32_16x16x16_f16 v[34:37], v[172:173], v[26:27], v[34:37]
	v_mfma_f32_16x16x16_f16 v[34:37], v[174:175], v[28:29], v[34:37]
	ds_read2_b64 v[172:175], v188 offset0:16 offset1:20
	s_waitcnt lgkmcnt(0)
	v_mfma_f32_16x16x16_f16 v[34:37], v[172:173], v[22:23], v[34:37]
	v_mfma_f32_16x16x16_f16 v[34:37], v[174:175], v[24:25], v[34:37]
	;; [unrolled: 4-line block ×8, first 2 shown]
	s_nop 6
	ds_read2_b64 v[220:223], v44 offset0:72 offset1:76
	s_waitcnt lgkmcnt(0)
	v_mfma_f32_16x16x16_f16 v[172:175], v[220:221], v[26:27], v[172:175]
	v_mfma_f32_16x16x16_f16 v[172:175], v[222:223], v[28:29], v[172:175]
	ds_read2_b64 v[220:223], v44 offset0:80 offset1:84
	s_waitcnt lgkmcnt(0)
	v_mfma_f32_16x16x16_f16 v[172:175], v[220:221], v[22:23], v[172:175]
	v_mfma_f32_16x16x16_f16 v[172:175], v[222:223], v[24:25], v[172:175]
	;; [unrolled: 4-line block ×6, first 2 shown]
	ds_read2_b64 v[220:223], v44 offset0:120 offset1:124
	v_add_u32_e32 v44, 0x8400, v189
	s_waitcnt lgkmcnt(0)
	s_barrier
	ds_read2_b32 v[44:45], v44 offset1:1
	v_mfma_f32_16x16x16_f16 v[172:175], v[220:221], v[2:3], v[172:175]
	s_waitcnt lgkmcnt(0)
	v_cvt_f32_f16_e32 v48, v44
	v_cvt_f32_f16_sdwa v44, v44 dst_sel:DWORD dst_unused:UNUSED_PAD src0_sel:WORD_1
	v_add_f32_e32 v34, v34, v48
	v_add_f32_e32 v35, v35, v44
	v_cvt_f32_f16_e32 v44, v45
	v_cvt_f32_f16_sdwa v45, v45 dst_sel:DWORD dst_unused:UNUSED_PAD src0_sel:WORD_1
	v_mfma_f32_16x16x16_f16 v[172:175], v[222:223], v[4:5], v[172:175]
	v_add_f32_e32 v57, 0x40051340, v35
	v_add_f32_e32 v36, v36, v44
	ds_read_b32 v44, v196 offset:33792
	v_add_f32_e32 v37, v37, v45
	v_add_f32_e32 v60, 0x40051340, v37
	s_waitcnt lgkmcnt(0)
	v_cvt_f32_f16_e32 v45, v44
	v_cvt_f32_f16_sdwa v44, v44 dst_sel:DWORD dst_unused:UNUSED_PAD src0_sel:WORD_1
	v_add_f32_e32 v45, v172, v45
	v_add_f32_e32 v48, v173, v44
	ds_read_b32 v44, v197 offset:33792
	v_lshl_add_u64 v[172:173], v[70:71], 0, v[122:123]
	v_lshl_add_u64 v[70:71], v[70:71], 0, s[70:71]
	s_waitcnt lgkmcnt(0)
	v_cvt_f32_f16_e32 v49, v44
	v_cvt_f32_f16_sdwa v44, v44 dst_sel:DWORD dst_unused:UNUSED_PAD src0_sel:WORD_1
	v_add_f32_e32 v49, v174, v49
	v_add_f32_e32 v56, v175, v44
	v_add_f32_e32 v44, 0x40051340, v34
	v_max3_f32 v44, v53, v44, v57
	v_add_f32_e32 v57, 0x40051340, v36
	v_max3_f32 v44, v44, v57, v60
	v_add_f32_e32 v57, 0x40051340, v45
	v_add_f32_e32 v60, 0x40051340, v48
	v_max3_f32 v44, v44, v57, v60
	v_add_f32_e32 v57, 0x40051340, v49
	v_add_f32_e32 v60, 0x40051340, v56
	v_max3_f32 v44, v44, v57, v60
	ds_bpermute_b32 v57, v102, v44
	s_waitcnt lgkmcnt(0)
	v_max_f32_e32 v57, v57, v57
	v_max_f32_e32 v44, v44, v57
	ds_bpermute_b32 v57, v170, v44
	s_waitcnt lgkmcnt(0)
	v_max_f32_e32 v57, v57, v57
	v_max_f32_e32 v84, v44, v57
	v_sub_f32_e32 v34, v34, v84
	v_mul_f32_e32 v44, 0x3fb8aa3b, v34
	v_fma_f32 v57, v34, s45, -v44
	v_rndne_f32_e32 v60, v44
	v_fmac_f32_e32 v57, 0x32a5705f, v34
	v_sub_f32_e32 v44, v44, v60
	v_add_f32_e32 v44, v44, v57
	v_exp_f32_e32 v44, v44
	v_cvt_i32_f32_e32 v57, v60
	v_cmp_ngt_f32_e32 vcc, s69, v34
	v_sub_f32_e32 v35, v35, v84
	v_sub_f32_e32 v36, v36, v84
	v_ldexp_f32 v44, v44, v57
	v_cndmask_b32_e32 v44, 0, v44, vcc
	v_cmp_nlt_f32_e32 vcc, s94, v34
	v_sub_f32_e32 v37, v37, v84
	v_sub_f32_e32 v53, v53, v84
	v_cndmask_b32_e32 v34, v230, v44, vcc
	v_mul_f32_e32 v44, 0x3fb8aa3b, v35
	v_fma_f32 v57, v35, s45, -v44
	v_rndne_f32_e32 v60, v44
	v_fmac_f32_e32 v57, 0x32a5705f, v35
	v_sub_f32_e32 v44, v44, v60
	v_add_f32_e32 v44, v44, v57
	v_exp_f32_e32 v44, v44
	v_cvt_i32_f32_e32 v57, v60
	v_cmp_ngt_f32_e32 vcc, s69, v35
	v_ldexp_f32 v44, v44, v57
	v_mul_f32_e32 v57, 0x3fb8aa3b, v36
	v_fma_f32 v60, v36, s45, -v57
	v_rndne_f32_e32 v61, v57
	v_fmac_f32_e32 v60, 0x32a5705f, v36
	v_sub_f32_e32 v57, v57, v61
	v_add_f32_e32 v57, v57, v60
	v_exp_f32_e32 v57, v57
	v_cvt_i32_f32_e32 v60, v61
	v_cndmask_b32_e32 v44, 0, v44, vcc
	v_cmp_nlt_f32_e32 vcc, s94, v35
	v_ldexp_f32 v57, v57, v60
	s_nop 0
	v_cndmask_b32_e32 v35, v230, v44, vcc
	v_cmp_ngt_f32_e32 vcc, s69, v36
	v_add_f32_e32 v44, v34, v35
	s_nop 0
	v_cndmask_b32_e32 v57, 0, v57, vcc
	v_cmp_nlt_f32_e32 vcc, s94, v36
	s_nop 1
	v_cndmask_b32_e32 v36, v230, v57, vcc
	v_add_f32_e32 v57, v36, v44
	v_mul_f32_e32 v44, 0x3fb8aa3b, v37
	v_fma_f32 v60, v37, s45, -v44
	v_rndne_f32_e32 v61, v44
	v_fmac_f32_e32 v60, 0x32a5705f, v37
	v_sub_f32_e32 v44, v44, v61
	v_add_f32_e32 v44, v44, v60
	v_exp_f32_e32 v44, v44
	v_cvt_i32_f32_e32 v60, v61
	v_cmp_ngt_f32_e32 vcc, s69, v37
	v_ldexp_f32 v44, v44, v60
	s_nop 0
	v_cndmask_b32_e32 v44, 0, v44, vcc
	v_cmp_nlt_f32_e32 vcc, s94, v37
	v_sub_f32_e32 v37, v45, v84
	v_mul_f32_e32 v45, 0x3fb8aa3b, v37
	v_fma_f32 v60, v37, s45, -v45
	v_rndne_f32_e32 v61, v45
	v_fmac_f32_e32 v60, 0x32a5705f, v37
	v_sub_f32_e32 v45, v45, v61
	v_add_f32_e32 v45, v45, v60
	v_exp_f32_e32 v45, v45
	v_cvt_i32_f32_e32 v60, v61
	v_cndmask_b32_e32 v44, v230, v44, vcc
	v_cmp_ngt_f32_e32 vcc, s69, v37
	v_add_f32_e32 v57, v44, v57
	v_ldexp_f32 v45, v45, v60
	v_cndmask_b32_e32 v45, 0, v45, vcc
	v_cmp_nlt_f32_e32 vcc, s94, v37
	s_nop 1
	v_cndmask_b32_e32 v37, v230, v45, vcc
	v_sub_f32_e32 v45, v48, v84
	v_mul_f32_e32 v48, 0x3fb8aa3b, v45
	v_fma_f32 v60, v45, s45, -v48
	v_rndne_f32_e32 v61, v48
	v_fmac_f32_e32 v60, 0x32a5705f, v45
	v_sub_f32_e32 v48, v48, v61
	v_add_f32_e32 v48, v48, v60
	v_exp_f32_e32 v48, v48
	v_cvt_i32_f32_e32 v60, v61
	v_cmp_ngt_f32_e32 vcc, s69, v45
	v_add_f32_e32 v57, v37, v57
	v_ldexp_f32 v48, v48, v60
	v_cndmask_b32_e32 v48, 0, v48, vcc
	v_cmp_nlt_f32_e32 vcc, s94, v45
	s_nop 1
	v_cndmask_b32_e32 v45, v230, v48, vcc
	v_sub_f32_e32 v48, v49, v84
	v_mul_f32_e32 v49, 0x3fb8aa3b, v48
	v_fma_f32 v60, v48, s45, -v49
	v_rndne_f32_e32 v61, v49
	v_fmac_f32_e32 v60, 0x32a5705f, v48
	v_sub_f32_e32 v49, v49, v61
	v_add_f32_e32 v49, v49, v60
	v_exp_f32_e32 v49, v49
	v_cvt_i32_f32_e32 v60, v61
	;; [unrolled: 16-line block ×3, first 2 shown]
	v_cmp_ngt_f32_e32 vcc, s69, v49
	v_add_f32_e32 v57, v48, v57
	v_ldexp_f32 v56, v56, v60
	v_cndmask_b32_e32 v56, 0, v56, vcc
	v_cmp_nlt_f32_e32 vcc, s94, v49
	s_nop 1
	v_cndmask_b32_e32 v49, v230, v56, vcc
	v_mul_f32_e32 v56, 0x3fb8aa3b, v53
	v_add_f32_e32 v88, v49, v57
	v_fma_f32 v57, v53, s45, -v56
	v_rndne_f32_e32 v60, v56
	v_fmac_f32_e32 v57, 0x32a5705f, v53
	v_sub_f32_e32 v56, v56, v60
	v_add_f32_e32 v56, v56, v57
	v_exp_f32_e32 v56, v56
	v_cvt_i32_f32_e32 v57, v60
	v_cmp_ngt_f32_e32 vcc, s69, v53
	v_lshl_add_u64 v[60:61], v[68:69], 0, v[122:123]
	v_lshl_add_u64 v[68:69], v[68:69], 0, s[70:71]
	v_ldexp_f32 v56, v56, v57
	v_cndmask_b32_e32 v56, 0, v56, vcc
	v_cmp_nlt_f32_e32 vcc, s94, v53
	s_nop 1
	v_cndmask_b32_e32 v56, v230, v56, vcc
	v_cmp_le_f32_e32 vcc, s95, v53
	s_nop 1
	v_cndmask_b32_e32 v53, 0, v56, vcc
	v_fmac_f32_e32 v88, v52, v53
	v_cvt_f16_f32_e32 v52, v53
	v_lshl_add_u64 v[56:57], v[66:67], 0, v[122:123]
	v_lshl_add_u64 v[66:67], v[66:67], 0, s[70:71]
	v_mul_u32_u24_e32 v52, 0x10001, v52
	v_pk_mul_f16 v41, v41, v52
	v_pk_mul_f16 v40, v40, v52
	;; [unrolled: 1-line block ×32, first 2 shown]
	v_lshl_add_u64 v[52:53], v[64:65], 0, v[122:123]
	global_load_dwordx4 v[80:83], v[52:53], off
	v_cvt_f32_f16_e32 v174, v40
	v_cvt_f32_f16_sdwa v175, v40 dst_sel:DWORD dst_unused:UNUSED_PAD src0_sel:WORD_1
	v_cvt_f32_f16_e32 v220, v168
	v_cvt_f32_f16_sdwa v221, v168 dst_sel:DWORD dst_unused:UNUSED_PAD src0_sel:WORD_1
	;; [unrolled: 2-line block ×9, first 2 shown]
	v_lshl_add_u64 v[64:65], v[64:65], 0, s[70:71]
	s_waitcnt vmcnt(0)
	ds_write_b128 v186, v[80:83]
	global_load_dwordx4 v[80:83], v[56:57], off
	s_waitcnt vmcnt(0)
	ds_write_b128 v233, v[80:83]
	global_load_dwordx4 v[80:83], v[60:61], off
	;; [unrolled: 3-line block ×3, first 2 shown]
	v_cvt_f32_f16_e32 v172, v41
	v_cvt_f32_f16_sdwa v173, v41 dst_sel:DWORD dst_unused:UNUSED_PAD src0_sel:WORD_1
	s_waitcnt vmcnt(0)
	ds_write_b128 v235, v[80:83]
	s_waitcnt lgkmcnt(0)
	s_barrier
	ds_read_u16 v52, v190 offset:528
	ds_read_u16 v53, v190 offset:1056
	ds_read_u16 v40, v191
	ds_read_u16 v56, v191 offset:32
	v_cvt_pk_f16_f32 v81, v36, v44
	v_cvt_pk_f16_f32 v80, v34, v35
	;; [unrolled: 1-line block ×3, first 2 shown]
	s_waitcnt lgkmcnt(1)
	v_perm_b32 v41, v40, v53, s96
	ds_read_u16 v40, v190
	ds_read_u16 v53, v190 offset:32
	v_cvt_pk_f16_f32 v82, v37, v45
	s_waitcnt lgkmcnt(1)
	v_perm_b32 v40, v52, v40, s96
	s_nop 1
	v_mfma_f32_16x16x16_f16 v[172:175], v[40:41], v[80:81], v[172:175]
	ds_read_u16 v41, v190 offset:16896
	ds_read_u16 v44, v190 offset:17424
	;; [unrolled: 1-line block ×4, first 2 shown]
	s_nop 3
	v_cvt_f16_f32_e32 v34, v172
	v_cvt_f16_f32_e32 v35, v173
	v_cvt_f16_f32_e32 v40, v175
	v_cvt_f16_f32_e32 v36, v174
	v_cvt_f32_f16_e32 v172, v34
	v_cvt_f32_f16_e32 v173, v35
	;; [unrolled: 1-line block ×3, first 2 shown]
	s_waitcnt lgkmcnt(0)
	v_perm_b32 v35, v57, v52, s96
	v_perm_b32 v34, v44, v41, s96
	ds_read_u16 v40, v190 offset:560
	ds_read_u16 v41, v190 offset:1088
	v_cvt_f32_f16_e32 v174, v36
	ds_read_u16 v44, v190 offset:16928
	ds_read_u16 v48, v190 offset:17456
	;; [unrolled: 1-line block ×4, first 2 shown]
	v_mfma_f32_16x16x16_f16 v[34:37], v[34:35], v[82:83], v[172:175]
	s_waitcnt lgkmcnt(2)
	v_perm_b32 v44, v48, v44, s96
	s_nop 0
	v_cvt_f32_f16_e32 v172, v39
	v_cvt_f32_f16_sdwa v173, v39 dst_sel:DWORD dst_unused:UNUSED_PAD src0_sel:WORD_1
	v_cvt_f32_f16_e32 v174, v38
	v_cvt_f32_f16_sdwa v175, v38 dst_sel:DWORD dst_unused:UNUSED_PAD src0_sel:WORD_1
	v_perm_b32 v39, v56, v41, s96
	v_perm_b32 v38, v40, v53, s96
	s_waitcnt lgkmcnt(0)
	v_perm_b32 v45, v49, v45, s96
	v_mfma_f32_16x16x16_f16 v[38:41], v[38:39], v[80:81], v[172:175]
	s_nop 2
	v_cvt_f32_f16_e32 v172, v43
	v_cvt_f32_f16_sdwa v173, v43 dst_sel:DWORD dst_unused:UNUSED_PAD src0_sel:WORD_1
	s_nop 2
	v_cvt_f16_f32_e32 v38, v38
	v_cvt_f16_f32_e32 v39, v39
	;; [unrolled: 1-line block ×4, first 2 shown]
	v_cvt_f32_f16_e32 v38, v38
	v_cvt_f32_f16_e32 v39, v39
	;; [unrolled: 1-line block ×5, first 2 shown]
	v_cvt_f32_f16_sdwa v175, v42 dst_sel:DWORD dst_unused:UNUSED_PAD src0_sel:WORD_1
	v_mfma_f32_16x16x16_f16 v[38:41], v[44:45], v[82:83], v[38:41]
	ds_read_u16 v44, v190 offset:64
	ds_read_u16 v45, v190 offset:592
	;; [unrolled: 1-line block ×4, first 2 shown]
	s_waitcnt lgkmcnt(2)
	v_perm_b32 v42, v45, v44, s96
	s_nop 1
	v_cvt_pk_f16_f32 v39, v38, v39
	s_waitcnt lgkmcnt(0)
	v_perm_b32 v43, v49, v48, s96
	ds_read_u16 v48, v190 offset:16960
	ds_read_u16 v52, v190 offset:17488
	ds_read_u16 v49, v190 offset:18016
	ds_read_u16 v53, v191 offset:16960
	v_mfma_f32_16x16x16_f16 v[42:45], v[42:43], v[80:81], v[172:175]
	s_waitcnt lgkmcnt(0)
	v_perm_b32 v49, v53, v49, s96
	v_perm_b32 v48, v52, v48, s96
	v_cvt_f32_f16_e32 v172, v47
	s_nop 3
	v_cvt_f16_f32_e32 v42, v42
	v_cvt_f16_f32_e32 v43, v43
	v_cvt_f16_f32_e32 v44, v44
	v_cvt_f16_f32_e32 v45, v45
	v_cvt_f32_f16_e32 v42, v42
	v_cvt_f32_f16_e32 v43, v43
	v_cvt_f32_f16_e32 v44, v44
	v_cvt_f32_f16_e32 v45, v45
	v_cvt_f32_f16_sdwa v173, v47 dst_sel:DWORD dst_unused:UNUSED_PAD src0_sel:WORD_1
	v_cvt_f32_f16_e32 v174, v46
	v_mfma_f32_16x16x16_f16 v[42:45], v[48:49], v[82:83], v[42:45]
	ds_read_u16 v48, v190 offset:96
	ds_read_u16 v49, v190 offset:624
	ds_read_u16 v52, v190 offset:1152
	ds_read_u16 v53, v191 offset:96
	v_cvt_f32_f16_sdwa v175, v46 dst_sel:DWORD dst_unused:UNUSED_PAD src0_sel:WORD_1
	v_cvt_pk_f16_f32 v38, v40, v41
	s_waitcnt lgkmcnt(2)
	v_perm_b32 v46, v49, v48, s96
	v_cvt_pk_f16_f32 v43, v42, v43
	s_waitcnt lgkmcnt(0)
	v_perm_b32 v47, v53, v52, s96
	ds_read_u16 v52, v190 offset:16992
	ds_read_u16 v56, v190 offset:17520
	ds_read_u16 v53, v190 offset:18048
	ds_read_u16 v57, v191 offset:16992
	v_mfma_f32_16x16x16_f16 v[46:49], v[46:47], v[80:81], v[172:175]
	s_waitcnt lgkmcnt(0)
	v_perm_b32 v53, v57, v53, s96
	v_perm_b32 v52, v56, v52, s96
	v_cvt_f32_f16_e32 v172, v51
	s_nop 3
	v_cvt_f16_f32_e32 v46, v46
	v_cvt_f16_f32_e32 v47, v47
	v_cvt_f16_f32_e32 v48, v48
	v_cvt_f16_f32_e32 v49, v49
	v_cvt_f32_f16_e32 v46, v46
	v_cvt_f32_f16_e32 v47, v47
	v_cvt_f32_f16_e32 v48, v48
	v_cvt_f32_f16_e32 v49, v49
	v_cvt_f32_f16_sdwa v173, v51 dst_sel:DWORD dst_unused:UNUSED_PAD src0_sel:WORD_1
	v_cvt_f32_f16_e32 v174, v50
	v_mfma_f32_16x16x16_f16 v[46:49], v[52:53], v[82:83], v[46:49]
	ds_read_u16 v52, v190 offset:128
	ds_read_u16 v53, v190 offset:656
	ds_read_u16 v56, v190 offset:1184
	ds_read_u16 v57, v191 offset:128
	v_cvt_f32_f16_sdwa v175, v50 dst_sel:DWORD dst_unused:UNUSED_PAD src0_sel:WORD_1
	v_cvt_pk_f16_f32 v42, v44, v45
	s_waitcnt lgkmcnt(2)
	v_perm_b32 v50, v53, v52, s96
	;; [unrolled: 32-line block ×3, first 2 shown]
	v_cvt_pk_f16_f32 v51, v50, v51
	s_waitcnt lgkmcnt(0)
	v_perm_b32 v55, v61, v60, s96
	v_cvt_pk_f16_f32 v50, v52, v53
	v_cvt_pk_f16_f32 v41, v34, v35
	v_mfma_f32_16x16x16_f16 v[54:57], v[54:55], v[80:81], v[172:175]
	ds_read_u16 v60, v190 offset:17056
	s_nop 1
	ds_read_u16 v172, v190 offset:17584
	ds_read_u16 v61, v190 offset:18112
	;; [unrolled: 1-line block ×3, first 2 shown]
	v_cvt_f32_f16_e32 v174, v58
	v_cvt_f32_f16_sdwa v175, v58 dst_sel:DWORD dst_unused:UNUSED_PAD src0_sel:WORD_1
	v_cvt_f16_f32_e32 v54, v54
	v_cvt_f16_f32_e32 v55, v55
	;; [unrolled: 1-line block ×4, first 2 shown]
	s_waitcnt lgkmcnt(0)
	v_perm_b32 v61, v173, v61, s96
	v_perm_b32 v60, v172, v60, s96
	v_cvt_f32_f16_e32 v54, v54
	v_cvt_f32_f16_e32 v55, v55
	;; [unrolled: 1-line block ×5, first 2 shown]
	v_cvt_f32_f16_sdwa v173, v59 dst_sel:DWORD dst_unused:UNUSED_PAD src0_sel:WORD_1
	v_mfma_f32_16x16x16_f16 v[54:57], v[60:61], v[82:83], v[54:57]
	ds_read_u16 v60, v190 offset:192
	ds_read_u16 v61, v190 offset:720
	;; [unrolled: 1-line block ×4, first 2 shown]
	v_cvt_pk_f16_f32 v40, v36, v37
	s_waitcnt lgkmcnt(2)
	v_perm_b32 v58, v61, v60, s96
	s_nop 0
	v_cvt_pk_f16_f32 v55, v54, v55
	s_waitcnt lgkmcnt(0)
	v_perm_b32 v59, v209, v208, s96
	v_cvt_pk_f16_f32 v54, v56, v57
	s_nop 0
	v_mfma_f32_16x16x16_f16 v[58:61], v[58:59], v[80:81], v[172:175]
	s_nop 2
	ds_read_u16 v172, v190 offset:17088
	ds_read_u16 v174, v190 offset:17616
	;; [unrolled: 1-line block ×8, first 2 shown]
	v_cvt_f16_f32_e32 v58, v58
	v_cvt_f16_f32_e32 v59, v59
	;; [unrolled: 1-line block ×4, first 2 shown]
	s_waitcnt lgkmcnt(4)
	v_perm_b32 v173, v175, v173, s96
	v_perm_b32 v172, v174, v172, s96
	v_cvt_f32_f16_e32 v58, v58
	v_cvt_f32_f16_e32 v59, v59
	;; [unrolled: 1-line block ×4, first 2 shown]
	s_waitcnt lgkmcnt(0)
	v_perm_b32 v209, v211, v209, s96
	v_perm_b32 v208, v210, v208, s96
	v_mfma_f32_16x16x16_f16 v[58:61], v[172:173], v[82:83], v[58:61]
	v_cvt_f32_f16_e32 v172, v171
	v_cvt_f32_f16_sdwa v173, v171 dst_sel:DWORD dst_unused:UNUSED_PAD src0_sel:WORD_1
	v_cvt_f32_f16_e32 v174, v169
	v_cvt_f32_f16_sdwa v175, v169 dst_sel:DWORD dst_unused:UNUSED_PAD src0_sel:WORD_1
	s_nop 3
	v_cvt_pk_f16_f32 v59, v58, v59
	v_cvt_pk_f16_f32 v58, v60, v61
	v_mfma_f32_16x16x16_f16 v[172:175], v[208:209], v[80:81], v[172:175]
	ds_read_u16 v208, v190 offset:17120
	ds_read_u16 v210, v190 offset:17648
	;; [unrolled: 1-line block ×4, first 2 shown]
	s_nop 3
	v_cvt_f16_f32_e32 v169, v172
	v_cvt_f16_f32_e32 v171, v173
	;; [unrolled: 1-line block ×4, first 2 shown]
	s_waitcnt lgkmcnt(0)
	v_perm_b32 v209, v211, v209, s96
	v_perm_b32 v208, v210, v208, s96
	v_cvt_f32_f16_e32 v172, v169
	v_cvt_f32_f16_e32 v173, v171
	;; [unrolled: 1-line block ×4, first 2 shown]
	s_nop 1
	v_mfma_f32_16x16x16_f16 v[172:175], v[208:209], v[82:83], v[172:175]
	ds_read_u16 v171, v190 offset:256
	ds_read_u16 v208, v190 offset:784
	ds_read_u16 v169, v190 offset:1312
	ds_read_u16 v209, v191 offset:256
	s_waitcnt lgkmcnt(2)
	v_perm_b32 v168, v208, v171, s96
	s_waitcnt lgkmcnt(0)
	v_perm_b32 v169, v209, v169, s96
	ds_read_u16 v208, v190 offset:17152
	ds_read_u16 v209, v190 offset:17680
	;; [unrolled: 1-line block ×4, first 2 shown]
	v_mfma_f32_16x16x16_f16 v[220:223], v[168:169], v[80:81], v[220:223]
	s_nop 7
	v_cvt_f16_f32_e32 v168, v221
	v_cvt_f16_f32_e32 v169, v222
	v_cvt_f16_f32_e32 v167, v220
	v_cvt_f16_f32_e32 v171, v223
	v_cvt_f32_f16_e32 v221, v168
	v_cvt_f32_f16_e32 v222, v169
	s_waitcnt lgkmcnt(0)
	v_perm_b32 v169, v211, v210, s96
	v_perm_b32 v168, v209, v208, s96
	v_cvt_f32_f16_e32 v220, v167
	v_cvt_f32_f16_e32 v223, v171
	s_nop 1
	v_mfma_f32_16x16x16_f16 v[220:223], v[168:169], v[82:83], v[220:223]
	ds_read_u16 v168, v190 offset:288
	ds_read_u16 v169, v190 offset:816
	;; [unrolled: 1-line block ×4, first 2 shown]
	s_waitcnt lgkmcnt(2)
	v_perm_b32 v166, v169, v168, s96
	s_waitcnt lgkmcnt(0)
	v_perm_b32 v167, v171, v167, s96
	ds_read_u16 v171, v190 offset:17184
	ds_read_u16 v208, v190 offset:17712
	;; [unrolled: 1-line block ×4, first 2 shown]
	v_mfma_f32_16x16x16_f16 v[166:169], v[166:167], v[80:81], v[226:229]
	s_waitcnt lgkmcnt(0)
	v_perm_b32 v209, v210, v209, s96
	v_perm_b32 v208, v208, v171, s96
	v_cvt_f32_f16_e32 v226, v164
	s_nop 3
	v_cvt_f16_f32_e32 v165, v166
	v_cvt_f16_f32_e32 v167, v167
	;; [unrolled: 1-line block ×4, first 2 shown]
	v_cvt_f32_f16_e32 v166, v165
	v_cvt_f32_f16_e32 v167, v167
	v_cvt_f32_f16_e32 v168, v168
	v_cvt_f32_f16_e32 v169, v169
	v_cvt_f32_f16_sdwa v227, v164 dst_sel:DWORD dst_unused:UNUSED_PAD src0_sel:WORD_1
	v_cvt_f32_f16_e32 v228, v163
	v_mfma_f32_16x16x16_f16 v[166:169], v[208:209], v[82:83], v[166:169]
	ds_read_u16 v171, v190 offset:320
	ds_read_u16 v208, v190 offset:848
	;; [unrolled: 1-line block ×4, first 2 shown]
	v_cvt_f32_f16_sdwa v229, v163 dst_sel:DWORD dst_unused:UNUSED_PAD src0_sel:WORD_1
	s_waitcnt lgkmcnt(2)
	v_perm_b32 v164, v208, v171, s96
	s_waitcnt lgkmcnt(0)
	v_perm_b32 v165, v209, v165, s96
	ds_read_u16 v208, v190 offset:17216
	ds_read_u16 v209, v190 offset:17744
	;; [unrolled: 1-line block ×4, first 2 shown]
	v_mfma_f32_16x16x16_f16 v[226:229], v[164:165], v[80:81], v[226:229]
	s_nop 7
	v_cvt_f16_f32_e32 v164, v227
	v_cvt_f16_f32_e32 v165, v228
	;; [unrolled: 1-line block ×4, first 2 shown]
	v_cvt_f32_f16_e32 v227, v164
	v_cvt_f32_f16_e32 v228, v165
	s_waitcnt lgkmcnt(0)
	v_perm_b32 v165, v211, v210, s96
	v_perm_b32 v164, v209, v208, s96
	v_cvt_f32_f16_e32 v226, v163
	v_cvt_f32_f16_e32 v229, v171
	s_nop 1
	v_mfma_f32_16x16x16_f16 v[226:229], v[164:165], v[82:83], v[226:229]
	ds_read_u16 v164, v190 offset:352
	ds_read_u16 v165, v190 offset:880
	;; [unrolled: 1-line block ×4, first 2 shown]
	s_waitcnt lgkmcnt(2)
	v_perm_b32 v162, v165, v164, s96
	s_waitcnt lgkmcnt(0)
	v_perm_b32 v163, v171, v163, s96
	ds_read_u16 v171, v190 offset:17248
	ds_read_u16 v208, v190 offset:17776
	;; [unrolled: 1-line block ×4, first 2 shown]
	v_mfma_f32_16x16x16_f16 v[162:165], v[162:163], v[80:81], v[216:219]
	s_waitcnt lgkmcnt(0)
	v_perm_b32 v209, v210, v209, s96
	v_perm_b32 v208, v208, v171, s96
	v_cvt_f32_f16_e32 v216, v160
	s_nop 3
	v_cvt_f16_f32_e32 v161, v162
	v_cvt_f16_f32_e32 v163, v163
	;; [unrolled: 1-line block ×4, first 2 shown]
	v_cvt_f32_f16_e32 v162, v161
	v_cvt_f32_f16_e32 v163, v163
	;; [unrolled: 1-line block ×4, first 2 shown]
	v_cvt_f32_f16_sdwa v217, v160 dst_sel:DWORD dst_unused:UNUSED_PAD src0_sel:WORD_1
	v_cvt_f32_f16_e32 v218, v97
	v_mfma_f32_16x16x16_f16 v[162:165], v[208:209], v[82:83], v[162:165]
	ds_read_u16 v171, v190 offset:384
	ds_read_u16 v208, v190 offset:912
	;; [unrolled: 1-line block ×4, first 2 shown]
	v_cvt_f32_f16_sdwa v219, v97 dst_sel:DWORD dst_unused:UNUSED_PAD src0_sel:WORD_1
	s_waitcnt lgkmcnt(2)
	v_perm_b32 v160, v208, v171, s96
	s_waitcnt lgkmcnt(0)
	v_perm_b32 v161, v209, v161, s96
	ds_read_u16 v208, v190 offset:17280
	ds_read_u16 v209, v190 offset:17808
	;; [unrolled: 1-line block ×4, first 2 shown]
	v_mfma_f32_16x16x16_f16 v[216:219], v[160:161], v[80:81], v[216:219]
	s_nop 7
	v_cvt_f16_f32_e32 v160, v217
	v_cvt_f16_f32_e32 v161, v218
	;; [unrolled: 1-line block ×4, first 2 shown]
	v_cvt_f32_f16_e32 v217, v160
	v_cvt_f32_f16_e32 v218, v161
	s_waitcnt lgkmcnt(0)
	v_perm_b32 v161, v211, v210, s96
	v_perm_b32 v160, v209, v208, s96
	v_cvt_f32_f16_e32 v216, v97
	v_cvt_f32_f16_e32 v219, v171
	;; [unrolled: 1-line block ×3, first 2 shown]
	v_cvt_f32_f16_sdwa v211, v93 dst_sel:DWORD dst_unused:UNUSED_PAD src0_sel:WORD_1
	v_mfma_f32_16x16x16_f16 v[216:219], v[160:161], v[82:83], v[216:219]
	ds_read_u16 v160, v190 offset:416
	ds_read_u16 v161, v190 offset:944
	;; [unrolled: 1-line block ×4, first 2 shown]
	s_waitcnt lgkmcnt(2)
	v_perm_b32 v96, v161, v160, s96
	s_waitcnt lgkmcnt(0)
	v_perm_b32 v97, v171, v97, s96
	ds_read_u16 v161, v190 offset:17312
	ds_read_u16 v171, v190 offset:17840
	;; [unrolled: 1-line block ×4, first 2 shown]
	v_mfma_f32_16x16x16_f16 v[212:215], v[96:97], v[80:81], v[212:215]
	s_nop 7
	v_cvt_f16_f32_e32 v96, v213
	v_cvt_f16_f32_e32 v97, v214
	;; [unrolled: 1-line block ×4, first 2 shown]
	v_cvt_f32_f16_e32 v213, v96
	v_cvt_f32_f16_e32 v214, v97
	s_waitcnt lgkmcnt(0)
	v_perm_b32 v97, v209, v208, s96
	v_perm_b32 v96, v171, v161, s96
	v_cvt_f32_f16_e32 v212, v95
	v_cvt_f32_f16_e32 v215, v160
	v_cvt_f32_f16_e32 v208, v94
	v_cvt_f32_f16_sdwa v209, v94 dst_sel:DWORD dst_unused:UNUSED_PAD src0_sel:WORD_1
	v_mfma_f32_16x16x16_f16 v[212:215], v[96:97], v[82:83], v[212:215]
	ds_read_u16 v96, v190 offset:448
	ds_read_u16 v97, v190 offset:976
	;; [unrolled: 1-line block ×4, first 2 shown]
	s_waitcnt lgkmcnt(2)
	v_perm_b32 v94, v97, v96, s96
	s_waitcnt lgkmcnt(0)
	v_perm_b32 v95, v160, v95, s96
	s_nop 1
	v_mfma_f32_16x16x16_f16 v[94:97], v[94:95], v[80:81], v[208:211]
	ds_read_u16 v160, v190 offset:17344
	ds_read_u16 v171, v190 offset:17872
	;; [unrolled: 1-line block ×4, first 2 shown]
	v_cvt_f32_f16_sdwa v209, v92 dst_sel:DWORD dst_unused:UNUSED_PAD src0_sel:WORD_1
	v_cvt_f32_f16_e32 v210, v91
	s_nop 1
	v_cvt_f16_f32_e32 v93, v94
	v_cvt_f16_f32_e32 v95, v95
	;; [unrolled: 1-line block ×4, first 2 shown]
	s_waitcnt lgkmcnt(0)
	v_perm_b32 v161, v208, v161, s96
	v_perm_b32 v160, v171, v160, s96
	v_cvt_f32_f16_e32 v94, v93
	v_cvt_f32_f16_e32 v95, v95
	;; [unrolled: 1-line block ×5, first 2 shown]
	v_cvt_f32_f16_sdwa v211, v91 dst_sel:DWORD dst_unused:UNUSED_PAD src0_sel:WORD_1
	v_mfma_f32_16x16x16_f16 v[94:97], v[160:161], v[82:83], v[94:97]
	ds_read_u16 v160, v190 offset:480
	ds_read_u16 v161, v190 offset:1008
	;; [unrolled: 1-line block ×4, first 2 shown]
	s_waitcnt lgkmcnt(2)
	v_perm_b32 v92, v161, v160, s96
	s_waitcnt lgkmcnt(0)
	v_perm_b32 v93, v171, v93, s96
	s_nop 1
	v_mfma_f32_16x16x16_f16 v[208:211], v[92:93], v[80:81], v[208:211]
	ds_read_u16 v93, v190 offset:17376
	ds_read_u16 v160, v190 offset:17904
	;; [unrolled: 1-line block ×4, first 2 shown]
	s_waitcnt lgkmcnt(0)
	s_barrier
	s_nop 1
	v_cvt_f16_f32_e32 v80, v208
	v_cvt_f16_f32_e32 v81, v209
	;; [unrolled: 1-line block ×4, first 2 shown]
	v_cvt_f32_f16_e32 v208, v80
	v_cvt_f32_f16_e32 v209, v81
	v_perm_b32 v81, v171, v161, s96
	v_perm_b32 v80, v160, v93, s96
	v_cvt_f32_f16_e32 v210, v91
	v_cvt_f32_f16_e32 v211, v92
	v_cvt_pk_f16_f32 v92, v212, v213
	v_cvt_pk_f16_f32 v91, v214, v215
	v_mfma_f32_16x16x16_f16 v[80:83], v[80:81], v[82:83], v[208:211]
	v_cvt_pk_f16_f32 v93, v218, v219
	v_cvt_pk_f16_f32 v160, v226, v227
	;; [unrolled: 1-line block ×3, first 2 shown]
	s_nop 4
	v_cvt_pk_f16_f32 v80, v80, v81
	v_cvt_pk_f16_f32 v81, v82, v83
	;; [unrolled: 1-line block ×13, first 2 shown]
	s_cbranch_scc1 .LBB29_257
; %bb.258:                              ;   in Loop: Header=BB29_10 Depth=1
	s_lshl_b32 s62, s8, 6
	s_mov_b64 s[8:9], s[62:63]
	s_branch .LBB29_260
.LBB29_259:                             ;   in Loop: Header=BB29_10 Depth=1
	v_mov_b32_e32 v84, 0xfeffffff
	v_mov_b32_e32 v88, 0
	s_mov_b64 s[8:9], 0
	v_mov_b32_e32 v40, 0
	v_mov_b32_e32 v41, 0
	;; [unrolled: 1-line block ×32, first 2 shown]
.LBB29_260:                             ;   in Loop: Header=BB29_10 Depth=1
	v_mad_i64_i32 v[34:35], s[12:13], v90, s44, 0
	s_lshl_b64 s[12:13], s[8:9], 1
	s_nop 0
	v_lshl_add_u64 v[36:37], v[158:159], 0, s[12:13]
	v_lshl_add_u64 v[34:35], v[34:35], 1, v[36:37]
	v_lshlrev_b32_e32 v102, 1, v120
	v_lshl_add_u64 v[34:35], v[34:35], 0, v[102:103]
	global_load_dword v34, v[34:35], off
	s_mul_i32 s9, s8, s35
	s_mul_hi_u32 s12, s8, s34
	s_add_i32 s13, s12, s9
	s_mul_i32 s12, s8, s34
	s_lshl_b64 s[12:13], s[12:13], 2
	v_lshlrev_b32_e32 v102, 2, v100
	v_cmp_lt_i32_e32 vcc, v89, v86
	s_mul_i32 s9, s8, s39
	s_waitcnt vmcnt(0)
	ds_write_b32 v195, v34 offset:33792
	v_lshl_add_u64 v[34:35], v[156:157], 0, s[12:13]
	v_lshl_add_u64 v[36:37], v[104:105], 2, v[34:35]
	;; [unrolled: 1-line block ×7, first 2 shown]
	global_load_dwordx4 v[34:37], v[36:37], off
	v_lshl_add_u64 v[44:45], v[44:45], 0, v[102:103]
	v_lshl_add_u64 v[48:49], v[48:49], 0, v[102:103]
	s_mul_hi_u32 s12, s8, s38
	s_add_i32 s9, s12, s9
	s_mul_i32 s8, s8, s38
	s_lshl_b64 s[8:9], s[8:9], 2
	s_waitcnt vmcnt(0)
	ds_write_b128 v186, v[34:37]
	global_load_dwordx4 v[34:37], v[44:45], off
	v_add_u32_e32 v44, 0x4000, v188
	s_waitcnt vmcnt(0)
	ds_write_b128 v233, v[34:37]
	global_load_dwordx4 v[34:37], v[48:49], off
	s_waitcnt vmcnt(0)
	ds_write_b128 v234, v[34:37]
	global_load_dwordx4 v[34:37], v[52:53], off
	s_waitcnt vmcnt(0)
	ds_write_b128 v235, v[34:37]
	s_waitcnt lgkmcnt(0)
	s_barrier
	ds_read2_b64 v[34:37], v188 offset1:4
	s_waitcnt lgkmcnt(0)
	v_mfma_f32_16x16x16_f16 v[60:63], v[34:35], v[30:31], 0
	v_mfma_f32_16x16x16_f16 v[34:37], v[36:37], v[32:33], v[60:63]
	s_nop 6
	ds_read2_b64 v[60:63], v188 offset0:8 offset1:12
	s_waitcnt lgkmcnt(0)
	v_mfma_f32_16x16x16_f16 v[34:37], v[60:61], v[26:27], v[34:37]
	v_mfma_f32_16x16x16_f16 v[34:37], v[62:63], v[28:29], v[34:37]
	ds_read2_b64 v[60:63], v188 offset0:16 offset1:20
	s_waitcnt lgkmcnt(0)
	v_mfma_f32_16x16x16_f16 v[34:37], v[60:61], v[22:23], v[34:37]
	v_mfma_f32_16x16x16_f16 v[34:37], v[62:63], v[24:25], v[34:37]
	ds_read2_b64 v[60:63], v188 offset0:24 offset1:28
	s_waitcnt lgkmcnt(0)
	v_mfma_f32_16x16x16_f16 v[34:37], v[60:61], v[18:19], v[34:37]
	v_mfma_f32_16x16x16_f16 v[34:37], v[62:63], v[20:21], v[34:37]
	ds_read2_b64 v[60:63], v188 offset0:32 offset1:36
	s_waitcnt lgkmcnt(0)
	v_mfma_f32_16x16x16_f16 v[34:37], v[60:61], v[14:15], v[34:37]
	v_mfma_f32_16x16x16_f16 v[34:37], v[62:63], v[16:17], v[34:37]
	ds_read2_b64 v[60:63], v188 offset0:40 offset1:44
	s_waitcnt lgkmcnt(0)
	v_mfma_f32_16x16x16_f16 v[34:37], v[60:61], v[10:11], v[34:37]
	v_mfma_f32_16x16x16_f16 v[34:37], v[62:63], v[12:13], v[34:37]
	ds_read2_b64 v[60:63], v188 offset0:48 offset1:52
	s_waitcnt lgkmcnt(0)
	v_mfma_f32_16x16x16_f16 v[34:37], v[60:61], v[6:7], v[34:37]
	v_mfma_f32_16x16x16_f16 v[34:37], v[62:63], v[8:9], v[34:37]
	ds_read2_b64 v[60:63], v188 offset0:56 offset1:60
	s_waitcnt lgkmcnt(0)
	v_mfma_f32_16x16x16_f16 v[34:37], v[60:61], v[2:3], v[34:37]
	v_mfma_f32_16x16x16_f16 v[34:37], v[62:63], v[4:5], v[34:37]
	ds_read2_b64 v[60:63], v44 offset0:64 offset1:68
	s_waitcnt lgkmcnt(0)
	v_mfma_f32_16x16x16_f16 v[64:67], v[60:61], v[30:31], 0
	v_mfma_f32_16x16x16_f16 v[30:33], v[62:63], v[32:33], v[64:67]
	ds_read2_b64 v[60:63], v44 offset0:72 offset1:76
	s_waitcnt lgkmcnt(0)
	v_mfma_f32_16x16x16_f16 v[30:33], v[60:61], v[26:27], v[30:33]
	v_mfma_f32_16x16x16_f16 v[26:29], v[62:63], v[28:29], v[30:33]
	s_nop 6
	ds_read2_b64 v[30:33], v44 offset0:80 offset1:84
	s_waitcnt lgkmcnt(0)
	v_mfma_f32_16x16x16_f16 v[26:29], v[30:31], v[22:23], v[26:29]
	v_mfma_f32_16x16x16_f16 v[22:25], v[32:33], v[24:25], v[26:29]
	s_nop 6
	ds_read2_b64 v[26:29], v44 offset0:88 offset1:92
	s_waitcnt lgkmcnt(0)
	v_mfma_f32_16x16x16_f16 v[22:25], v[26:27], v[18:19], v[22:25]
	v_mfma_f32_16x16x16_f16 v[18:21], v[28:29], v[20:21], v[22:25]
	;; [unrolled: 5-line block ×5, first 2 shown]
	s_nop 6
	ds_read2_b64 v[10:13], v44 offset0:120 offset1:124
	s_waitcnt lgkmcnt(0)
	v_mfma_f32_16x16x16_f16 v[6:9], v[10:11], v[2:3], v[6:9]
	v_add_u32_e32 v2, 0x8400, v189
	s_barrier
	ds_read2_b32 v[2:3], v2 offset1:1
	v_mfma_f32_16x16x16_f16 v[10:13], v[12:13], v[4:5], v[6:9]
	s_waitcnt lgkmcnt(0)
	v_cvt_f32_f16_e32 v4, v2
	v_cvt_f32_f16_sdwa v2, v2 dst_sel:DWORD dst_unused:UNUSED_PAD src0_sel:WORD_1
	s_nop 0
	v_add_f32_e32 v6, v34, v4
	v_add_f32_e32 v7, v35, v2
	v_cvt_f32_f16_e32 v2, v3
	v_cvt_f32_f16_sdwa v3, v3 dst_sel:DWORD dst_unused:UNUSED_PAD src0_sel:WORD_1
	v_add_f32_e32 v8, v36, v2
	ds_read_b32 v2, v196 offset:33792
	v_add_f32_e32 v9, v37, v3
	s_waitcnt lgkmcnt(0)
	v_cvt_f32_f16_e32 v3, v2
	v_cvt_f32_f16_sdwa v2, v2 dst_sel:DWORD dst_unused:UNUSED_PAD src0_sel:WORD_1
	v_add_f32_e32 v5, v10, v3
	v_add_f32_e32 v4, v11, v2
	ds_read_b32 v2, v197 offset:33792
	v_add_f32_e32 v10, 0x40051340, v6
	v_add_f32_e32 v11, 0x40051340, v7
	v_max3_f32 v10, v84, v10, v11
	v_add_f32_e32 v11, 0x40051340, v8
	s_waitcnt lgkmcnt(0)
	v_cvt_f32_f16_e32 v3, v2
	v_cvt_f32_f16_sdwa v2, v2 dst_sel:DWORD dst_unused:UNUSED_PAD src0_sel:WORD_1
	v_add_f32_e32 v3, v12, v3
	v_add_f32_e32 v12, 0x40051340, v9
	v_add_f32_e32 v2, v13, v2
	v_max3_f32 v10, v10, v11, v12
	v_add_f32_e32 v11, 0x40051340, v5
	v_add_f32_e32 v12, 0x40051340, v4
	v_max3_f32 v10, v10, v11, v12
	v_add_f32_e32 v11, 0x40051340, v3
	v_add_f32_e32 v12, 0x40051340, v2
	v_max3_f32 v10, v10, v11, v12
	v_cndmask_b32_e32 v11, v85, v89, vcc
	v_lshlrev_b32_e32 v37, 2, v11
	ds_bpermute_b32 v11, v37, v10
	v_cmp_lt_i32_e32 vcc, v87, v86
	s_waitcnt lgkmcnt(0)
	v_max_f32_e32 v11, v11, v11
	v_max_f32_e32 v10, v10, v11
	v_cndmask_b32_e32 v11, v85, v87, vcc
	v_lshlrev_b32_e32 v44, 2, v11
	ds_bpermute_b32 v11, v44, v10
	s_waitcnt lgkmcnt(0)
	v_max_f32_e32 v11, v11, v11
	v_max_f32_e32 v36, v10, v11
	v_sub_f32_e32 v6, v6, v36
	v_mul_f32_e32 v10, 0x3fb8aa3b, v6
	v_fma_f32 v11, v6, s45, -v10
	v_rndne_f32_e32 v12, v10
	v_fmac_f32_e32 v11, 0x32a5705f, v6
	v_sub_f32_e32 v10, v10, v12
	v_add_f32_e32 v10, v10, v11
	v_exp_f32_e32 v10, v10
	v_cvt_i32_f32_e32 v11, v12
	v_cmp_ngt_f32_e32 vcc, s69, v6
	v_sub_f32_e32 v7, v7, v36
	v_sub_f32_e32 v8, v8, v36
	v_ldexp_f32 v10, v10, v11
	v_cndmask_b32_e32 v10, 0, v10, vcc
	v_cmp_nlt_f32_e32 vcc, s94, v6
	v_sub_f32_e32 v9, v9, v36
	v_sub_f32_e32 v5, v5, v36
	v_cndmask_b32_e32 v6, v230, v10, vcc
	v_mul_f32_e32 v10, 0x3fb8aa3b, v7
	v_fma_f32 v11, v7, s45, -v10
	v_rndne_f32_e32 v12, v10
	v_fmac_f32_e32 v11, 0x32a5705f, v7
	v_sub_f32_e32 v10, v10, v12
	v_add_f32_e32 v10, v10, v11
	v_exp_f32_e32 v10, v10
	v_cvt_i32_f32_e32 v11, v12
	v_cmp_ngt_f32_e32 vcc, s69, v7
	v_sub_f32_e32 v4, v4, v36
	v_sub_f32_e32 v3, v3, v36
	v_ldexp_f32 v10, v10, v11
	v_mul_f32_e32 v11, 0x3fb8aa3b, v8
	v_fma_f32 v12, v8, s45, -v11
	v_rndne_f32_e32 v13, v11
	v_fmac_f32_e32 v12, 0x32a5705f, v8
	v_sub_f32_e32 v11, v11, v13
	v_add_f32_e32 v11, v11, v12
	v_exp_f32_e32 v11, v11
	v_cvt_i32_f32_e32 v12, v13
	v_cndmask_b32_e32 v10, 0, v10, vcc
	v_cmp_nlt_f32_e32 vcc, s94, v7
	v_sub_f32_e32 v2, v2, v36
	v_ldexp_f32 v11, v11, v12
	v_cndmask_b32_e32 v7, v230, v10, vcc
	v_cmp_ngt_f32_e32 vcc, s69, v8
	v_add_f32_e32 v10, v6, v7
	s_nop 0
	v_cndmask_b32_e32 v11, 0, v11, vcc
	v_cmp_nlt_f32_e32 vcc, s94, v8
	s_nop 1
	v_cndmask_b32_e32 v8, v230, v11, vcc
	v_mul_f32_e32 v11, 0x3fb8aa3b, v9
	v_fma_f32 v12, v9, s45, -v11
	v_rndne_f32_e32 v13, v11
	v_fmac_f32_e32 v12, 0x32a5705f, v9
	v_sub_f32_e32 v11, v11, v13
	v_add_f32_e32 v11, v11, v12
	v_exp_f32_e32 v11, v11
	v_cvt_i32_f32_e32 v12, v13
	v_cmp_ngt_f32_e32 vcc, s69, v9
	v_add_f32_e32 v10, v8, v10
	v_ldexp_f32 v11, v11, v12
	v_cndmask_b32_e32 v11, 0, v11, vcc
	v_cmp_nlt_f32_e32 vcc, s94, v9
	s_nop 1
	v_cndmask_b32_e32 v9, v230, v11, vcc
	v_mul_f32_e32 v11, 0x3fb8aa3b, v5
	v_fma_f32 v12, v5, s45, -v11
	v_rndne_f32_e32 v13, v11
	v_fmac_f32_e32 v12, 0x32a5705f, v5
	v_sub_f32_e32 v11, v11, v13
	v_add_f32_e32 v11, v11, v12
	v_exp_f32_e32 v11, v11
	v_cvt_i32_f32_e32 v12, v13
	v_cmp_ngt_f32_e32 vcc, s69, v5
	v_add_f32_e32 v10, v9, v10
	v_ldexp_f32 v11, v11, v12
	v_cndmask_b32_e32 v11, 0, v11, vcc
	v_cmp_nlt_f32_e32 vcc, s94, v5
	s_nop 1
	v_cndmask_b32_e32 v34, v230, v11, vcc
	v_add_f32_e32 v5, v34, v10
	v_mul_f32_e32 v10, 0x3fb8aa3b, v4
	v_fma_f32 v11, v4, s45, -v10
	v_rndne_f32_e32 v12, v10
	v_fmac_f32_e32 v11, 0x32a5705f, v4
	v_sub_f32_e32 v10, v10, v12
	v_add_f32_e32 v10, v10, v11
	v_exp_f32_e32 v10, v10
	v_cvt_i32_f32_e32 v11, v12
	v_cmp_ngt_f32_e32 vcc, s69, v4
	v_ldexp_f32 v10, v10, v11
	s_nop 0
	v_cndmask_b32_e32 v10, 0, v10, vcc
	v_cmp_nlt_f32_e32 vcc, s94, v4
	s_nop 1
	v_cndmask_b32_e32 v52, v230, v10, vcc
	v_add_f32_e32 v4, v52, v5
	v_mul_f32_e32 v5, 0x3fb8aa3b, v3
	v_fma_f32 v10, v3, s45, -v5
	v_rndne_f32_e32 v11, v5
	v_fmac_f32_e32 v10, 0x32a5705f, v3
	v_sub_f32_e32 v5, v5, v11
	v_add_f32_e32 v5, v5, v10
	v_exp_f32_e32 v5, v5
	v_cvt_i32_f32_e32 v10, v11
	v_cmp_ngt_f32_e32 vcc, s69, v3
	v_cvt_pk_f16_f32 v34, v34, v52
	v_ldexp_f32 v5, v5, v10
	v_cndmask_b32_e32 v5, 0, v5, vcc
	v_cmp_nlt_f32_e32 vcc, s94, v3
	s_nop 1
	v_cndmask_b32_e32 v35, v230, v5, vcc
	v_add_f32_e32 v3, v35, v4
	v_mul_f32_e32 v4, 0x3fb8aa3b, v2
	v_fma_f32 v5, v2, s45, -v4
	v_rndne_f32_e32 v10, v4
	v_fmac_f32_e32 v5, 0x32a5705f, v2
	v_sub_f32_e32 v4, v4, v10
	v_add_f32_e32 v4, v4, v5
	v_exp_f32_e32 v4, v4
	v_cvt_i32_f32_e32 v5, v10
	v_cmp_ngt_f32_e32 vcc, s69, v2
	v_ldexp_f32 v4, v4, v5
	s_nop 0
	v_cndmask_b32_e32 v4, 0, v4, vcc
	v_cmp_nlt_f32_e32 vcc, s94, v2
	v_sub_f32_e32 v2, v84, v36
	s_nop 0
	v_cndmask_b32_e32 v53, v230, v4, vcc
	v_add_f32_e32 v45, v53, v3
	v_mul_f32_e32 v3, 0x3fb8aa3b, v2
	v_fma_f32 v4, v2, s45, -v3
	v_rndne_f32_e32 v5, v3
	v_fmac_f32_e32 v4, 0x32a5705f, v2
	v_sub_f32_e32 v3, v3, v5
	v_add_f32_e32 v3, v3, v4
	v_exp_f32_e32 v3, v3
	v_cvt_i32_f32_e32 v4, v5
	v_cmp_ngt_f32_e32 vcc, s69, v2
	v_cvt_pk_f16_f32 v35, v35, v53
	v_ldexp_f32 v3, v3, v4
	v_cndmask_b32_e32 v3, 0, v3, vcc
	v_cmp_nlt_f32_e32 vcc, s94, v2
	s_nop 1
	v_cndmask_b32_e32 v3, v230, v3, vcc
	v_cmp_le_f32_e32 vcc, s95, v2
	s_nop 1
	v_cndmask_b32_e32 v2, 0, v3, vcc
	v_fmac_f32_e32 v45, v88, v2
	v_cvt_f16_f32_e32 v2, v2
	v_cmp_ne_u64_e32 vcc, 0, v[152:153]
	s_and_b64 s[12:13], s[0:1], vcc
	v_mul_u32_u24_e32 v2, 0x10001, v2
	v_pk_mul_f16 v56, v41, v2
	v_pk_mul_f16 v40, v40, v2
	;; [unrolled: 1-line block ×32, first 2 shown]
	v_lshl_add_u64 v[2:3], v[154:155], 0, s[8:9]
	v_lshl_add_u64 v[4:5], v[112:113], 2, v[2:3]
	v_lshl_add_u64 v[4:5], v[4:5], 0, v[102:103]
	v_lshl_add_u64 v[38:39], v[114:115], 2, v[2:3]
	v_lshl_add_u64 v[46:47], v[116:117], 2, v[2:3]
	v_lshl_add_u64 v[2:3], v[118:119], 2, v[2:3]
	v_lshl_add_u64 v[54:55], v[2:3], 0, v[102:103]
	global_load_dwordx4 v[2:5], v[4:5], off
	v_lshl_add_u64 v[38:39], v[38:39], 0, v[102:103]
	v_lshl_add_u64 v[46:47], v[46:47], 0, v[102:103]
	v_cvt_f32_f16_e32 v58, v11
	v_cvt_f32_f16_sdwa v59, v11 dst_sel:DWORD dst_unused:UNUSED_PAD src0_sel:WORD_1
	v_cvt_f32_f16_e32 v60, v10
	v_cvt_f32_f16_sdwa v61, v10 dst_sel:DWORD dst_unused:UNUSED_PAD src0_sel:WORD_1
	v_cvt_f32_f16_e32 v62, v13
	v_cvt_f32_f16_sdwa v63, v13 dst_sel:DWORD dst_unused:UNUSED_PAD src0_sel:WORD_1
	v_cvt_f32_f16_e32 v64, v12
	v_cvt_f32_f16_sdwa v65, v12 dst_sel:DWORD dst_unused:UNUSED_PAD src0_sel:WORD_1
	v_cvt_f32_f16_e32 v66, v15
	v_cvt_f32_f16_sdwa v67, v15 dst_sel:DWORD dst_unused:UNUSED_PAD src0_sel:WORD_1
	v_cvt_f32_f16_e32 v68, v14
	v_cvt_f32_f16_sdwa v69, v14 dst_sel:DWORD dst_unused:UNUSED_PAD src0_sel:WORD_1
	v_cvt_f32_f16_e32 v70, v17
	v_cvt_f32_f16_sdwa v71, v17 dst_sel:DWORD dst_unused:UNUSED_PAD src0_sel:WORD_1
	v_cvt_f32_f16_e32 v72, v16
	v_cvt_f32_f16_sdwa v73, v16 dst_sel:DWORD dst_unused:UNUSED_PAD src0_sel:WORD_1
	v_cvt_f32_f16_e32 v74, v18
	v_cvt_f32_f16_sdwa v75, v18 dst_sel:DWORD dst_unused:UNUSED_PAD src0_sel:WORD_1
	v_cvt_f32_f16_e32 v76, v21
	v_cvt_f32_f16_sdwa v77, v21 dst_sel:DWORD dst_unused:UNUSED_PAD src0_sel:WORD_1
	v_cvt_f32_f16_e32 v78, v20
	v_cvt_f32_f16_sdwa v79, v20 dst_sel:DWORD dst_unused:UNUSED_PAD src0_sel:WORD_1
	v_cvt_f32_f16_e32 v80, v22
	v_cvt_f32_f16_sdwa v81, v22 dst_sel:DWORD dst_unused:UNUSED_PAD src0_sel:WORD_1
	v_cvt_f32_f16_e32 v82, v24
	v_cvt_f32_f16_sdwa v83, v24 dst_sel:DWORD dst_unused:UNUSED_PAD src0_sel:WORD_1
	v_cvt_f32_f16_e32 v84, v26
	v_cvt_f32_f16_sdwa v85, v26 dst_sel:DWORD dst_unused:UNUSED_PAD src0_sel:WORD_1
	v_cvt_f32_f16_e32 v86, v28
	v_cvt_f32_f16_sdwa v87, v28 dst_sel:DWORD dst_unused:UNUSED_PAD src0_sel:WORD_1
	v_cvt_f32_f16_e32 v88, v30
	v_cvt_f32_f16_sdwa v89, v30 dst_sel:DWORD dst_unused:UNUSED_PAD src0_sel:WORD_1
	v_cvt_f32_f16_e32 v90, v32
	v_cvt_f32_f16_sdwa v91, v32 dst_sel:DWORD dst_unused:UNUSED_PAD src0_sel:WORD_1
	v_cvt_f32_f16_e32 v92, v49
	v_cvt_f32_f16_sdwa v93, v49 dst_sel:DWORD dst_unused:UNUSED_PAD src0_sel:WORD_1
	s_waitcnt vmcnt(0)
	ds_write_b128 v186, v[2:5]
	global_load_dwordx4 v[2:5], v[38:39], off
	s_waitcnt vmcnt(0)
	ds_write_b128 v233, v[2:5]
	global_load_dwordx4 v[2:5], v[46:47], off
	;; [unrolled: 3-line block ×3, first 2 shown]
	s_waitcnt vmcnt(0)
	ds_write_b128 v235, v[2:5]
	s_waitcnt lgkmcnt(0)
	s_barrier
	ds_read_u16 v38, v190 offset:528
	ds_read_u16 v39, v190 offset:1056
	v_cvt_f32_f16_e32 v4, v40
	v_cvt_f32_f16_sdwa v5, v40 dst_sel:DWORD dst_unused:UNUSED_PAD src0_sel:WORD_1
	ds_read_u16 v40, v191
	ds_read_u16 v51, v191 offset:32
	v_cvt_f32_f16_e32 v2, v56
	v_cvt_f32_f16_sdwa v3, v56 dst_sel:DWORD dst_unused:UNUSED_PAD src0_sel:WORD_1
	s_waitcnt lgkmcnt(1)
	v_perm_b32 v47, v40, v39, s96
	ds_read_u16 v39, v190
	ds_read_u16 v54, v190 offset:32
	s_waitcnt lgkmcnt(1)
	v_perm_b32 v46, v38, v39, s96
	v_cvt_pk_f16_f32 v39, v8, v9
	v_cvt_pk_f16_f32 v38, v6, v7
	ds_read_u16 v6, v190 offset:16896
	ds_read_u16 v8, v190 offset:17424
	;; [unrolled: 1-line block ×4, first 2 shown]
	v_mfma_f32_16x16x16_f16 v[2:5], v[46:47], v[38:39], v[2:5]
	s_waitcnt lgkmcnt(2)
	v_perm_b32 v6, v8, v6, s96
	s_waitcnt lgkmcnt(0)
	v_perm_b32 v7, v9, v7, s96
	ds_read_u16 v8, v190 offset:560
	ds_read_u16 v9, v190 offset:1088
	s_nop 1
	v_cvt_f16_f32_e32 v2, v2
	v_cvt_f16_f32_e32 v3, v3
	v_cvt_f16_f32_e32 v4, v4
	v_cvt_f16_f32_e32 v5, v5
	v_cvt_f32_f16_e32 v2, v2
	v_cvt_f32_f16_e32 v3, v3
	;; [unrolled: 1-line block ×4, first 2 shown]
	s_waitcnt lgkmcnt(0)
	v_perm_b32 v9, v51, v9, s96
	v_perm_b32 v8, v8, v54, s96
	v_mfma_f32_16x16x16_f16 v[2:5], v[6:7], v[34:35], v[2:5]
	v_cvt_f32_f16_e32 v6, v41
	v_cvt_f32_f16_sdwa v7, v41 dst_sel:DWORD dst_unused:UNUSED_PAD src0_sel:WORD_1
	s_nop 5
	v_cvt_f16_f32_e32 v4, v4
	v_cvt_f16_f32_e32 v5, v5
	;; [unrolled: 1-line block ×4, first 2 shown]
	v_perm_b32 v40, v5, v4, s96
	v_cvt_f32_f16_e32 v4, v48
	v_cvt_f32_f16_sdwa v5, v48 dst_sel:DWORD dst_unused:UNUSED_PAD src0_sel:WORD_1
	v_perm_b32 v46, v47, v46, s96
	s_nop 0
	v_mfma_f32_16x16x16_f16 v[4:7], v[8:9], v[38:39], v[4:7]
	ds_read_u16 v8, v190 offset:16928
	ds_read_u16 v41, v190 offset:17456
	;; [unrolled: 1-line block ×4, first 2 shown]
	s_nop 3
	v_cvt_f16_f32_e32 v4, v4
	v_cvt_f16_f32_e32 v5, v5
	;; [unrolled: 1-line block ×4, first 2 shown]
	s_waitcnt lgkmcnt(0)
	v_perm_b32 v9, v48, v9, s96
	v_perm_b32 v8, v41, v8, s96
	v_cvt_f32_f16_e32 v4, v4
	v_cvt_f32_f16_e32 v5, v5
	;; [unrolled: 1-line block ×4, first 2 shown]
	ds_read_u16 v48, v190 offset:64
	ds_read_u16 v51, v190 offset:592
	;; [unrolled: 1-line block ×4, first 2 shown]
	v_mfma_f32_16x16x16_f16 v[4:7], v[8:9], v[34:35], v[4:7]
	v_cvt_f32_f16_e32 v8, v42
	v_cvt_f32_f16_sdwa v9, v42 dst_sel:DWORD dst_unused:UNUSED_PAD src0_sel:WORD_1
	s_waitcnt lgkmcnt(2)
	v_perm_b32 v42, v51, v48, s96
	s_nop 3
	v_cvt_f16_f32_e32 v6, v6
	v_cvt_f16_f32_e32 v7, v7
	;; [unrolled: 1-line block ×4, first 2 shown]
	v_perm_b32 v41, v7, v6, s96
	v_cvt_f32_f16_e32 v6, v43
	v_cvt_f32_f16_sdwa v7, v43 dst_sel:DWORD dst_unused:UNUSED_PAD src0_sel:WORD_1
	s_waitcnt lgkmcnt(0)
	v_perm_b32 v43, v55, v54, s96
	v_perm_b32 v52, v53, v52, s96
	s_nop 0
	v_mfma_f32_16x16x16_f16 v[6:9], v[42:43], v[38:39], v[6:9]
	ds_read_u16 v42, v190 offset:16960
	ds_read_u16 v48, v190 offset:17488
	;; [unrolled: 1-line block ×4, first 2 shown]
	s_nop 3
	v_cvt_f16_f32_e32 v6, v6
	v_cvt_f16_f32_e32 v7, v7
	;; [unrolled: 1-line block ×4, first 2 shown]
	s_waitcnt lgkmcnt(0)
	v_perm_b32 v43, v51, v43, s96
	v_perm_b32 v42, v48, v42, s96
	v_cvt_f32_f16_e32 v6, v6
	v_cvt_f32_f16_e32 v7, v7
	v_cvt_f32_f16_e32 v8, v8
	v_cvt_f32_f16_e32 v9, v9
	s_nop 1
	v_mfma_f32_16x16x16_f16 v[6:9], v[42:43], v[34:35], v[6:9]
	s_nop 7
	v_cvt_f16_f32_e32 v8, v8
	v_cvt_f16_f32_e32 v9, v9
	v_cvt_f16_f32_e32 v56, v6
	v_cvt_f16_f32_e32 v57, v7
	v_perm_b32 v43, v9, v8, s96
	ds_read_u16 v8, v190 offset:96
	ds_read_u16 v42, v190 offset:624
	ds_read_u16 v9, v190 offset:1152
	ds_read_u16 v48, v191 offset:96
	v_perm_b32 v56, v57, v56, s96
	s_waitcnt lgkmcnt(2)
	v_perm_b32 v8, v42, v8, s96
	s_waitcnt lgkmcnt(0)
	v_perm_b32 v9, v48, v9, s96
	ds_read_u16 v42, v190 offset:16992
	ds_read_u16 v48, v190 offset:17520
	ds_read_u16 v51, v190 offset:18048
	ds_read_u16 v54, v191 offset:16992
	v_mfma_f32_16x16x16_f16 v[8:11], v[8:9], v[38:39], v[58:61]
	s_waitcnt lgkmcnt(0)
	v_perm_b32 v55, v54, v51, s96
	v_perm_b32 v54, v48, v42, s96
	s_nop 4
	v_cvt_f16_f32_e32 v8, v8
	v_cvt_f16_f32_e32 v9, v9
	v_cvt_f16_f32_e32 v10, v10
	v_cvt_f16_f32_e32 v11, v11
	v_cvt_f32_f16_e32 v8, v8
	v_cvt_f32_f16_e32 v9, v9
	v_cvt_f32_f16_e32 v10, v10
	v_cvt_f32_f16_e32 v11, v11
	s_nop 1
	v_mfma_f32_16x16x16_f16 v[8:11], v[54:55], v[34:35], v[8:11]
	s_nop 7
	v_cvt_f16_f32_e32 v10, v10
	v_cvt_f16_f32_e32 v11, v11
	v_cvt_f16_f32_e32 v60, v8
	v_cvt_f16_f32_e32 v61, v9
	v_perm_b32 v51, v11, v10, s96
	ds_read_u16 v10, v190 offset:128
	ds_read_u16 v42, v190 offset:656
	ds_read_u16 v11, v190 offset:1184
	ds_read_u16 v48, v191 offset:128
	v_perm_b32 v60, v61, v60, s96
	s_waitcnt lgkmcnt(2)
	v_perm_b32 v10, v42, v10, s96
	s_waitcnt lgkmcnt(0)
	v_perm_b32 v11, v48, v11, s96
	ds_read_u16 v42, v190 offset:17024
	ds_read_u16 v48, v190 offset:17552
	ds_read_u16 v54, v190 offset:18080
	ds_read_u16 v55, v191 offset:17024
	v_mfma_f32_16x16x16_f16 v[10:13], v[10:11], v[38:39], v[62:65]
	s_waitcnt lgkmcnt(0)
	v_perm_b32 v55, v55, v54, s96
	v_perm_b32 v54, v48, v42, s96
	s_nop 4
	v_cvt_f16_f32_e32 v10, v10
	v_cvt_f16_f32_e32 v11, v11
	v_cvt_f16_f32_e32 v12, v12
	v_cvt_f16_f32_e32 v13, v13
	;; [unrolled: 34-line block ×3, first 2 shown]
	v_cvt_f32_f16_e32 v12, v12
	v_cvt_f32_f16_e32 v13, v13
	;; [unrolled: 1-line block ×4, first 2 shown]
	s_nop 1
	v_mfma_f32_16x16x16_f16 v[12:15], v[58:59], v[34:35], v[12:15]
	s_nop 7
	v_cvt_f16_f32_e32 v14, v14
	v_cvt_f16_f32_e32 v15, v15
	;; [unrolled: 1-line block ×4, first 2 shown]
	v_perm_b32 v59, v15, v14, s96
	ds_read_u16 v14, v190 offset:192
	ds_read_u16 v42, v190 offset:720
	;; [unrolled: 1-line block ×4, first 2 shown]
	v_perm_b32 v67, v68, v67, s96
	s_waitcnt lgkmcnt(2)
	v_perm_b32 v14, v42, v14, s96
	s_waitcnt lgkmcnt(0)
	v_perm_b32 v15, v48, v15, s96
	ds_read_u16 v42, v190 offset:17088
	ds_read_u16 v48, v190 offset:17616
	;; [unrolled: 1-line block ×4, first 2 shown]
	v_mfma_f32_16x16x16_f16 v[14:17], v[14:15], v[38:39], v[70:73]
	s_waitcnt lgkmcnt(0)
	v_perm_b32 v63, v58, v54, s96
	v_perm_b32 v62, v48, v42, s96
	v_cvt_f32_f16_e32 v72, v19
	s_nop 3
	v_cvt_f16_f32_e32 v14, v14
	v_cvt_f16_f32_e32 v15, v15
	;; [unrolled: 1-line block ×4, first 2 shown]
	v_cvt_f32_f16_e32 v14, v14
	v_cvt_f32_f16_e32 v15, v15
	;; [unrolled: 1-line block ×4, first 2 shown]
	v_cvt_f32_f16_sdwa v73, v19 dst_sel:DWORD dst_unused:UNUSED_PAD src0_sel:WORD_1
	s_nop 0
	v_mfma_f32_16x16x16_f16 v[14:17], v[62:63], v[34:35], v[14:17]
	s_nop 7
	v_cvt_f16_f32_e32 v16, v16
	v_cvt_f16_f32_e32 v17, v17
	;; [unrolled: 1-line block ×4, first 2 shown]
	v_perm_b32 v63, v17, v16, s96
	ds_read_u16 v16, v190 offset:224
	ds_read_u16 v42, v190 offset:752
	ds_read_u16 v17, v190 offset:1280
	ds_read_u16 v48, v191 offset:224
	v_perm_b32 v70, v71, v70, s96
	s_waitcnt lgkmcnt(2)
	v_perm_b32 v16, v42, v16, s96
	s_waitcnt lgkmcnt(0)
	v_perm_b32 v17, v48, v17, s96
	s_nop 1
	v_mfma_f32_16x16x16_f16 v[72:75], v[16:17], v[38:39], v[72:75]
	ds_read_u16 v16, v190 offset:17120
	ds_read_u16 v17, v190 offset:17648
	;; [unrolled: 1-line block ×4, first 2 shown]
	s_nop 3
	v_cvt_f16_f32_e32 v18, v72
	v_cvt_f16_f32_e32 v19, v73
	v_cvt_f16_f32_e32 v42, v74
	v_cvt_f16_f32_e32 v48, v75
	v_cvt_f32_f16_e32 v72, v18
	v_cvt_f32_f16_e32 v73, v19
	s_waitcnt lgkmcnt(0)
	v_perm_b32 v19, v58, v54, s96
	v_perm_b32 v18, v17, v16, s96
	v_cvt_f32_f16_e32 v74, v42
	v_cvt_f32_f16_e32 v75, v48
	s_nop 1
	v_mfma_f32_16x16x16_f16 v[16:19], v[18:19], v[34:35], v[72:75]
	s_nop 7
	v_cvt_f16_f32_e32 v18, v18
	v_cvt_f16_f32_e32 v19, v19
	v_cvt_f16_f32_e32 v73, v16
	v_cvt_f16_f32_e32 v74, v17
	v_perm_b32 v72, v19, v18, s96
	ds_read_u16 v18, v190 offset:256
	ds_read_u16 v42, v190 offset:784
	ds_read_u16 v19, v190 offset:1312
	ds_read_u16 v48, v191 offset:256
	v_perm_b32 v73, v74, v73, s96
	s_waitcnt lgkmcnt(2)
	v_perm_b32 v18, v42, v18, s96
	s_waitcnt lgkmcnt(0)
	v_perm_b32 v19, v48, v19, s96
	ds_read_u16 v42, v190 offset:17152
	ds_read_u16 v48, v190 offset:17680
	ds_read_u16 v54, v190 offset:18208
	ds_read_u16 v58, v191 offset:17152
	v_mfma_f32_16x16x16_f16 v[18:21], v[18:19], v[38:39], v[76:79]
	s_waitcnt lgkmcnt(0)
	s_nop 1
	v_perm_b32 v77, v58, v54, s96
	v_perm_b32 v76, v48, v42, s96
	v_cvt_f32_f16_e32 v78, v23
	s_nop 1
	v_cvt_f16_f32_e32 v18, v18
	v_cvt_f16_f32_e32 v19, v19
	v_cvt_f16_f32_e32 v20, v20
	v_cvt_f16_f32_e32 v21, v21
	v_cvt_f32_f16_e32 v18, v18
	v_cvt_f32_f16_e32 v19, v19
	v_cvt_f32_f16_e32 v20, v20
	v_cvt_f32_f16_e32 v21, v21
	v_cvt_f32_f16_sdwa v79, v23 dst_sel:DWORD dst_unused:UNUSED_PAD src0_sel:WORD_1
	s_nop 0
	v_mfma_f32_16x16x16_f16 v[18:21], v[76:77], v[34:35], v[18:21]
	s_nop 7
	v_cvt_f16_f32_e32 v20, v20
	v_cvt_f16_f32_e32 v21, v21
	v_cvt_f16_f32_e32 v75, v18
	v_cvt_f16_f32_e32 v76, v19
	v_perm_b32 v42, v21, v20, s96
	ds_read_u16 v20, v190 offset:288
	ds_read_u16 v48, v190 offset:816
	ds_read_u16 v21, v190 offset:1344
	ds_read_u16 v54, v191 offset:288
	v_perm_b32 v75, v76, v75, s96
	s_waitcnt lgkmcnt(2)
	v_perm_b32 v20, v48, v20, s96
	s_waitcnt lgkmcnt(0)
	v_perm_b32 v21, v54, v21, s96
	ds_read_u16 v48, v190 offset:17184
	ds_read_u16 v54, v190 offset:17712
	ds_read_u16 v58, v190 offset:18240
	ds_read_u16 v62, v191 offset:17184
	v_mfma_f32_16x16x16_f16 v[20:23], v[20:21], v[38:39], v[78:81]
	s_waitcnt lgkmcnt(0)
	s_nop 1
	v_perm_b32 v79, v62, v58, s96
	v_perm_b32 v78, v54, v48, s96
	v_cvt_f32_f16_e32 v80, v25
	s_nop 1
	v_cvt_f16_f32_e32 v20, v20
	v_cvt_f16_f32_e32 v21, v21
	v_cvt_f16_f32_e32 v22, v22
	v_cvt_f16_f32_e32 v23, v23
	v_cvt_f32_f16_e32 v20, v20
	v_cvt_f32_f16_e32 v21, v21
	v_cvt_f32_f16_e32 v22, v22
	v_cvt_f32_f16_e32 v23, v23
	v_cvt_f32_f16_sdwa v81, v25 dst_sel:DWORD dst_unused:UNUSED_PAD src0_sel:WORD_1
	s_nop 0
	v_mfma_f32_16x16x16_f16 v[20:23], v[78:79], v[34:35], v[20:23]
	s_nop 7
	v_cvt_f16_f32_e32 v22, v22
	v_cvt_f16_f32_e32 v23, v23
	v_cvt_f16_f32_e32 v77, v20
	v_cvt_f16_f32_e32 v78, v21
	v_perm_b32 v48, v23, v22, s96
	ds_read_u16 v22, v190 offset:320
	ds_read_u16 v54, v190 offset:848
	ds_read_u16 v23, v190 offset:1376
	ds_read_u16 v58, v191 offset:320
	v_perm_b32 v77, v78, v77, s96
	s_waitcnt lgkmcnt(2)
	v_perm_b32 v22, v54, v22, s96
	s_waitcnt lgkmcnt(0)
	v_perm_b32 v23, v58, v23, s96
	ds_read_u16 v54, v190 offset:17216
	ds_read_u16 v58, v190 offset:17744
	ds_read_u16 v62, v190 offset:18272
	ds_read_u16 v66, v191 offset:17216
	v_mfma_f32_16x16x16_f16 v[22:25], v[22:23], v[38:39], v[80:83]
	s_waitcnt lgkmcnt(0)
	s_nop 1
	v_perm_b32 v81, v66, v62, s96
	v_perm_b32 v80, v58, v54, s96
	v_cvt_f32_f16_e32 v82, v27
	s_nop 1
	v_cvt_f16_f32_e32 v22, v22
	v_cvt_f16_f32_e32 v23, v23
	v_cvt_f16_f32_e32 v24, v24
	v_cvt_f16_f32_e32 v25, v25
	v_cvt_f32_f16_e32 v22, v22
	v_cvt_f32_f16_e32 v23, v23
	v_cvt_f32_f16_e32 v24, v24
	v_cvt_f32_f16_e32 v25, v25
	v_cvt_f32_f16_sdwa v83, v27 dst_sel:DWORD dst_unused:UNUSED_PAD src0_sel:WORD_1
	s_nop 0
	v_mfma_f32_16x16x16_f16 v[22:25], v[80:81], v[34:35], v[22:25]
	s_nop 7
	v_cvt_f16_f32_e32 v24, v24
	v_cvt_f16_f32_e32 v25, v25
	;; [unrolled: 1-line block ×4, first 2 shown]
	v_perm_b32 v54, v25, v24, s96
	ds_read_u16 v24, v190 offset:352
	ds_read_u16 v58, v190 offset:880
	;; [unrolled: 1-line block ×4, first 2 shown]
	s_waitcnt lgkmcnt(2)
	v_perm_b32 v24, v58, v24, s96
	s_waitcnt lgkmcnt(0)
	v_perm_b32 v25, v62, v25, s96
	ds_read_u16 v58, v190 offset:17248
	ds_read_u16 v62, v190 offset:17776
	;; [unrolled: 1-line block ×4, first 2 shown]
	v_mfma_f32_16x16x16_f16 v[24:27], v[24:25], v[38:39], v[82:85]
	s_waitcnt lgkmcnt(0)
	s_nop 1
	v_perm_b32 v83, v69, v66, s96
	v_perm_b32 v82, v62, v58, s96
	v_cvt_f32_f16_e32 v84, v29
	s_nop 1
	v_cvt_f16_f32_e32 v24, v24
	v_cvt_f16_f32_e32 v25, v25
	;; [unrolled: 1-line block ×4, first 2 shown]
	v_cvt_f32_f16_e32 v24, v24
	v_cvt_f32_f16_e32 v25, v25
	;; [unrolled: 1-line block ×4, first 2 shown]
	v_cvt_f32_f16_sdwa v85, v29 dst_sel:DWORD dst_unused:UNUSED_PAD src0_sel:WORD_1
	s_nop 0
	v_mfma_f32_16x16x16_f16 v[24:27], v[82:83], v[34:35], v[24:27]
	s_nop 7
	v_cvt_f16_f32_e32 v26, v26
	v_cvt_f16_f32_e32 v27, v27
	v_cvt_f16_f32_e32 v81, v24
	v_cvt_f16_f32_e32 v82, v25
	v_perm_b32 v58, v27, v26, s96
	ds_read_u16 v26, v190 offset:384
	ds_read_u16 v62, v190 offset:912
	;; [unrolled: 1-line block ×4, first 2 shown]
	s_waitcnt lgkmcnt(2)
	v_perm_b32 v26, v62, v26, s96
	s_waitcnt lgkmcnt(0)
	v_perm_b32 v27, v66, v27, s96
	ds_read_u16 v62, v190 offset:17280
	ds_read_u16 v66, v190 offset:17808
	;; [unrolled: 1-line block ×4, first 2 shown]
	v_mfma_f32_16x16x16_f16 v[26:29], v[26:27], v[38:39], v[84:87]
	s_waitcnt lgkmcnt(0)
	s_nop 1
	v_perm_b32 v85, v83, v69, s96
	v_perm_b32 v84, v66, v62, s96
	v_cvt_f32_f16_e32 v86, v31
	s_nop 1
	v_cvt_f16_f32_e32 v26, v26
	v_cvt_f16_f32_e32 v27, v27
	;; [unrolled: 1-line block ×4, first 2 shown]
	v_cvt_f32_f16_e32 v26, v26
	v_cvt_f32_f16_e32 v27, v27
	;; [unrolled: 1-line block ×4, first 2 shown]
	v_cvt_f32_f16_sdwa v87, v31 dst_sel:DWORD dst_unused:UNUSED_PAD src0_sel:WORD_1
	s_nop 0
	v_mfma_f32_16x16x16_f16 v[26:29], v[84:85], v[34:35], v[26:29]
	s_nop 7
	v_cvt_f16_f32_e32 v28, v28
	v_cvt_f16_f32_e32 v29, v29
	;; [unrolled: 1-line block ×4, first 2 shown]
	v_perm_b32 v62, v29, v28, s96
	ds_read_u16 v28, v190 offset:416
	ds_read_u16 v66, v190 offset:944
	;; [unrolled: 1-line block ×4, first 2 shown]
	s_waitcnt lgkmcnt(2)
	v_perm_b32 v28, v66, v28, s96
	s_waitcnt lgkmcnt(0)
	v_perm_b32 v29, v69, v29, s96
	s_nop 1
	v_mfma_f32_16x16x16_f16 v[28:31], v[28:29], v[38:39], v[86:89]
	ds_read_u16 v66, v190 offset:17312
	ds_read_u16 v69, v190 offset:17840
	ds_read_u16 v85, v190 offset:18368
	ds_read_u16 v86, v191 offset:17312
	v_cvt_f32_f16_e32 v88, v33
	v_cvt_f32_f16_sdwa v89, v33 dst_sel:DWORD dst_unused:UNUSED_PAD src0_sel:WORD_1
	s_nop 1
	v_cvt_f16_f32_e32 v28, v28
	v_cvt_f16_f32_e32 v29, v29
	;; [unrolled: 1-line block ×4, first 2 shown]
	s_waitcnt lgkmcnt(0)
	v_perm_b32 v87, v86, v85, s96
	v_perm_b32 v86, v69, v66, s96
	v_cvt_f32_f16_e32 v28, v28
	v_cvt_f32_f16_e32 v29, v29
	;; [unrolled: 1-line block ×4, first 2 shown]
	s_nop 1
	v_mfma_f32_16x16x16_f16 v[28:31], v[86:87], v[34:35], v[28:31]
	s_nop 7
	v_cvt_f16_f32_e32 v30, v30
	v_cvt_f16_f32_e32 v31, v31
	;; [unrolled: 1-line block ×4, first 2 shown]
	v_perm_b32 v66, v31, v30, s96
	ds_read_u16 v30, v190 offset:448
	ds_read_u16 v69, v190 offset:976
	;; [unrolled: 1-line block ×4, first 2 shown]
	s_waitcnt lgkmcnt(2)
	v_perm_b32 v30, v69, v30, s96
	s_waitcnt lgkmcnt(0)
	v_perm_b32 v31, v87, v31, s96
	s_nop 1
	v_mfma_f32_16x16x16_f16 v[30:33], v[30:31], v[38:39], v[88:91]
	ds_read_u16 v69, v190 offset:17344
	ds_read_u16 v87, v190 offset:17872
	s_nop 0
	ds_read_u16 v88, v190 offset:18400
	ds_read_u16 v89, v191 offset:17344
	v_cvt_f32_f16_e32 v90, v50
	v_cvt_f32_f16_sdwa v91, v50 dst_sel:DWORD dst_unused:UNUSED_PAD src0_sel:WORD_1
	s_nop 0
	v_cvt_f16_f32_e32 v30, v30
	v_cvt_f16_f32_e32 v31, v31
	;; [unrolled: 1-line block ×4, first 2 shown]
	s_waitcnt lgkmcnt(0)
	v_perm_b32 v89, v89, v88, s96
	v_perm_b32 v88, v87, v69, s96
	v_cvt_f32_f16_e32 v30, v30
	v_cvt_f32_f16_e32 v31, v31
	;; [unrolled: 1-line block ×4, first 2 shown]
	s_nop 1
	v_mfma_f32_16x16x16_f16 v[30:33], v[88:89], v[34:35], v[30:33]
	s_nop 7
	v_cvt_f16_f32_e32 v32, v32
	v_cvt_f16_f32_e32 v33, v33
	;; [unrolled: 1-line block ×4, first 2 shown]
	v_perm_b32 v69, v33, v32, s96
	ds_read_u16 v32, v190 offset:480
	ds_read_u16 v89, v190 offset:1008
	;; [unrolled: 1-line block ×4, first 2 shown]
	s_waitcnt lgkmcnt(2)
	v_perm_b32 v32, v89, v32, s96
	s_waitcnt lgkmcnt(0)
	v_perm_b32 v33, v94, v33, s96
	s_nop 1
	v_mfma_f32_16x16x16_f16 v[90:93], v[32:33], v[38:39], v[90:93]
	s_nop 7
	v_cvt_f16_f32_e32 v38, v90
	ds_read_u16 v32, v190 offset:17376
	ds_read_u16 v33, v190 offset:17904
	;; [unrolled: 1-line block ×4, first 2 shown]
	v_cvt_f16_f32_e32 v39, v91
	v_cvt_f16_f32_e32 v49, v92
	v_cvt_f16_f32_e32 v50, v93
	v_cvt_f32_f16_e32 v92, v38
	v_cvt_f32_f16_e32 v93, v39
	s_waitcnt lgkmcnt(0)
	v_perm_b32 v39, v90, v89, s96
	v_perm_b32 v38, v33, v32, s96
	v_cvt_f32_f16_e32 v94, v49
	v_cvt_f32_f16_e32 v95, v50
	v_perm_b32 v49, v82, v81, s96
	v_perm_b32 v50, v80, v79, s96
	v_mfma_f32_16x16x16_f16 v[32:35], v[38:39], v[34:35], v[92:95]
	s_barrier
	s_nop 6
	v_cvt_f16_f32_e32 v34, v34
	v_cvt_f16_f32_e32 v35, v35
	;; [unrolled: 1-line block ×4, first 2 shown]
	v_perm_b32 v34, v35, v34, s96
	ds_bpermute_b32 v35, v37, v45
	s_waitcnt lgkmcnt(0)
	v_add_f32_e32 v35, v45, v35
	ds_bpermute_b32 v37, v44, v35
	v_perm_b32 v45, v84, v83, s96
	s_waitcnt lgkmcnt(0)
	v_add_f32_e32 v37, v35, v37
	v_perm_b32 v35, v39, v38, s96
	v_perm_b32 v38, v88, v87, s96
	;; [unrolled: 1-line block ×3, first 2 shown]
	s_and_saveexec_b64 s[8:9], s[12:13]
	s_cbranch_execz .LBB29_262
; %bb.261:                              ;   in Loop: Header=BB29_10 Depth=1
	v_lshlrev_b32_e32 v35, 2, v124
	v_readfirstlane_b32 s12, v152
	v_readfirstlane_b32 s13, v153
	v_cvt_pk_f16_f32 v38, v2, v3
	v_max_f32_e32 v2, v36, v36
	v_cvt_pk_f16_f32 v4, v4, v5
	v_cvt_pk_f16_f32 v5, v6, v7
	;; [unrolled: 1-line block ×3, first 2 shown]
	global_load_dword v35, v35, s[12:13]
	v_cvt_pk_f16_f32 v10, v16, v17
	v_cvt_pk_f16_f32 v11, v18, v19
	;; [unrolled: 1-line block ×10, first 2 shown]
	s_waitcnt vmcnt(0)
	v_max_f32_e32 v3, v35, v35
	v_max_f32_e32 v2, v2, v3
	v_sub_f32_e32 v3, v36, v2
	v_sub_f32_e32 v17, v35, v2
	v_mul_f32_e32 v18, 0x3fb8aa3b, v3
	v_mul_f32_e32 v19, 0x3fb8aa3b, v17
	v_fma_f32 v20, v3, s45, -v18
	v_rndne_f32_e32 v21, v18
	v_fma_f32 v22, v17, s45, -v19
	v_rndne_f32_e32 v23, v19
	v_fmac_f32_e32 v20, 0x32a5705f, v3
	v_sub_f32_e32 v18, v18, v21
	v_fmac_f32_e32 v22, 0x32a5705f, v17
	v_sub_f32_e32 v19, v19, v23
	v_add_f32_e32 v18, v18, v20
	v_cvt_i32_f32_e32 v21, v21
	v_add_f32_e32 v19, v19, v22
	v_exp_f32_e32 v18, v18
	v_cvt_i32_f32_e32 v23, v23
	v_exp_f32_e32 v19, v19
	v_cmp_ngt_f32_e32 vcc, s69, v3
	v_ldexp_f32 v18, v18, v21
	v_cvt_pk_f16_f32 v20, v30, v31
	v_ldexp_f32 v19, v19, v23
	v_cndmask_b32_e32 v18, 0, v18, vcc
	v_cmp_ngt_f32_e32 vcc, s69, v17
	v_cvt_pk_f16_f32 v22, v32, v33
	s_nop 0
	v_cndmask_b32_e32 v19, 0, v19, vcc
	v_cmp_nlt_f32_e32 vcc, s94, v3
	s_nop 1
	v_cndmask_b32_e32 v18, v230, v18, vcc
	v_cmp_le_f32_e32 vcc, s95, v3
	s_nop 1
	v_cndmask_b32_e32 v18, 0, v18, vcc
	v_cvt_f16_f32_e32 v21, v18
	v_cmp_nlt_f32_e32 vcc, s94, v17
	v_mul_u32_u24_e32 v17, 0x10001, v21
	s_nop 0
	v_cndmask_b32_e32 v3, v230, v19, vcc
	v_fmac_f32_e32 v3, v37, v18
	v_pk_mul_f16 v46, v38, v17
	v_pk_mul_f16 v40, v40, v17
	;; [unrolled: 1-line block ×32, first 2 shown]
	v_mov_b64_e32 v[36:37], v[2:3]
.LBB29_262:                             ;   in Loop: Header=BB29_10 Depth=1
	s_or_b64 exec, exec, s[8:9]
	s_and_saveexec_b64 s[8:9], s[4:5]
; %bb.263:                              ;   in Loop: Header=BB29_10 Depth=1
	v_add_u32_e32 v2, 0, v198
	ds_write2_b32 v2, v36, v37 offset0:64 offset1:65
; %bb.264:                              ;   in Loop: Header=BB29_10 Depth=1
	s_or_b64 exec, exec, s[8:9]
	s_waitcnt lgkmcnt(0)
	s_barrier
	s_and_saveexec_b64 s[8:9], s[10:11]
	s_xor_b64 s[8:9], exec, s[8:9]
	s_cbranch_execz .LBB29_266
; %bb.265:                              ;   in Loop: Header=BB29_10 Depth=1
	s_barrier
                                        ; implicit-def: $vgpr44
.LBB29_266:                             ;   in Loop: Header=BB29_10 Depth=1
	s_andn2_saveexec_b64 s[8:9], s[8:9]
	s_cbranch_execz .LBB29_270
; %bb.267:                              ;   in Loop: Header=BB29_10 Depth=1
	v_add_u32_e32 v4, 0, v199
	ds_read_b64 v[2:3], v4 offset:256
	s_waitcnt lgkmcnt(0)
	s_barrier
	ds_bpermute_b32 v5, v44, v2
	v_max_f32_e32 v6, v2, v2
	s_waitcnt lgkmcnt(0)
	v_max_f32_e32 v5, v5, v5
	v_max_f32_e32 v5, v6, v5
	v_sub_f32_e32 v2, v2, v5
	v_mul_f32_e32 v5, 0x3fb8aa3b, v2
	v_fma_f32 v6, v2, s45, -v5
	v_rndne_f32_e32 v7, v5
	v_fmac_f32_e32 v6, 0x32a5705f, v2
	v_sub_f32_e32 v5, v5, v7
	v_add_f32_e32 v5, v5, v6
	v_cvt_i32_f32_e32 v7, v7
	v_exp_f32_e32 v5, v5
	v_cmp_ngt_f32_e32 vcc, s69, v2
	v_ldexp_f32 v5, v5, v7
	s_nop 0
	v_cndmask_b32_e32 v5, 0, v5, vcc
	v_cmp_nlt_f32_e32 vcc, s94, v2
	s_nop 1
	v_cndmask_b32_e32 v2, v230, v5, vcc
	v_mul_f32_e32 v3, v3, v2
	ds_bpermute_b32 v5, v44, v3
	s_and_saveexec_b64 s[12:13], s[6:7]
	s_cbranch_execz .LBB29_269
; %bb.268:                              ;   in Loop: Header=BB29_10 Depth=1
	s_waitcnt lgkmcnt(0)
	v_add_f32_e32 v3, v3, v5
	ds_write_b64 v4, v[2:3] offset:256
.LBB29_269:                             ;   in Loop: Header=BB29_10 Depth=1
	s_or_b64 exec, exec, s[12:13]
.LBB29_270:                             ;   in Loop: Header=BB29_10 Depth=1
	s_or_b64 exec, exec, s[8:9]
	v_add_u32_e32 v2, v187, v200
	ds_write2_b32 v2, v46, v40 offset1:1
	ds_write2_b32 v2, v52, v41 offset0:8 offset1:9
	ds_write2_b32 v2, v56, v43 offset0:16 offset1:17
	;; [unrolled: 1-line block ×7, first 2 shown]
	s_waitcnt lgkmcnt(0)
	s_barrier
	s_and_saveexec_b64 s[12:13], s[0:1]
	s_cbranch_execz .LBB29_348
; %bb.271:                              ;   in Loop: Header=BB29_10 Depth=1
	v_add_u32_e32 v3, v253, v101
	v_or_b32_e32 v4, v128, v131
	v_cmp_gt_i32_e32 vcc, s36, v3
	v_cmp_gt_i32_e64 s[8:9], s3, v4
	s_and_b64 s[78:79], vcc, s[8:9]
	v_mov_b32_e32 v4, 0x47
	s_and_saveexec_b64 s[76:77], s[78:79]
	s_cbranch_execz .LBB29_273
; %bb.272:                              ;   in Loop: Header=BB29_10 Depth=1
	v_add_u32_e32 v4, v183, v201
	ds_read2st64_b32 v[4:5], v4 offset1:17
	v_add_u32_e32 v8, 0, v201
	ds_read2_b32 v[6:7], v8 offset0:64 offset1:65
	ds_read_b32 v8, v8 offset:4608
	v_mad_u64_u32 v[12:13], s[78:79], v3, s37, v[128:129]
	s_waitcnt lgkmcnt(2)
	v_cvt_f32_f16_e32 v10, v4
	v_cvt_f32_f16_sdwa v11, v4 dst_sel:DWORD dst_unused:UNUSED_PAD src0_sel:WORD_1
	v_cvt_f32_f16_e32 v4, v5
	v_cvt_f32_f16_sdwa v5, v5 dst_sel:DWORD dst_unused:UNUSED_PAD src0_sel:WORD_1
	s_waitcnt lgkmcnt(1)
	v_pk_fma_f32 v[10:11], v[6:7], v[10:11], 0 op_sel_hi:[0,1,0]
	s_waitcnt lgkmcnt(0)
	v_pk_fma_f32 v[4:5], v[8:9], v[4:5], v[10:11] op_sel_hi:[0,1,1]
	v_div_scale_f32 v3, s[78:79], v7, v7, v5
	v_rcp_f32_e32 v6, v3
	v_lshl_add_u32 v8, v12, 7, v98
	v_ashrrev_i32_e32 v9, 31, v8
	v_lshl_add_u64 v[8:9], v[8:9], 3, v[150:151]
	v_fma_f32 v10, -v3, v6, 1.0
	v_fmac_f32_e32 v6, v10, v6
	v_div_scale_f32 v10, vcc, v5, v7, v5
	v_mul_f32_e32 v11, v10, v6
	v_fma_f32 v12, -v3, v11, v10
	v_fmac_f32_e32 v11, v12, v6
	v_fma_f32 v3, -v3, v11, v10
	v_div_scale_f32 v10, s[78:79], v7, v7, v4
	v_rcp_f32_e32 v12, v10
	v_div_fmas_f32 v3, v3, v6, v11
	v_div_fixup_f32 v5, v3, v7, v5
	v_fma_f32 v3, -v10, v12, 1.0
	v_fmac_f32_e32 v12, v3, v12
	v_div_scale_f32 v3, vcc, v4, v7, v4
	v_mul_f32_e32 v6, v3, v12
	v_fma_f32 v11, -v10, v6, v3
	v_fmac_f32_e32 v6, v11, v12
	v_fma_f32 v3, -v10, v6, v3
	v_div_fmas_f32 v3, v3, v12, v6
	v_div_fixup_f32 v4, v3, v7, v4
	global_store_dwordx2 v[8:9], v[4:5], off
	v_mov_b32_e32 v4, 0
.LBB29_273:                             ;   in Loop: Header=BB29_10 Depth=1
	s_or_b64 exec, exec, s[76:77]
	v_cmp_gt_i32_e32 vcc, s97, v4
	s_mov_b64 s[76:77], -1
	s_and_saveexec_b64 s[78:79], vcc
; %bb.274:                              ;   in Loop: Header=BB29_10 Depth=1
	v_cmp_eq_u32_e32 vcc, 0, v4
	s_orn2_b64 s[76:77], vcc, exec
; %bb.275:                              ;   in Loop: Header=BB29_10 Depth=1
	s_or_b64 exec, exec, s[78:79]
	s_and_b64 exec, exec, s[76:77]
	s_cbranch_execz .LBB29_348
; %bb.276:                              ;   in Loop: Header=BB29_10 Depth=1
	v_add_u32_e32 v3, v202, v101
	v_cmp_gt_i32_e32 vcc, s36, v3
	s_and_b64 s[78:79], vcc, s[8:9]
	v_mov_b32_e32 v4, 0x47
	s_and_saveexec_b64 s[76:77], s[78:79]
	s_cbranch_execz .LBB29_278
; %bb.277:                              ;   in Loop: Header=BB29_10 Depth=1
	v_add_u32_e32 v4, v183, v203
	ds_read2st64_b32 v[4:5], v4 offset1:17
	v_add_u32_e32 v8, 0, v203
	ds_read2_b32 v[6:7], v8 offset0:64 offset1:65
	ds_read_b32 v8, v8 offset:4608
	v_mad_u64_u32 v[12:13], s[78:79], v3, s37, v[128:129]
	s_waitcnt lgkmcnt(2)
	v_cvt_f32_f16_e32 v10, v4
	v_cvt_f32_f16_sdwa v11, v4 dst_sel:DWORD dst_unused:UNUSED_PAD src0_sel:WORD_1
	v_cvt_f32_f16_e32 v4, v5
	v_cvt_f32_f16_sdwa v5, v5 dst_sel:DWORD dst_unused:UNUSED_PAD src0_sel:WORD_1
	s_waitcnt lgkmcnt(1)
	v_pk_fma_f32 v[10:11], v[6:7], v[10:11], 0 op_sel_hi:[0,1,0]
	s_waitcnt lgkmcnt(0)
	v_pk_fma_f32 v[4:5], v[8:9], v[4:5], v[10:11] op_sel_hi:[0,1,1]
	v_div_scale_f32 v3, s[78:79], v7, v7, v5
	v_rcp_f32_e32 v6, v3
	v_lshl_add_u32 v8, v12, 7, v98
	v_ashrrev_i32_e32 v9, 31, v8
	v_lshl_add_u64 v[8:9], v[8:9], 3, v[150:151]
	v_fma_f32 v10, -v3, v6, 1.0
	v_fmac_f32_e32 v6, v10, v6
	v_div_scale_f32 v10, vcc, v5, v7, v5
	v_mul_f32_e32 v11, v10, v6
	v_fma_f32 v12, -v3, v11, v10
	v_fmac_f32_e32 v11, v12, v6
	v_fma_f32 v3, -v3, v11, v10
	v_div_scale_f32 v10, s[78:79], v7, v7, v4
	v_rcp_f32_e32 v12, v10
	v_div_fmas_f32 v3, v3, v6, v11
	v_div_fixup_f32 v5, v3, v7, v5
	v_fma_f32 v3, -v10, v12, 1.0
	v_fmac_f32_e32 v12, v3, v12
	v_div_scale_f32 v3, vcc, v4, v7, v4
	v_mul_f32_e32 v6, v3, v12
	v_fma_f32 v11, -v10, v6, v3
	v_fmac_f32_e32 v6, v11, v12
	v_fma_f32 v3, -v10, v6, v3
	v_div_fmas_f32 v3, v3, v12, v6
	v_div_fixup_f32 v4, v3, v7, v4
	global_store_dwordx2 v[8:9], v[4:5], off
	v_mov_b32_e32 v4, 0
.LBB29_278:                             ;   in Loop: Header=BB29_10 Depth=1
	s_or_b64 exec, exec, s[76:77]
	v_cmp_gt_i32_e32 vcc, s97, v4
	s_mov_b64 s[76:77], -1
	s_and_saveexec_b64 s[78:79], vcc
; %bb.279:                              ;   in Loop: Header=BB29_10 Depth=1
	v_cmp_eq_u32_e32 vcc, 0, v4
	s_orn2_b64 s[76:77], vcc, exec
; %bb.280:                              ;   in Loop: Header=BB29_10 Depth=1
	s_or_b64 exec, exec, s[78:79]
	s_and_b64 exec, exec, s[76:77]
	s_cbranch_execz .LBB29_348
; %bb.281:                              ;   in Loop: Header=BB29_10 Depth=1
	v_add_u32_e32 v3, v204, v101
	v_cmp_gt_i32_e32 vcc, s36, v3
	;; [unrolled: 62-line block ×3, first 2 shown]
	s_and_b64 s[78:79], vcc, s[8:9]
	v_mov_b32_e32 v4, 0x47
	s_and_saveexec_b64 s[76:77], s[78:79]
	s_cbranch_execz .LBB29_288
; %bb.287:                              ;   in Loop: Header=BB29_10 Depth=1
	v_add_u32_e32 v4, v183, v207
	ds_read2st64_b32 v[4:5], v4 offset1:17
	v_add_u32_e32 v8, 0, v207
	ds_read2_b32 v[6:7], v8 offset0:64 offset1:65
	ds_read_b32 v8, v8 offset:4608
	v_mad_u64_u32 v[12:13], s[78:79], v3, s37, v[128:129]
	s_waitcnt lgkmcnt(2)
	v_cvt_f32_f16_e32 v10, v4
	v_cvt_f32_f16_sdwa v11, v4 dst_sel:DWORD dst_unused:UNUSED_PAD src0_sel:WORD_1
	v_cvt_f32_f16_e32 v4, v5
	v_cvt_f32_f16_sdwa v5, v5 dst_sel:DWORD dst_unused:UNUSED_PAD src0_sel:WORD_1
	s_waitcnt lgkmcnt(1)
	v_pk_fma_f32 v[10:11], v[6:7], v[10:11], 0 op_sel_hi:[0,1,0]
	s_waitcnt lgkmcnt(0)
	v_pk_fma_f32 v[4:5], v[8:9], v[4:5], v[10:11] op_sel_hi:[0,1,1]
	v_div_scale_f32 v3, s[78:79], v7, v7, v5
	v_rcp_f32_e32 v6, v3
	v_lshl_add_u32 v8, v12, 7, v98
	v_ashrrev_i32_e32 v9, 31, v8
	v_lshl_add_u64 v[8:9], v[8:9], 3, v[150:151]
	v_fma_f32 v10, -v3, v6, 1.0
	v_fmac_f32_e32 v6, v10, v6
	v_div_scale_f32 v10, vcc, v5, v7, v5
	v_mul_f32_e32 v11, v10, v6
	v_fma_f32 v12, -v3, v11, v10
	v_fmac_f32_e32 v11, v12, v6
	v_fma_f32 v3, -v3, v11, v10
	v_div_scale_f32 v10, s[78:79], v7, v7, v4
	v_rcp_f32_e32 v12, v10
	v_div_fmas_f32 v3, v3, v6, v11
	v_div_fixup_f32 v5, v3, v7, v5
	v_fma_f32 v3, -v10, v12, 1.0
	v_fmac_f32_e32 v12, v3, v12
	v_div_scale_f32 v3, vcc, v4, v7, v4
	v_mul_f32_e32 v6, v3, v12
	v_fma_f32 v11, -v10, v6, v3
	v_fmac_f32_e32 v6, v11, v12
	v_fma_f32 v3, -v10, v6, v3
	v_div_fmas_f32 v3, v3, v12, v6
	v_div_fixup_f32 v4, v3, v7, v4
	global_store_dwordx2 v[8:9], v[4:5], off
	v_mov_b32_e32 v4, 0
.LBB29_288:                             ;   in Loop: Header=BB29_10 Depth=1
	s_or_b64 exec, exec, s[76:77]
	v_cmp_gt_i32_e32 vcc, s97, v4
	s_mov_b64 s[76:77], -1
	s_and_saveexec_b64 s[78:79], vcc
; %bb.289:                              ;   in Loop: Header=BB29_10 Depth=1
	v_cmp_eq_u32_e32 vcc, 0, v4
	s_orn2_b64 s[76:77], vcc, exec
; %bb.290:                              ;   in Loop: Header=BB29_10 Depth=1
	s_or_b64 exec, exec, s[78:79]
	s_and_b64 exec, exec, s[76:77]
	s_cbranch_execz .LBB29_348
; %bb.291:                              ;   in Loop: Header=BB29_10 Depth=1
	scratch_load_dword v3, off, off         ; 4-byte Folded Reload
	v_mov_b32_e32 v4, 0x47
	s_waitcnt vmcnt(0)
	v_add_u32_e32 v3, v3, v101
	v_cmp_gt_i32_e32 vcc, s36, v3
	s_and_b64 s[78:79], vcc, s[8:9]
	s_and_saveexec_b64 s[76:77], s[78:79]
	s_cbranch_execz .LBB29_293
; %bb.292:                              ;   in Loop: Header=BB29_10 Depth=1
	scratch_load_dword v6, off, off offset:4 ; 4-byte Folded Reload
	v_mad_u64_u32 v[12:13], s[78:79], v3, s37, v[128:129]
	s_waitcnt vmcnt(0)
	v_add_u32_e32 v4, v183, v6
	ds_read2st64_b32 v[4:5], v4 offset1:17
	v_add_u32_e32 v8, 0, v6
	ds_read2_b32 v[6:7], v8 offset0:64 offset1:65
	ds_read_b32 v8, v8 offset:4608
	s_waitcnt lgkmcnt(2)
	v_cvt_f32_f16_e32 v10, v4
	v_cvt_f32_f16_sdwa v11, v4 dst_sel:DWORD dst_unused:UNUSED_PAD src0_sel:WORD_1
	v_cvt_f32_f16_e32 v4, v5
	v_cvt_f32_f16_sdwa v5, v5 dst_sel:DWORD dst_unused:UNUSED_PAD src0_sel:WORD_1
	s_waitcnt lgkmcnt(1)
	v_pk_fma_f32 v[10:11], v[6:7], v[10:11], 0 op_sel_hi:[0,1,0]
	s_waitcnt lgkmcnt(0)
	v_pk_fma_f32 v[4:5], v[8:9], v[4:5], v[10:11] op_sel_hi:[0,1,1]
	v_div_scale_f32 v3, s[78:79], v7, v7, v5
	v_rcp_f32_e32 v6, v3
	v_lshl_add_u32 v8, v12, 7, v98
	v_ashrrev_i32_e32 v9, 31, v8
	v_lshl_add_u64 v[8:9], v[8:9], 3, v[150:151]
	v_fma_f32 v10, -v3, v6, 1.0
	v_fmac_f32_e32 v6, v10, v6
	v_div_scale_f32 v10, vcc, v5, v7, v5
	v_mul_f32_e32 v11, v10, v6
	v_fma_f32 v12, -v3, v11, v10
	v_fmac_f32_e32 v11, v12, v6
	v_fma_f32 v3, -v3, v11, v10
	v_div_scale_f32 v10, s[78:79], v7, v7, v4
	v_rcp_f32_e32 v12, v10
	v_div_fmas_f32 v3, v3, v6, v11
	v_div_fixup_f32 v5, v3, v7, v5
	v_fma_f32 v3, -v10, v12, 1.0
	v_fmac_f32_e32 v12, v3, v12
	v_div_scale_f32 v3, vcc, v4, v7, v4
	v_mul_f32_e32 v6, v3, v12
	v_fma_f32 v11, -v10, v6, v3
	v_fmac_f32_e32 v6, v11, v12
	v_fma_f32 v3, -v10, v6, v3
	v_div_fmas_f32 v3, v3, v12, v6
	v_div_fixup_f32 v4, v3, v7, v4
	global_store_dwordx2 v[8:9], v[4:5], off
	v_mov_b32_e32 v4, 0
.LBB29_293:                             ;   in Loop: Header=BB29_10 Depth=1
	s_or_b64 exec, exec, s[76:77]
	v_cmp_gt_i32_e32 vcc, s97, v4
	s_mov_b64 s[76:77], -1
	s_and_saveexec_b64 s[78:79], vcc
; %bb.294:                              ;   in Loop: Header=BB29_10 Depth=1
	v_cmp_eq_u32_e32 vcc, 0, v4
	s_orn2_b64 s[76:77], vcc, exec
; %bb.295:                              ;   in Loop: Header=BB29_10 Depth=1
	s_or_b64 exec, exec, s[78:79]
	s_and_b64 exec, exec, s[76:77]
	s_cbranch_execz .LBB29_348
; %bb.296:                              ;   in Loop: Header=BB29_10 Depth=1
	scratch_load_dword v3, off, off offset:8 ; 4-byte Folded Reload
	v_mov_b32_e32 v4, 0x47
	s_waitcnt vmcnt(0)
	v_add_u32_e32 v3, v3, v101
	v_cmp_gt_i32_e32 vcc, s36, v3
	s_and_b64 s[78:79], vcc, s[8:9]
	s_and_saveexec_b64 s[76:77], s[78:79]
	s_cbranch_execz .LBB29_298
; %bb.297:                              ;   in Loop: Header=BB29_10 Depth=1
	scratch_load_dword v6, off, off offset:12 ; 4-byte Folded Reload
	v_mad_u64_u32 v[12:13], s[78:79], v3, s37, v[128:129]
	s_waitcnt vmcnt(0)
	v_add_u32_e32 v4, v183, v6
	ds_read2st64_b32 v[4:5], v4 offset1:17
	v_add_u32_e32 v8, 0, v6
	ds_read2_b32 v[6:7], v8 offset0:64 offset1:65
	ds_read_b32 v8, v8 offset:4608
	s_waitcnt lgkmcnt(2)
	v_cvt_f32_f16_e32 v10, v4
	v_cvt_f32_f16_sdwa v11, v4 dst_sel:DWORD dst_unused:UNUSED_PAD src0_sel:WORD_1
	v_cvt_f32_f16_e32 v4, v5
	v_cvt_f32_f16_sdwa v5, v5 dst_sel:DWORD dst_unused:UNUSED_PAD src0_sel:WORD_1
	s_waitcnt lgkmcnt(1)
	v_pk_fma_f32 v[10:11], v[6:7], v[10:11], 0 op_sel_hi:[0,1,0]
	s_waitcnt lgkmcnt(0)
	v_pk_fma_f32 v[4:5], v[8:9], v[4:5], v[10:11] op_sel_hi:[0,1,1]
	v_div_scale_f32 v3, s[78:79], v7, v7, v5
	v_rcp_f32_e32 v6, v3
	v_lshl_add_u32 v8, v12, 7, v98
	v_ashrrev_i32_e32 v9, 31, v8
	v_lshl_add_u64 v[8:9], v[8:9], 3, v[150:151]
	v_fma_f32 v10, -v3, v6, 1.0
	v_fmac_f32_e32 v6, v10, v6
	v_div_scale_f32 v10, vcc, v5, v7, v5
	v_mul_f32_e32 v11, v10, v6
	v_fma_f32 v12, -v3, v11, v10
	v_fmac_f32_e32 v11, v12, v6
	v_fma_f32 v3, -v3, v11, v10
	v_div_scale_f32 v10, s[78:79], v7, v7, v4
	v_rcp_f32_e32 v12, v10
	v_div_fmas_f32 v3, v3, v6, v11
	v_div_fixup_f32 v5, v3, v7, v5
	v_fma_f32 v3, -v10, v12, 1.0
	v_fmac_f32_e32 v12, v3, v12
	v_div_scale_f32 v3, vcc, v4, v7, v4
	v_mul_f32_e32 v6, v3, v12
	v_fma_f32 v11, -v10, v6, v3
	v_fmac_f32_e32 v6, v11, v12
	v_fma_f32 v3, -v10, v6, v3
	v_div_fmas_f32 v3, v3, v12, v6
	v_div_fixup_f32 v4, v3, v7, v4
	global_store_dwordx2 v[8:9], v[4:5], off
	v_mov_b32_e32 v4, 0
.LBB29_298:                             ;   in Loop: Header=BB29_10 Depth=1
	s_or_b64 exec, exec, s[76:77]
	v_cmp_gt_i32_e32 vcc, s97, v4
	s_mov_b64 s[76:77], -1
	s_and_saveexec_b64 s[78:79], vcc
; %bb.299:                              ;   in Loop: Header=BB29_10 Depth=1
	v_cmp_eq_u32_e32 vcc, 0, v4
	s_orn2_b64 s[76:77], vcc, exec
; %bb.300:                              ;   in Loop: Header=BB29_10 Depth=1
	s_or_b64 exec, exec, s[78:79]
	s_and_b64 exec, exec, s[76:77]
	s_cbranch_execz .LBB29_348
; %bb.301:                              ;   in Loop: Header=BB29_10 Depth=1
	scratch_load_dword v3, off, off offset:16 ; 4-byte Folded Reload
	v_mov_b32_e32 v4, 0x47
	s_waitcnt vmcnt(0)
	v_add_u32_e32 v3, v3, v101
	v_cmp_gt_i32_e32 vcc, s36, v3
	s_and_b64 s[78:79], vcc, s[8:9]
	s_and_saveexec_b64 s[76:77], s[78:79]
	s_cbranch_execz .LBB29_303
; %bb.302:                              ;   in Loop: Header=BB29_10 Depth=1
	scratch_load_dword v6, off, off offset:20 ; 4-byte Folded Reload
	v_mad_u64_u32 v[12:13], s[78:79], v3, s37, v[128:129]
	s_waitcnt vmcnt(0)
	v_add_u32_e32 v4, v183, v6
	ds_read2st64_b32 v[4:5], v4 offset1:17
	v_add_u32_e32 v8, 0, v6
	ds_read2_b32 v[6:7], v8 offset0:64 offset1:65
	ds_read_b32 v8, v8 offset:4608
	s_waitcnt lgkmcnt(2)
	v_cvt_f32_f16_e32 v10, v4
	v_cvt_f32_f16_sdwa v11, v4 dst_sel:DWORD dst_unused:UNUSED_PAD src0_sel:WORD_1
	v_cvt_f32_f16_e32 v4, v5
	v_cvt_f32_f16_sdwa v5, v5 dst_sel:DWORD dst_unused:UNUSED_PAD src0_sel:WORD_1
	s_waitcnt lgkmcnt(1)
	v_pk_fma_f32 v[10:11], v[6:7], v[10:11], 0 op_sel_hi:[0,1,0]
	s_waitcnt lgkmcnt(0)
	v_pk_fma_f32 v[4:5], v[8:9], v[4:5], v[10:11] op_sel_hi:[0,1,1]
	v_div_scale_f32 v3, s[78:79], v7, v7, v5
	v_rcp_f32_e32 v6, v3
	v_lshl_add_u32 v8, v12, 7, v98
	v_ashrrev_i32_e32 v9, 31, v8
	v_lshl_add_u64 v[8:9], v[8:9], 3, v[150:151]
	v_fma_f32 v10, -v3, v6, 1.0
	v_fmac_f32_e32 v6, v10, v6
	v_div_scale_f32 v10, vcc, v5, v7, v5
	v_mul_f32_e32 v11, v10, v6
	v_fma_f32 v12, -v3, v11, v10
	v_fmac_f32_e32 v11, v12, v6
	v_fma_f32 v3, -v3, v11, v10
	v_div_scale_f32 v10, s[78:79], v7, v7, v4
	v_rcp_f32_e32 v12, v10
	v_div_fmas_f32 v3, v3, v6, v11
	v_div_fixup_f32 v5, v3, v7, v5
	v_fma_f32 v3, -v10, v12, 1.0
	v_fmac_f32_e32 v12, v3, v12
	v_div_scale_f32 v3, vcc, v4, v7, v4
	v_mul_f32_e32 v6, v3, v12
	v_fma_f32 v11, -v10, v6, v3
	v_fmac_f32_e32 v6, v11, v12
	v_fma_f32 v3, -v10, v6, v3
	v_div_fmas_f32 v3, v3, v12, v6
	v_div_fixup_f32 v4, v3, v7, v4
	global_store_dwordx2 v[8:9], v[4:5], off
	v_mov_b32_e32 v4, 0
.LBB29_303:                             ;   in Loop: Header=BB29_10 Depth=1
	s_or_b64 exec, exec, s[76:77]
	v_cmp_gt_i32_e32 vcc, s97, v4
	s_mov_b64 s[76:77], -1
	s_and_saveexec_b64 s[78:79], vcc
; %bb.304:                              ;   in Loop: Header=BB29_10 Depth=1
	v_cmp_eq_u32_e32 vcc, 0, v4
	s_orn2_b64 s[76:77], vcc, exec
; %bb.305:                              ;   in Loop: Header=BB29_10 Depth=1
	s_or_b64 exec, exec, s[78:79]
	s_and_b64 exec, exec, s[76:77]
	s_cbranch_execz .LBB29_348
; %bb.306:                              ;   in Loop: Header=BB29_10 Depth=1
	scratch_load_dword v3, off, off offset:24 ; 4-byte Folded Reload
	v_mov_b32_e32 v4, 0x47
	s_waitcnt vmcnt(0)
	v_add_u32_e32 v3, v3, v101
	v_cmp_gt_i32_e32 vcc, s36, v3
	s_and_b64 s[78:79], vcc, s[8:9]
	s_and_saveexec_b64 s[76:77], s[78:79]
	s_cbranch_execz .LBB29_308
; %bb.307:                              ;   in Loop: Header=BB29_10 Depth=1
	scratch_load_dword v6, off, off offset:28 ; 4-byte Folded Reload
	v_mad_u64_u32 v[12:13], s[78:79], v3, s37, v[128:129]
	s_waitcnt vmcnt(0)
	v_add_u32_e32 v4, v183, v6
	ds_read2st64_b32 v[4:5], v4 offset1:17
	v_add_u32_e32 v8, 0, v6
	ds_read2_b32 v[6:7], v8 offset0:64 offset1:65
	ds_read_b32 v8, v8 offset:4608
	s_waitcnt lgkmcnt(2)
	v_cvt_f32_f16_e32 v10, v4
	v_cvt_f32_f16_sdwa v11, v4 dst_sel:DWORD dst_unused:UNUSED_PAD src0_sel:WORD_1
	v_cvt_f32_f16_e32 v4, v5
	v_cvt_f32_f16_sdwa v5, v5 dst_sel:DWORD dst_unused:UNUSED_PAD src0_sel:WORD_1
	s_waitcnt lgkmcnt(1)
	v_pk_fma_f32 v[10:11], v[6:7], v[10:11], 0 op_sel_hi:[0,1,0]
	s_waitcnt lgkmcnt(0)
	v_pk_fma_f32 v[4:5], v[8:9], v[4:5], v[10:11] op_sel_hi:[0,1,1]
	v_div_scale_f32 v3, s[78:79], v7, v7, v5
	v_rcp_f32_e32 v6, v3
	v_lshl_add_u32 v8, v12, 7, v98
	v_ashrrev_i32_e32 v9, 31, v8
	v_lshl_add_u64 v[8:9], v[8:9], 3, v[150:151]
	v_fma_f32 v10, -v3, v6, 1.0
	v_fmac_f32_e32 v6, v10, v6
	v_div_scale_f32 v10, vcc, v5, v7, v5
	v_mul_f32_e32 v11, v10, v6
	v_fma_f32 v12, -v3, v11, v10
	v_fmac_f32_e32 v11, v12, v6
	v_fma_f32 v3, -v3, v11, v10
	v_div_scale_f32 v10, s[78:79], v7, v7, v4
	v_rcp_f32_e32 v12, v10
	v_div_fmas_f32 v3, v3, v6, v11
	v_div_fixup_f32 v5, v3, v7, v5
	v_fma_f32 v3, -v10, v12, 1.0
	v_fmac_f32_e32 v12, v3, v12
	v_div_scale_f32 v3, vcc, v4, v7, v4
	v_mul_f32_e32 v6, v3, v12
	v_fma_f32 v11, -v10, v6, v3
	v_fmac_f32_e32 v6, v11, v12
	v_fma_f32 v3, -v10, v6, v3
	v_div_fmas_f32 v3, v3, v12, v6
	v_div_fixup_f32 v4, v3, v7, v4
	global_store_dwordx2 v[8:9], v[4:5], off
	v_mov_b32_e32 v4, 0
.LBB29_308:                             ;   in Loop: Header=BB29_10 Depth=1
	s_or_b64 exec, exec, s[76:77]
	v_cmp_gt_i32_e32 vcc, s97, v4
	s_mov_b64 s[76:77], -1
	s_and_saveexec_b64 s[78:79], vcc
; %bb.309:                              ;   in Loop: Header=BB29_10 Depth=1
	v_cmp_eq_u32_e32 vcc, 0, v4
	s_orn2_b64 s[76:77], vcc, exec
; %bb.310:                              ;   in Loop: Header=BB29_10 Depth=1
	s_or_b64 exec, exec, s[78:79]
	s_and_b64 exec, exec, s[76:77]
	s_cbranch_execz .LBB29_348
; %bb.311:                              ;   in Loop: Header=BB29_10 Depth=1
	scratch_load_dword v3, off, off offset:32 ; 4-byte Folded Reload
	v_mov_b32_e32 v4, 0x47
	s_waitcnt vmcnt(0)
	v_add_u32_e32 v3, v3, v101
	v_cmp_gt_i32_e32 vcc, s36, v3
	s_and_b64 s[78:79], vcc, s[8:9]
	s_and_saveexec_b64 s[76:77], s[78:79]
	s_cbranch_execz .LBB29_313
; %bb.312:                              ;   in Loop: Header=BB29_10 Depth=1
	scratch_load_dword v6, off, off offset:36 ; 4-byte Folded Reload
	v_mad_u64_u32 v[12:13], s[78:79], v3, s37, v[128:129]
	s_waitcnt vmcnt(0)
	v_add_u32_e32 v4, v183, v6
	ds_read2st64_b32 v[4:5], v4 offset1:17
	v_add_u32_e32 v8, 0, v6
	ds_read2_b32 v[6:7], v8 offset0:64 offset1:65
	ds_read_b32 v8, v8 offset:4608
	s_waitcnt lgkmcnt(2)
	v_cvt_f32_f16_e32 v10, v4
	v_cvt_f32_f16_sdwa v11, v4 dst_sel:DWORD dst_unused:UNUSED_PAD src0_sel:WORD_1
	v_cvt_f32_f16_e32 v4, v5
	v_cvt_f32_f16_sdwa v5, v5 dst_sel:DWORD dst_unused:UNUSED_PAD src0_sel:WORD_1
	s_waitcnt lgkmcnt(1)
	v_pk_fma_f32 v[10:11], v[6:7], v[10:11], 0 op_sel_hi:[0,1,0]
	s_waitcnt lgkmcnt(0)
	v_pk_fma_f32 v[4:5], v[8:9], v[4:5], v[10:11] op_sel_hi:[0,1,1]
	v_div_scale_f32 v3, s[78:79], v7, v7, v5
	v_rcp_f32_e32 v6, v3
	v_lshl_add_u32 v8, v12, 7, v98
	v_ashrrev_i32_e32 v9, 31, v8
	v_lshl_add_u64 v[8:9], v[8:9], 3, v[150:151]
	v_fma_f32 v10, -v3, v6, 1.0
	v_fmac_f32_e32 v6, v10, v6
	v_div_scale_f32 v10, vcc, v5, v7, v5
	v_mul_f32_e32 v11, v10, v6
	v_fma_f32 v12, -v3, v11, v10
	v_fmac_f32_e32 v11, v12, v6
	v_fma_f32 v3, -v3, v11, v10
	v_div_scale_f32 v10, s[78:79], v7, v7, v4
	v_rcp_f32_e32 v12, v10
	v_div_fmas_f32 v3, v3, v6, v11
	v_div_fixup_f32 v5, v3, v7, v5
	v_fma_f32 v3, -v10, v12, 1.0
	v_fmac_f32_e32 v12, v3, v12
	v_div_scale_f32 v3, vcc, v4, v7, v4
	v_mul_f32_e32 v6, v3, v12
	v_fma_f32 v11, -v10, v6, v3
	v_fmac_f32_e32 v6, v11, v12
	v_fma_f32 v3, -v10, v6, v3
	v_div_fmas_f32 v3, v3, v12, v6
	v_div_fixup_f32 v4, v3, v7, v4
	global_store_dwordx2 v[8:9], v[4:5], off
	v_mov_b32_e32 v4, 0
.LBB29_313:                             ;   in Loop: Header=BB29_10 Depth=1
	s_or_b64 exec, exec, s[76:77]
	v_cmp_gt_i32_e32 vcc, s97, v4
	s_mov_b64 s[76:77], -1
	s_and_saveexec_b64 s[78:79], vcc
; %bb.314:                              ;   in Loop: Header=BB29_10 Depth=1
	v_cmp_eq_u32_e32 vcc, 0, v4
	s_orn2_b64 s[76:77], vcc, exec
; %bb.315:                              ;   in Loop: Header=BB29_10 Depth=1
	s_or_b64 exec, exec, s[78:79]
	s_and_b64 exec, exec, s[76:77]
	s_cbranch_execz .LBB29_348
; %bb.316:                              ;   in Loop: Header=BB29_10 Depth=1
	scratch_load_dword v3, off, off offset:40 ; 4-byte Folded Reload
	v_mov_b32_e32 v4, 0x47
	s_waitcnt vmcnt(0)
	v_add_u32_e32 v3, v3, v101
	v_cmp_gt_i32_e32 vcc, s36, v3
	s_and_b64 s[78:79], vcc, s[8:9]
	s_and_saveexec_b64 s[76:77], s[78:79]
	s_cbranch_execz .LBB29_318
; %bb.317:                              ;   in Loop: Header=BB29_10 Depth=1
	scratch_load_dword v6, off, off offset:44 ; 4-byte Folded Reload
	v_mad_u64_u32 v[12:13], s[78:79], v3, s37, v[128:129]
	s_waitcnt vmcnt(0)
	v_add_u32_e32 v4, v183, v6
	ds_read2st64_b32 v[4:5], v4 offset1:17
	v_add_u32_e32 v8, 0, v6
	ds_read2_b32 v[6:7], v8 offset0:64 offset1:65
	ds_read_b32 v8, v8 offset:4608
	s_waitcnt lgkmcnt(2)
	v_cvt_f32_f16_e32 v10, v4
	v_cvt_f32_f16_sdwa v11, v4 dst_sel:DWORD dst_unused:UNUSED_PAD src0_sel:WORD_1
	v_cvt_f32_f16_e32 v4, v5
	v_cvt_f32_f16_sdwa v5, v5 dst_sel:DWORD dst_unused:UNUSED_PAD src0_sel:WORD_1
	s_waitcnt lgkmcnt(1)
	v_pk_fma_f32 v[10:11], v[6:7], v[10:11], 0 op_sel_hi:[0,1,0]
	s_waitcnt lgkmcnt(0)
	v_pk_fma_f32 v[4:5], v[8:9], v[4:5], v[10:11] op_sel_hi:[0,1,1]
	v_div_scale_f32 v3, s[78:79], v7, v7, v5
	v_rcp_f32_e32 v6, v3
	v_lshl_add_u32 v8, v12, 7, v98
	v_ashrrev_i32_e32 v9, 31, v8
	v_lshl_add_u64 v[8:9], v[8:9], 3, v[150:151]
	v_fma_f32 v10, -v3, v6, 1.0
	v_fmac_f32_e32 v6, v10, v6
	v_div_scale_f32 v10, vcc, v5, v7, v5
	v_mul_f32_e32 v11, v10, v6
	v_fma_f32 v12, -v3, v11, v10
	v_fmac_f32_e32 v11, v12, v6
	v_fma_f32 v3, -v3, v11, v10
	v_div_scale_f32 v10, s[78:79], v7, v7, v4
	v_rcp_f32_e32 v12, v10
	v_div_fmas_f32 v3, v3, v6, v11
	v_div_fixup_f32 v5, v3, v7, v5
	v_fma_f32 v3, -v10, v12, 1.0
	v_fmac_f32_e32 v12, v3, v12
	v_div_scale_f32 v3, vcc, v4, v7, v4
	v_mul_f32_e32 v6, v3, v12
	v_fma_f32 v11, -v10, v6, v3
	v_fmac_f32_e32 v6, v11, v12
	v_fma_f32 v3, -v10, v6, v3
	v_div_fmas_f32 v3, v3, v12, v6
	v_div_fixup_f32 v4, v3, v7, v4
	global_store_dwordx2 v[8:9], v[4:5], off
	v_mov_b32_e32 v4, 0
.LBB29_318:                             ;   in Loop: Header=BB29_10 Depth=1
	s_or_b64 exec, exec, s[76:77]
	v_cmp_gt_i32_e32 vcc, s97, v4
	s_mov_b64 s[76:77], -1
	s_and_saveexec_b64 s[78:79], vcc
; %bb.319:                              ;   in Loop: Header=BB29_10 Depth=1
	v_cmp_eq_u32_e32 vcc, 0, v4
	s_orn2_b64 s[76:77], vcc, exec
; %bb.320:                              ;   in Loop: Header=BB29_10 Depth=1
	s_or_b64 exec, exec, s[78:79]
	s_and_b64 exec, exec, s[76:77]
	s_cbranch_execz .LBB29_348
; %bb.321:                              ;   in Loop: Header=BB29_10 Depth=1
	scratch_load_dword v3, off, off offset:48 ; 4-byte Folded Reload
	v_mov_b32_e32 v4, 0x47
	s_waitcnt vmcnt(0)
	v_add_u32_e32 v3, v3, v101
	v_cmp_gt_i32_e32 vcc, s36, v3
	s_and_b64 s[78:79], vcc, s[8:9]
	s_and_saveexec_b64 s[76:77], s[78:79]
	s_cbranch_execz .LBB29_323
; %bb.322:                              ;   in Loop: Header=BB29_10 Depth=1
	scratch_load_dword v6, off, off offset:52 ; 4-byte Folded Reload
	v_mad_u64_u32 v[12:13], s[78:79], v3, s37, v[128:129]
	s_waitcnt vmcnt(0)
	v_add_u32_e32 v4, v183, v6
	ds_read2st64_b32 v[4:5], v4 offset1:17
	v_add_u32_e32 v8, 0, v6
	ds_read2_b32 v[6:7], v8 offset0:64 offset1:65
	ds_read_b32 v8, v8 offset:4608
	s_waitcnt lgkmcnt(2)
	v_cvt_f32_f16_e32 v10, v4
	v_cvt_f32_f16_sdwa v11, v4 dst_sel:DWORD dst_unused:UNUSED_PAD src0_sel:WORD_1
	v_cvt_f32_f16_e32 v4, v5
	v_cvt_f32_f16_sdwa v5, v5 dst_sel:DWORD dst_unused:UNUSED_PAD src0_sel:WORD_1
	s_waitcnt lgkmcnt(1)
	v_pk_fma_f32 v[10:11], v[6:7], v[10:11], 0 op_sel_hi:[0,1,0]
	s_waitcnt lgkmcnt(0)
	v_pk_fma_f32 v[4:5], v[8:9], v[4:5], v[10:11] op_sel_hi:[0,1,1]
	v_div_scale_f32 v3, s[78:79], v7, v7, v5
	v_rcp_f32_e32 v6, v3
	v_lshl_add_u32 v8, v12, 7, v98
	v_ashrrev_i32_e32 v9, 31, v8
	v_lshl_add_u64 v[8:9], v[8:9], 3, v[150:151]
	v_fma_f32 v10, -v3, v6, 1.0
	v_fmac_f32_e32 v6, v10, v6
	v_div_scale_f32 v10, vcc, v5, v7, v5
	v_mul_f32_e32 v11, v10, v6
	v_fma_f32 v12, -v3, v11, v10
	v_fmac_f32_e32 v11, v12, v6
	v_fma_f32 v3, -v3, v11, v10
	v_div_scale_f32 v10, s[78:79], v7, v7, v4
	v_rcp_f32_e32 v12, v10
	v_div_fmas_f32 v3, v3, v6, v11
	v_div_fixup_f32 v5, v3, v7, v5
	v_fma_f32 v3, -v10, v12, 1.0
	v_fmac_f32_e32 v12, v3, v12
	v_div_scale_f32 v3, vcc, v4, v7, v4
	v_mul_f32_e32 v6, v3, v12
	v_fma_f32 v11, -v10, v6, v3
	v_fmac_f32_e32 v6, v11, v12
	v_fma_f32 v3, -v10, v6, v3
	v_div_fmas_f32 v3, v3, v12, v6
	v_div_fixup_f32 v4, v3, v7, v4
	global_store_dwordx2 v[8:9], v[4:5], off
	v_mov_b32_e32 v4, 0
.LBB29_323:                             ;   in Loop: Header=BB29_10 Depth=1
	s_or_b64 exec, exec, s[76:77]
	v_cmp_gt_i32_e32 vcc, s97, v4
	s_mov_b64 s[76:77], -1
	s_and_saveexec_b64 s[78:79], vcc
; %bb.324:                              ;   in Loop: Header=BB29_10 Depth=1
	v_cmp_eq_u32_e32 vcc, 0, v4
	s_orn2_b64 s[76:77], vcc, exec
; %bb.325:                              ;   in Loop: Header=BB29_10 Depth=1
	s_or_b64 exec, exec, s[78:79]
	s_and_b64 exec, exec, s[76:77]
	s_cbranch_execz .LBB29_348
; %bb.326:                              ;   in Loop: Header=BB29_10 Depth=1
	scratch_load_dword v3, off, off offset:56 ; 4-byte Folded Reload
	v_mov_b32_e32 v4, 0x47
	s_waitcnt vmcnt(0)
	v_add_u32_e32 v3, v3, v101
	v_cmp_gt_i32_e32 vcc, s36, v3
	s_and_b64 s[78:79], vcc, s[8:9]
	s_and_saveexec_b64 s[76:77], s[78:79]
	s_cbranch_execz .LBB29_328
; %bb.327:                              ;   in Loop: Header=BB29_10 Depth=1
	scratch_load_dword v6, off, off offset:60 ; 4-byte Folded Reload
	v_mad_u64_u32 v[12:13], s[78:79], v3, s37, v[128:129]
	s_waitcnt vmcnt(0)
	v_add_u32_e32 v4, v183, v6
	ds_read2st64_b32 v[4:5], v4 offset1:17
	v_add_u32_e32 v8, 0, v6
	ds_read2_b32 v[6:7], v8 offset0:64 offset1:65
	ds_read_b32 v8, v8 offset:4608
	s_waitcnt lgkmcnt(2)
	v_cvt_f32_f16_e32 v10, v4
	v_cvt_f32_f16_sdwa v11, v4 dst_sel:DWORD dst_unused:UNUSED_PAD src0_sel:WORD_1
	v_cvt_f32_f16_e32 v4, v5
	v_cvt_f32_f16_sdwa v5, v5 dst_sel:DWORD dst_unused:UNUSED_PAD src0_sel:WORD_1
	s_waitcnt lgkmcnt(1)
	v_pk_fma_f32 v[10:11], v[6:7], v[10:11], 0 op_sel_hi:[0,1,0]
	s_waitcnt lgkmcnt(0)
	v_pk_fma_f32 v[4:5], v[8:9], v[4:5], v[10:11] op_sel_hi:[0,1,1]
	v_div_scale_f32 v3, s[78:79], v7, v7, v5
	v_rcp_f32_e32 v6, v3
	v_lshl_add_u32 v8, v12, 7, v98
	v_ashrrev_i32_e32 v9, 31, v8
	v_lshl_add_u64 v[8:9], v[8:9], 3, v[150:151]
	v_fma_f32 v10, -v3, v6, 1.0
	v_fmac_f32_e32 v6, v10, v6
	v_div_scale_f32 v10, vcc, v5, v7, v5
	v_mul_f32_e32 v11, v10, v6
	v_fma_f32 v12, -v3, v11, v10
	v_fmac_f32_e32 v11, v12, v6
	v_fma_f32 v3, -v3, v11, v10
	v_div_scale_f32 v10, s[78:79], v7, v7, v4
	v_rcp_f32_e32 v12, v10
	v_div_fmas_f32 v3, v3, v6, v11
	v_div_fixup_f32 v5, v3, v7, v5
	v_fma_f32 v3, -v10, v12, 1.0
	v_fmac_f32_e32 v12, v3, v12
	v_div_scale_f32 v3, vcc, v4, v7, v4
	v_mul_f32_e32 v6, v3, v12
	v_fma_f32 v11, -v10, v6, v3
	v_fmac_f32_e32 v6, v11, v12
	v_fma_f32 v3, -v10, v6, v3
	v_div_fmas_f32 v3, v3, v12, v6
	v_div_fixup_f32 v4, v3, v7, v4
	global_store_dwordx2 v[8:9], v[4:5], off
	v_mov_b32_e32 v4, 0
.LBB29_328:                             ;   in Loop: Header=BB29_10 Depth=1
	s_or_b64 exec, exec, s[76:77]
	v_cmp_gt_i32_e32 vcc, s97, v4
	s_mov_b64 s[76:77], -1
	s_and_saveexec_b64 s[78:79], vcc
; %bb.329:                              ;   in Loop: Header=BB29_10 Depth=1
	v_cmp_eq_u32_e32 vcc, 0, v4
	s_orn2_b64 s[76:77], vcc, exec
; %bb.330:                              ;   in Loop: Header=BB29_10 Depth=1
	s_or_b64 exec, exec, s[78:79]
	s_and_b64 exec, exec, s[76:77]
	s_cbranch_execz .LBB29_348
; %bb.331:                              ;   in Loop: Header=BB29_10 Depth=1
	scratch_load_dword v3, off, off offset:64 ; 4-byte Folded Reload
	v_mov_b32_e32 v4, 0x47
	s_waitcnt vmcnt(0)
	v_add_u32_e32 v3, v3, v101
	v_cmp_gt_i32_e32 vcc, s36, v3
	s_and_b64 s[78:79], vcc, s[8:9]
	s_and_saveexec_b64 s[76:77], s[78:79]
	s_cbranch_execz .LBB29_333
; %bb.332:                              ;   in Loop: Header=BB29_10 Depth=1
	scratch_load_dword v6, off, off offset:68 ; 4-byte Folded Reload
	v_mad_u64_u32 v[12:13], s[78:79], v3, s37, v[128:129]
	s_waitcnt vmcnt(0)
	v_add_u32_e32 v4, v183, v6
	ds_read2st64_b32 v[4:5], v4 offset1:17
	v_add_u32_e32 v8, 0, v6
	ds_read2_b32 v[6:7], v8 offset0:64 offset1:65
	ds_read_b32 v8, v8 offset:4608
	s_waitcnt lgkmcnt(2)
	v_cvt_f32_f16_e32 v10, v4
	v_cvt_f32_f16_sdwa v11, v4 dst_sel:DWORD dst_unused:UNUSED_PAD src0_sel:WORD_1
	v_cvt_f32_f16_e32 v4, v5
	v_cvt_f32_f16_sdwa v5, v5 dst_sel:DWORD dst_unused:UNUSED_PAD src0_sel:WORD_1
	s_waitcnt lgkmcnt(1)
	v_pk_fma_f32 v[10:11], v[6:7], v[10:11], 0 op_sel_hi:[0,1,0]
	s_waitcnt lgkmcnt(0)
	v_pk_fma_f32 v[4:5], v[8:9], v[4:5], v[10:11] op_sel_hi:[0,1,1]
	v_div_scale_f32 v3, s[78:79], v7, v7, v5
	v_rcp_f32_e32 v6, v3
	v_lshl_add_u32 v8, v12, 7, v98
	v_ashrrev_i32_e32 v9, 31, v8
	v_lshl_add_u64 v[8:9], v[8:9], 3, v[150:151]
	v_fma_f32 v10, -v3, v6, 1.0
	v_fmac_f32_e32 v6, v10, v6
	v_div_scale_f32 v10, vcc, v5, v7, v5
	v_mul_f32_e32 v11, v10, v6
	v_fma_f32 v12, -v3, v11, v10
	v_fmac_f32_e32 v11, v12, v6
	v_fma_f32 v3, -v3, v11, v10
	v_div_scale_f32 v10, s[78:79], v7, v7, v4
	v_rcp_f32_e32 v12, v10
	v_div_fmas_f32 v3, v3, v6, v11
	v_div_fixup_f32 v5, v3, v7, v5
	v_fma_f32 v3, -v10, v12, 1.0
	v_fmac_f32_e32 v12, v3, v12
	v_div_scale_f32 v3, vcc, v4, v7, v4
	v_mul_f32_e32 v6, v3, v12
	v_fma_f32 v11, -v10, v6, v3
	v_fmac_f32_e32 v6, v11, v12
	v_fma_f32 v3, -v10, v6, v3
	v_div_fmas_f32 v3, v3, v12, v6
	v_div_fixup_f32 v4, v3, v7, v4
	global_store_dwordx2 v[8:9], v[4:5], off
	v_mov_b32_e32 v4, 0
.LBB29_333:                             ;   in Loop: Header=BB29_10 Depth=1
	s_or_b64 exec, exec, s[76:77]
	v_cmp_gt_i32_e32 vcc, s97, v4
	s_mov_b64 s[76:77], -1
	s_and_saveexec_b64 s[78:79], vcc
; %bb.334:                              ;   in Loop: Header=BB29_10 Depth=1
	v_cmp_eq_u32_e32 vcc, 0, v4
	s_orn2_b64 s[76:77], vcc, exec
; %bb.335:                              ;   in Loop: Header=BB29_10 Depth=1
	s_or_b64 exec, exec, s[78:79]
	s_and_b64 exec, exec, s[76:77]
	s_cbranch_execz .LBB29_348
; %bb.336:                              ;   in Loop: Header=BB29_10 Depth=1
	scratch_load_dword v3, off, off offset:72 ; 4-byte Folded Reload
	v_mov_b32_e32 v4, 0x47
	s_waitcnt vmcnt(0)
	v_add_u32_e32 v3, v3, v101
	v_cmp_gt_i32_e32 vcc, s36, v3
	s_and_b64 s[78:79], vcc, s[8:9]
	s_and_saveexec_b64 s[76:77], s[78:79]
	s_cbranch_execz .LBB29_338
; %bb.337:                              ;   in Loop: Header=BB29_10 Depth=1
	scratch_load_dword v6, off, off offset:76 ; 4-byte Folded Reload
	v_mad_u64_u32 v[12:13], s[78:79], v3, s37, v[128:129]
	s_waitcnt vmcnt(0)
	v_add_u32_e32 v4, v183, v6
	ds_read2st64_b32 v[4:5], v4 offset1:17
	v_add_u32_e32 v8, 0, v6
	ds_read2_b32 v[6:7], v8 offset0:64 offset1:65
	ds_read_b32 v8, v8 offset:4608
	s_waitcnt lgkmcnt(2)
	v_cvt_f32_f16_e32 v10, v4
	v_cvt_f32_f16_sdwa v11, v4 dst_sel:DWORD dst_unused:UNUSED_PAD src0_sel:WORD_1
	v_cvt_f32_f16_e32 v4, v5
	v_cvt_f32_f16_sdwa v5, v5 dst_sel:DWORD dst_unused:UNUSED_PAD src0_sel:WORD_1
	s_waitcnt lgkmcnt(1)
	v_pk_fma_f32 v[10:11], v[6:7], v[10:11], 0 op_sel_hi:[0,1,0]
	s_waitcnt lgkmcnt(0)
	v_pk_fma_f32 v[4:5], v[8:9], v[4:5], v[10:11] op_sel_hi:[0,1,1]
	v_div_scale_f32 v3, s[78:79], v7, v7, v5
	v_rcp_f32_e32 v6, v3
	v_lshl_add_u32 v8, v12, 7, v98
	v_ashrrev_i32_e32 v9, 31, v8
	v_lshl_add_u64 v[8:9], v[8:9], 3, v[150:151]
	v_fma_f32 v10, -v3, v6, 1.0
	v_fmac_f32_e32 v6, v10, v6
	v_div_scale_f32 v10, vcc, v5, v7, v5
	v_mul_f32_e32 v11, v10, v6
	v_fma_f32 v12, -v3, v11, v10
	v_fmac_f32_e32 v11, v12, v6
	v_fma_f32 v3, -v3, v11, v10
	v_div_scale_f32 v10, s[78:79], v7, v7, v4
	v_rcp_f32_e32 v12, v10
	v_div_fmas_f32 v3, v3, v6, v11
	v_div_fixup_f32 v5, v3, v7, v5
	v_fma_f32 v3, -v10, v12, 1.0
	v_fmac_f32_e32 v12, v3, v12
	v_div_scale_f32 v3, vcc, v4, v7, v4
	v_mul_f32_e32 v6, v3, v12
	v_fma_f32 v11, -v10, v6, v3
	v_fmac_f32_e32 v6, v11, v12
	v_fma_f32 v3, -v10, v6, v3
	v_div_fmas_f32 v3, v3, v12, v6
	v_div_fixup_f32 v4, v3, v7, v4
	global_store_dwordx2 v[8:9], v[4:5], off
	v_mov_b32_e32 v4, 0
.LBB29_338:                             ;   in Loop: Header=BB29_10 Depth=1
	s_or_b64 exec, exec, s[76:77]
	v_cmp_gt_i32_e32 vcc, s97, v4
	s_mov_b64 s[76:77], -1
	s_and_saveexec_b64 s[78:79], vcc
; %bb.339:                              ;   in Loop: Header=BB29_10 Depth=1
	v_cmp_eq_u32_e32 vcc, 0, v4
	s_orn2_b64 s[76:77], vcc, exec
; %bb.340:                              ;   in Loop: Header=BB29_10 Depth=1
	s_or_b64 exec, exec, s[78:79]
	s_and_b64 exec, exec, s[76:77]
	s_cbranch_execz .LBB29_348
; %bb.341:                              ;   in Loop: Header=BB29_10 Depth=1
	scratch_load_dword v3, off, off offset:80 ; 4-byte Folded Reload
	v_mov_b32_e32 v4, 0x47
	s_waitcnt vmcnt(0)
	v_add_u32_e32 v3, v3, v101
	v_cmp_gt_i32_e32 vcc, s36, v3
	s_and_b64 s[78:79], vcc, s[8:9]
	s_and_saveexec_b64 s[76:77], s[78:79]
	s_cbranch_execz .LBB29_343
; %bb.342:                              ;   in Loop: Header=BB29_10 Depth=1
	scratch_load_dword v6, off, off offset:84 ; 4-byte Folded Reload
	v_mad_u64_u32 v[12:13], s[78:79], v3, s37, v[128:129]
	s_waitcnt vmcnt(0)
	v_add_u32_e32 v4, v183, v6
	ds_read2st64_b32 v[4:5], v4 offset1:17
	v_add_u32_e32 v8, 0, v6
	ds_read2_b32 v[6:7], v8 offset0:64 offset1:65
	ds_read_b32 v8, v8 offset:4608
	s_waitcnt lgkmcnt(2)
	v_cvt_f32_f16_e32 v10, v4
	v_cvt_f32_f16_sdwa v11, v4 dst_sel:DWORD dst_unused:UNUSED_PAD src0_sel:WORD_1
	v_cvt_f32_f16_e32 v4, v5
	v_cvt_f32_f16_sdwa v5, v5 dst_sel:DWORD dst_unused:UNUSED_PAD src0_sel:WORD_1
	s_waitcnt lgkmcnt(1)
	v_pk_fma_f32 v[10:11], v[6:7], v[10:11], 0 op_sel_hi:[0,1,0]
	s_waitcnt lgkmcnt(0)
	v_pk_fma_f32 v[4:5], v[8:9], v[4:5], v[10:11] op_sel_hi:[0,1,1]
	v_div_scale_f32 v3, s[78:79], v7, v7, v5
	v_rcp_f32_e32 v6, v3
	v_lshl_add_u32 v8, v12, 7, v98
	v_ashrrev_i32_e32 v9, 31, v8
	v_lshl_add_u64 v[8:9], v[8:9], 3, v[150:151]
	v_fma_f32 v10, -v3, v6, 1.0
	v_fmac_f32_e32 v6, v10, v6
	v_div_scale_f32 v10, vcc, v5, v7, v5
	v_mul_f32_e32 v11, v10, v6
	v_fma_f32 v12, -v3, v11, v10
	v_fmac_f32_e32 v11, v12, v6
	v_fma_f32 v3, -v3, v11, v10
	v_div_scale_f32 v10, s[78:79], v7, v7, v4
	v_rcp_f32_e32 v12, v10
	v_div_fmas_f32 v3, v3, v6, v11
	v_div_fixup_f32 v5, v3, v7, v5
	v_fma_f32 v3, -v10, v12, 1.0
	v_fmac_f32_e32 v12, v3, v12
	v_div_scale_f32 v3, vcc, v4, v7, v4
	v_mul_f32_e32 v6, v3, v12
	v_fma_f32 v11, -v10, v6, v3
	v_fmac_f32_e32 v6, v11, v12
	v_fma_f32 v3, -v10, v6, v3
	v_div_fmas_f32 v3, v3, v12, v6
	v_div_fixup_f32 v4, v3, v7, v4
	global_store_dwordx2 v[8:9], v[4:5], off
	v_mov_b32_e32 v4, 0
.LBB29_343:                             ;   in Loop: Header=BB29_10 Depth=1
	s_or_b64 exec, exec, s[76:77]
	v_cmp_gt_i32_e32 vcc, s97, v4
	s_mov_b64 s[76:77], -1
	s_and_saveexec_b64 s[78:79], vcc
; %bb.344:                              ;   in Loop: Header=BB29_10 Depth=1
	v_cmp_eq_u32_e32 vcc, 0, v4
	s_orn2_b64 s[76:77], vcc, exec
; %bb.345:                              ;   in Loop: Header=BB29_10 Depth=1
	s_or_b64 exec, exec, s[78:79]
	s_and_b64 exec, exec, s[76:77]
	s_cbranch_execz .LBB29_348
; %bb.346:                              ;   in Loop: Header=BB29_10 Depth=1
	scratch_load_dword v3, off, off offset:88 ; 4-byte Folded Reload
	s_waitcnt vmcnt(0)
	v_add_u32_e32 v3, v3, v101
	v_cmp_gt_i32_e32 vcc, s36, v3
	s_and_b64 s[8:9], vcc, s[8:9]
	s_and_b64 exec, exec, s[8:9]
	s_cbranch_execz .LBB29_348
; %bb.347:                              ;   in Loop: Header=BB29_10 Depth=1
	scratch_load_dword v6, off, off offset:92 ; 4-byte Folded Reload
	v_mad_u64_u32 v[12:13], s[8:9], v3, s37, v[128:129]
	s_waitcnt vmcnt(0)
	v_add_u32_e32 v4, v183, v6
	ds_read2st64_b32 v[4:5], v4 offset1:17
	v_add_u32_e32 v8, 0, v6
	ds_read2_b32 v[6:7], v8 offset0:64 offset1:65
	ds_read_b32 v8, v8 offset:4608
	s_waitcnt lgkmcnt(2)
	v_cvt_f32_f16_e32 v10, v4
	v_cvt_f32_f16_sdwa v11, v4 dst_sel:DWORD dst_unused:UNUSED_PAD src0_sel:WORD_1
	v_cvt_f32_f16_e32 v4, v5
	v_cvt_f32_f16_sdwa v5, v5 dst_sel:DWORD dst_unused:UNUSED_PAD src0_sel:WORD_1
	s_waitcnt lgkmcnt(1)
	v_pk_fma_f32 v[10:11], v[6:7], v[10:11], 0 op_sel_hi:[0,1,0]
	s_waitcnt lgkmcnt(0)
	v_pk_fma_f32 v[4:5], v[8:9], v[4:5], v[10:11] op_sel_hi:[0,1,1]
	v_div_scale_f32 v3, s[8:9], v7, v7, v5
	v_rcp_f32_e32 v6, v3
	v_lshl_add_u32 v8, v12, 7, v98
	v_ashrrev_i32_e32 v9, 31, v8
	v_lshl_add_u64 v[8:9], v[8:9], 3, v[150:151]
	v_fma_f32 v10, -v3, v6, 1.0
	v_fmac_f32_e32 v6, v10, v6
	v_div_scale_f32 v10, vcc, v5, v7, v5
	v_mul_f32_e32 v11, v10, v6
	v_fma_f32 v12, -v3, v11, v10
	v_fmac_f32_e32 v11, v12, v6
	v_fma_f32 v3, -v3, v11, v10
	v_div_scale_f32 v10, s[8:9], v7, v7, v4
	v_rcp_f32_e32 v12, v10
	v_div_fmas_f32 v3, v3, v6, v11
	v_div_fixup_f32 v5, v3, v7, v5
	v_fma_f32 v3, -v10, v12, 1.0
	v_fmac_f32_e32 v12, v3, v12
	v_div_scale_f32 v3, vcc, v4, v7, v4
	v_mul_f32_e32 v6, v3, v12
	v_fma_f32 v11, -v10, v6, v3
	v_fmac_f32_e32 v6, v11, v12
	v_fma_f32 v3, -v10, v6, v3
	v_div_fmas_f32 v3, v3, v12, v6
	v_div_fixup_f32 v4, v3, v7, v4
	global_store_dwordx2 v[8:9], v[4:5], off
.LBB29_348:                             ;   in Loop: Header=BB29_10 Depth=1
	s_or_b64 exec, exec, s[12:13]
	s_barrier
	ds_write2_b32 v2, v75, v42 offset1:1
	ds_write2_b32 v2, v77, v48 offset0:8 offset1:9
	ds_write2_b32 v2, v50, v54 offset0:16 offset1:17
	;; [unrolled: 1-line block ×7, first 2 shown]
	s_waitcnt lgkmcnt(0)
	s_barrier
	s_and_saveexec_b64 s[12:13], s[0:1]
	s_cbranch_execz .LBB29_8
; %bb.349:                              ;   in Loop: Header=BB29_10 Depth=1
	v_add_u32_e32 v2, v253, v101
	v_or_b32_e32 v3, v128, v131
	v_cmp_gt_i32_e32 vcc, s36, v2
	v_cmp_gt_i32_e64 s[8:9], s3, v3
	s_and_b64 s[78:79], vcc, s[8:9]
	v_mov_b32_e32 v3, 0x47
	s_and_saveexec_b64 s[76:77], s[78:79]
	s_cbranch_execz .LBB29_351
; %bb.350:                              ;   in Loop: Header=BB29_10 Depth=1
	v_add_u32_e32 v3, v183, v201
	ds_read2st64_b32 v[4:5], v3 offset1:17
	v_add_u32_e32 v3, 0, v201
	ds_read2_b32 v[6:7], v3 offset0:64 offset1:65
	ds_read_b32 v8, v3 offset:4608
	v_mad_u64_u32 v[2:3], s[78:79], v2, s37, v[128:129]
	s_waitcnt lgkmcnt(2)
	v_cvt_f32_f16_e32 v10, v4
	v_cvt_f32_f16_sdwa v11, v4 dst_sel:DWORD dst_unused:UNUSED_PAD src0_sel:WORD_1
	v_cvt_f32_f16_e32 v4, v5
	v_cvt_f32_f16_sdwa v5, v5 dst_sel:DWORD dst_unused:UNUSED_PAD src0_sel:WORD_1
	v_lshl_add_u32 v2, v2, 7, v236
	s_waitcnt lgkmcnt(1)
	v_pk_fma_f32 v[10:11], v[6:7], v[10:11], 0 op_sel_hi:[0,1,0]
	v_ashrrev_i32_e32 v3, 31, v2
	s_waitcnt lgkmcnt(0)
	v_pk_fma_f32 v[4:5], v[8:9], v[4:5], v[10:11] op_sel_hi:[0,1,1]
	v_div_scale_f32 v6, s[78:79], v7, v7, v5
	v_rcp_f32_e32 v8, v6
	v_lshl_add_u64 v[2:3], v[2:3], 3, v[150:151]
	v_fma_f32 v9, -v6, v8, 1.0
	v_fmac_f32_e32 v8, v9, v8
	v_div_scale_f32 v9, vcc, v5, v7, v5
	v_mul_f32_e32 v10, v9, v8
	v_fma_f32 v11, -v6, v10, v9
	v_fmac_f32_e32 v10, v11, v8
	v_fma_f32 v6, -v6, v10, v9
	v_div_scale_f32 v9, s[78:79], v7, v7, v4
	v_rcp_f32_e32 v11, v9
	v_div_fmas_f32 v6, v6, v8, v10
	v_div_fixup_f32 v5, v6, v7, v5
	v_fma_f32 v6, -v9, v11, 1.0
	v_fmac_f32_e32 v11, v6, v11
	v_div_scale_f32 v6, vcc, v4, v7, v4
	v_mul_f32_e32 v8, v6, v11
	v_fma_f32 v10, -v9, v8, v6
	v_fmac_f32_e32 v8, v10, v11
	v_fma_f32 v6, -v9, v8, v6
	v_div_fmas_f32 v6, v6, v11, v8
	v_div_fixup_f32 v4, v6, v7, v4
	global_store_dwordx2 v[2:3], v[4:5], off
	v_mov_b32_e32 v3, 0
.LBB29_351:                             ;   in Loop: Header=BB29_10 Depth=1
	s_or_b64 exec, exec, s[76:77]
	v_cmp_gt_i32_e32 vcc, s97, v3
	s_mov_b64 s[76:77], -1
	s_and_saveexec_b64 s[78:79], vcc
; %bb.352:                              ;   in Loop: Header=BB29_10 Depth=1
	v_cmp_eq_u32_e32 vcc, 0, v3
	s_orn2_b64 s[76:77], vcc, exec
; %bb.353:                              ;   in Loop: Header=BB29_10 Depth=1
	s_or_b64 exec, exec, s[78:79]
	s_and_b64 exec, exec, s[76:77]
	s_cbranch_execz .LBB29_8
; %bb.354:                              ;   in Loop: Header=BB29_10 Depth=1
	v_add_u32_e32 v2, v202, v101
	v_cmp_gt_i32_e32 vcc, s36, v2
	s_and_b64 s[78:79], vcc, s[8:9]
	v_mov_b32_e32 v3, 0x47
	s_and_saveexec_b64 s[76:77], s[78:79]
	s_cbranch_execz .LBB29_356
; %bb.355:                              ;   in Loop: Header=BB29_10 Depth=1
	v_add_u32_e32 v3, v183, v203
	ds_read2st64_b32 v[4:5], v3 offset1:17
	v_add_u32_e32 v3, 0, v203
	ds_read2_b32 v[6:7], v3 offset0:64 offset1:65
	ds_read_b32 v8, v3 offset:4608
	v_mad_u64_u32 v[2:3], s[78:79], v2, s37, v[128:129]
	s_waitcnt lgkmcnt(2)
	v_cvt_f32_f16_e32 v10, v4
	v_cvt_f32_f16_sdwa v11, v4 dst_sel:DWORD dst_unused:UNUSED_PAD src0_sel:WORD_1
	v_cvt_f32_f16_e32 v4, v5
	v_cvt_f32_f16_sdwa v5, v5 dst_sel:DWORD dst_unused:UNUSED_PAD src0_sel:WORD_1
	v_lshl_add_u32 v2, v2, 7, v236
	s_waitcnt lgkmcnt(1)
	v_pk_fma_f32 v[10:11], v[6:7], v[10:11], 0 op_sel_hi:[0,1,0]
	v_ashrrev_i32_e32 v3, 31, v2
	s_waitcnt lgkmcnt(0)
	v_pk_fma_f32 v[4:5], v[8:9], v[4:5], v[10:11] op_sel_hi:[0,1,1]
	v_div_scale_f32 v6, s[78:79], v7, v7, v5
	v_rcp_f32_e32 v8, v6
	v_lshl_add_u64 v[2:3], v[2:3], 3, v[150:151]
	v_fma_f32 v9, -v6, v8, 1.0
	v_fmac_f32_e32 v8, v9, v8
	v_div_scale_f32 v9, vcc, v5, v7, v5
	v_mul_f32_e32 v10, v9, v8
	v_fma_f32 v11, -v6, v10, v9
	v_fmac_f32_e32 v10, v11, v8
	v_fma_f32 v6, -v6, v10, v9
	v_div_scale_f32 v9, s[78:79], v7, v7, v4
	v_rcp_f32_e32 v11, v9
	v_div_fmas_f32 v6, v6, v8, v10
	v_div_fixup_f32 v5, v6, v7, v5
	v_fma_f32 v6, -v9, v11, 1.0
	v_fmac_f32_e32 v11, v6, v11
	v_div_scale_f32 v6, vcc, v4, v7, v4
	v_mul_f32_e32 v8, v6, v11
	v_fma_f32 v10, -v9, v8, v6
	v_fmac_f32_e32 v8, v10, v11
	v_fma_f32 v6, -v9, v8, v6
	v_div_fmas_f32 v6, v6, v11, v8
	v_div_fixup_f32 v4, v6, v7, v4
	global_store_dwordx2 v[2:3], v[4:5], off
	v_mov_b32_e32 v3, 0
.LBB29_356:                             ;   in Loop: Header=BB29_10 Depth=1
	s_or_b64 exec, exec, s[76:77]
	v_cmp_gt_i32_e32 vcc, s97, v3
	s_mov_b64 s[76:77], -1
	s_and_saveexec_b64 s[78:79], vcc
; %bb.357:                              ;   in Loop: Header=BB29_10 Depth=1
	v_cmp_eq_u32_e32 vcc, 0, v3
	s_orn2_b64 s[76:77], vcc, exec
; %bb.358:                              ;   in Loop: Header=BB29_10 Depth=1
	s_or_b64 exec, exec, s[78:79]
	s_and_b64 exec, exec, s[76:77]
	s_cbranch_execz .LBB29_8
; %bb.359:                              ;   in Loop: Header=BB29_10 Depth=1
	v_add_u32_e32 v2, v204, v101
	v_cmp_gt_i32_e32 vcc, s36, v2
	s_and_b64 s[78:79], vcc, s[8:9]
	v_mov_b32_e32 v3, 0x47
	s_and_saveexec_b64 s[76:77], s[78:79]
	s_cbranch_execz .LBB29_361
; %bb.360:                              ;   in Loop: Header=BB29_10 Depth=1
	v_add_u32_e32 v3, v183, v205
	ds_read2st64_b32 v[4:5], v3 offset1:17
	v_add_u32_e32 v3, 0, v205
	ds_read2_b32 v[6:7], v3 offset0:64 offset1:65
	ds_read_b32 v8, v3 offset:4608
	v_mad_u64_u32 v[2:3], s[78:79], v2, s37, v[128:129]
	s_waitcnt lgkmcnt(2)
	v_cvt_f32_f16_e32 v10, v4
	v_cvt_f32_f16_sdwa v11, v4 dst_sel:DWORD dst_unused:UNUSED_PAD src0_sel:WORD_1
	v_cvt_f32_f16_e32 v4, v5
	v_cvt_f32_f16_sdwa v5, v5 dst_sel:DWORD dst_unused:UNUSED_PAD src0_sel:WORD_1
	v_lshl_add_u32 v2, v2, 7, v236
	s_waitcnt lgkmcnt(1)
	v_pk_fma_f32 v[10:11], v[6:7], v[10:11], 0 op_sel_hi:[0,1,0]
	v_ashrrev_i32_e32 v3, 31, v2
	s_waitcnt lgkmcnt(0)
	v_pk_fma_f32 v[4:5], v[8:9], v[4:5], v[10:11] op_sel_hi:[0,1,1]
	v_div_scale_f32 v6, s[78:79], v7, v7, v5
	v_rcp_f32_e32 v8, v6
	v_lshl_add_u64 v[2:3], v[2:3], 3, v[150:151]
	v_fma_f32 v9, -v6, v8, 1.0
	v_fmac_f32_e32 v8, v9, v8
	v_div_scale_f32 v9, vcc, v5, v7, v5
	v_mul_f32_e32 v10, v9, v8
	v_fma_f32 v11, -v6, v10, v9
	v_fmac_f32_e32 v10, v11, v8
	v_fma_f32 v6, -v6, v10, v9
	v_div_scale_f32 v9, s[78:79], v7, v7, v4
	v_rcp_f32_e32 v11, v9
	v_div_fmas_f32 v6, v6, v8, v10
	v_div_fixup_f32 v5, v6, v7, v5
	v_fma_f32 v6, -v9, v11, 1.0
	v_fmac_f32_e32 v11, v6, v11
	v_div_scale_f32 v6, vcc, v4, v7, v4
	v_mul_f32_e32 v8, v6, v11
	v_fma_f32 v10, -v9, v8, v6
	v_fmac_f32_e32 v8, v10, v11
	v_fma_f32 v6, -v9, v8, v6
	v_div_fmas_f32 v6, v6, v11, v8
	v_div_fixup_f32 v4, v6, v7, v4
	global_store_dwordx2 v[2:3], v[4:5], off
	v_mov_b32_e32 v3, 0
.LBB29_361:                             ;   in Loop: Header=BB29_10 Depth=1
	s_or_b64 exec, exec, s[76:77]
	v_cmp_gt_i32_e32 vcc, s97, v3
	s_mov_b64 s[76:77], -1
	s_and_saveexec_b64 s[78:79], vcc
; %bb.362:                              ;   in Loop: Header=BB29_10 Depth=1
	v_cmp_eq_u32_e32 vcc, 0, v3
	s_orn2_b64 s[76:77], vcc, exec
; %bb.363:                              ;   in Loop: Header=BB29_10 Depth=1
	s_or_b64 exec, exec, s[78:79]
	s_and_b64 exec, exec, s[76:77]
	s_cbranch_execz .LBB29_8
; %bb.364:                              ;   in Loop: Header=BB29_10 Depth=1
	v_add_u32_e32 v2, v206, v101
	v_cmp_gt_i32_e32 vcc, s36, v2
	s_and_b64 s[78:79], vcc, s[8:9]
	v_mov_b32_e32 v3, 0x47
	s_and_saveexec_b64 s[76:77], s[78:79]
	s_cbranch_execz .LBB29_366
; %bb.365:                              ;   in Loop: Header=BB29_10 Depth=1
	v_add_u32_e32 v3, v183, v207
	ds_read2st64_b32 v[4:5], v3 offset1:17
	v_add_u32_e32 v3, 0, v207
	ds_read2_b32 v[6:7], v3 offset0:64 offset1:65
	ds_read_b32 v8, v3 offset:4608
	v_mad_u64_u32 v[2:3], s[78:79], v2, s37, v[128:129]
	s_waitcnt lgkmcnt(2)
	v_cvt_f32_f16_e32 v10, v4
	v_cvt_f32_f16_sdwa v11, v4 dst_sel:DWORD dst_unused:UNUSED_PAD src0_sel:WORD_1
	v_cvt_f32_f16_e32 v4, v5
	v_cvt_f32_f16_sdwa v5, v5 dst_sel:DWORD dst_unused:UNUSED_PAD src0_sel:WORD_1
	v_lshl_add_u32 v2, v2, 7, v236
	s_waitcnt lgkmcnt(1)
	v_pk_fma_f32 v[10:11], v[6:7], v[10:11], 0 op_sel_hi:[0,1,0]
	v_ashrrev_i32_e32 v3, 31, v2
	s_waitcnt lgkmcnt(0)
	v_pk_fma_f32 v[4:5], v[8:9], v[4:5], v[10:11] op_sel_hi:[0,1,1]
	v_div_scale_f32 v6, s[78:79], v7, v7, v5
	v_rcp_f32_e32 v8, v6
	v_lshl_add_u64 v[2:3], v[2:3], 3, v[150:151]
	v_fma_f32 v9, -v6, v8, 1.0
	v_fmac_f32_e32 v8, v9, v8
	v_div_scale_f32 v9, vcc, v5, v7, v5
	v_mul_f32_e32 v10, v9, v8
	v_fma_f32 v11, -v6, v10, v9
	v_fmac_f32_e32 v10, v11, v8
	v_fma_f32 v6, -v6, v10, v9
	v_div_scale_f32 v9, s[78:79], v7, v7, v4
	v_rcp_f32_e32 v11, v9
	v_div_fmas_f32 v6, v6, v8, v10
	v_div_fixup_f32 v5, v6, v7, v5
	v_fma_f32 v6, -v9, v11, 1.0
	v_fmac_f32_e32 v11, v6, v11
	v_div_scale_f32 v6, vcc, v4, v7, v4
	v_mul_f32_e32 v8, v6, v11
	v_fma_f32 v10, -v9, v8, v6
	v_fmac_f32_e32 v8, v10, v11
	v_fma_f32 v6, -v9, v8, v6
	v_div_fmas_f32 v6, v6, v11, v8
	v_div_fixup_f32 v4, v6, v7, v4
	global_store_dwordx2 v[2:3], v[4:5], off
	v_mov_b32_e32 v3, 0
.LBB29_366:                             ;   in Loop: Header=BB29_10 Depth=1
	s_or_b64 exec, exec, s[76:77]
	v_cmp_gt_i32_e32 vcc, s97, v3
	s_mov_b64 s[76:77], -1
	s_and_saveexec_b64 s[78:79], vcc
; %bb.367:                              ;   in Loop: Header=BB29_10 Depth=1
	v_cmp_eq_u32_e32 vcc, 0, v3
	s_orn2_b64 s[76:77], vcc, exec
; %bb.368:                              ;   in Loop: Header=BB29_10 Depth=1
	s_or_b64 exec, exec, s[78:79]
	s_and_b64 exec, exec, s[76:77]
	s_cbranch_execz .LBB29_8
; %bb.369:                              ;   in Loop: Header=BB29_10 Depth=1
	scratch_load_dword v2, off, off         ; 4-byte Folded Reload
	v_mov_b32_e32 v3, 0x47
	s_waitcnt vmcnt(0)
	v_add_u32_e32 v2, v2, v101
	v_cmp_gt_i32_e32 vcc, s36, v2
	s_and_b64 s[78:79], vcc, s[8:9]
	s_and_saveexec_b64 s[76:77], s[78:79]
	s_cbranch_execz .LBB29_371
; %bb.370:                              ;   in Loop: Header=BB29_10 Depth=1
	scratch_load_dword v6, off, off offset:4 ; 4-byte Folded Reload
	s_waitcnt vmcnt(0)
	v_add_u32_e32 v3, v183, v6
	ds_read2st64_b32 v[4:5], v3 offset1:17
	v_add_u32_e32 v3, 0, v6
	ds_read2_b32 v[6:7], v3 offset0:64 offset1:65
	ds_read_b32 v8, v3 offset:4608
	v_mad_u64_u32 v[2:3], s[78:79], v2, s37, v[128:129]
	s_waitcnt lgkmcnt(2)
	v_cvt_f32_f16_e32 v10, v4
	v_cvt_f32_f16_sdwa v11, v4 dst_sel:DWORD dst_unused:UNUSED_PAD src0_sel:WORD_1
	v_cvt_f32_f16_e32 v4, v5
	v_cvt_f32_f16_sdwa v5, v5 dst_sel:DWORD dst_unused:UNUSED_PAD src0_sel:WORD_1
	v_lshl_add_u32 v2, v2, 7, v236
	s_waitcnt lgkmcnt(1)
	v_pk_fma_f32 v[10:11], v[6:7], v[10:11], 0 op_sel_hi:[0,1,0]
	v_ashrrev_i32_e32 v3, 31, v2
	s_waitcnt lgkmcnt(0)
	v_pk_fma_f32 v[4:5], v[8:9], v[4:5], v[10:11] op_sel_hi:[0,1,1]
	v_div_scale_f32 v6, s[78:79], v7, v7, v5
	v_rcp_f32_e32 v8, v6
	v_lshl_add_u64 v[2:3], v[2:3], 3, v[150:151]
	v_fma_f32 v9, -v6, v8, 1.0
	v_fmac_f32_e32 v8, v9, v8
	v_div_scale_f32 v9, vcc, v5, v7, v5
	v_mul_f32_e32 v10, v9, v8
	v_fma_f32 v11, -v6, v10, v9
	v_fmac_f32_e32 v10, v11, v8
	v_fma_f32 v6, -v6, v10, v9
	v_div_scale_f32 v9, s[78:79], v7, v7, v4
	v_rcp_f32_e32 v11, v9
	v_div_fmas_f32 v6, v6, v8, v10
	v_div_fixup_f32 v5, v6, v7, v5
	v_fma_f32 v6, -v9, v11, 1.0
	v_fmac_f32_e32 v11, v6, v11
	v_div_scale_f32 v6, vcc, v4, v7, v4
	v_mul_f32_e32 v8, v6, v11
	v_fma_f32 v10, -v9, v8, v6
	v_fmac_f32_e32 v8, v10, v11
	v_fma_f32 v6, -v9, v8, v6
	v_div_fmas_f32 v6, v6, v11, v8
	v_div_fixup_f32 v4, v6, v7, v4
	global_store_dwordx2 v[2:3], v[4:5], off
	v_mov_b32_e32 v3, 0
.LBB29_371:                             ;   in Loop: Header=BB29_10 Depth=1
	s_or_b64 exec, exec, s[76:77]
	v_cmp_gt_i32_e32 vcc, s97, v3
	s_mov_b64 s[76:77], -1
	s_and_saveexec_b64 s[78:79], vcc
; %bb.372:                              ;   in Loop: Header=BB29_10 Depth=1
	v_cmp_eq_u32_e32 vcc, 0, v3
	s_orn2_b64 s[76:77], vcc, exec
; %bb.373:                              ;   in Loop: Header=BB29_10 Depth=1
	s_or_b64 exec, exec, s[78:79]
	s_and_b64 exec, exec, s[76:77]
	s_cbranch_execz .LBB29_8
; %bb.374:                              ;   in Loop: Header=BB29_10 Depth=1
	scratch_load_dword v2, off, off offset:8 ; 4-byte Folded Reload
	v_mov_b32_e32 v3, 0x47
	s_waitcnt vmcnt(0)
	v_add_u32_e32 v2, v2, v101
	v_cmp_gt_i32_e32 vcc, s36, v2
	s_and_b64 s[78:79], vcc, s[8:9]
	s_and_saveexec_b64 s[76:77], s[78:79]
	s_cbranch_execz .LBB29_376
; %bb.375:                              ;   in Loop: Header=BB29_10 Depth=1
	scratch_load_dword v6, off, off offset:12 ; 4-byte Folded Reload
	s_waitcnt vmcnt(0)
	v_add_u32_e32 v3, v183, v6
	ds_read2st64_b32 v[4:5], v3 offset1:17
	v_add_u32_e32 v3, 0, v6
	ds_read2_b32 v[6:7], v3 offset0:64 offset1:65
	ds_read_b32 v8, v3 offset:4608
	v_mad_u64_u32 v[2:3], s[78:79], v2, s37, v[128:129]
	s_waitcnt lgkmcnt(2)
	v_cvt_f32_f16_e32 v10, v4
	v_cvt_f32_f16_sdwa v11, v4 dst_sel:DWORD dst_unused:UNUSED_PAD src0_sel:WORD_1
	v_cvt_f32_f16_e32 v4, v5
	v_cvt_f32_f16_sdwa v5, v5 dst_sel:DWORD dst_unused:UNUSED_PAD src0_sel:WORD_1
	v_lshl_add_u32 v2, v2, 7, v236
	s_waitcnt lgkmcnt(1)
	v_pk_fma_f32 v[10:11], v[6:7], v[10:11], 0 op_sel_hi:[0,1,0]
	v_ashrrev_i32_e32 v3, 31, v2
	s_waitcnt lgkmcnt(0)
	v_pk_fma_f32 v[4:5], v[8:9], v[4:5], v[10:11] op_sel_hi:[0,1,1]
	v_div_scale_f32 v6, s[78:79], v7, v7, v5
	v_rcp_f32_e32 v8, v6
	v_lshl_add_u64 v[2:3], v[2:3], 3, v[150:151]
	v_fma_f32 v9, -v6, v8, 1.0
	v_fmac_f32_e32 v8, v9, v8
	v_div_scale_f32 v9, vcc, v5, v7, v5
	v_mul_f32_e32 v10, v9, v8
	v_fma_f32 v11, -v6, v10, v9
	v_fmac_f32_e32 v10, v11, v8
	v_fma_f32 v6, -v6, v10, v9
	v_div_scale_f32 v9, s[78:79], v7, v7, v4
	v_rcp_f32_e32 v11, v9
	v_div_fmas_f32 v6, v6, v8, v10
	v_div_fixup_f32 v5, v6, v7, v5
	v_fma_f32 v6, -v9, v11, 1.0
	v_fmac_f32_e32 v11, v6, v11
	v_div_scale_f32 v6, vcc, v4, v7, v4
	v_mul_f32_e32 v8, v6, v11
	v_fma_f32 v10, -v9, v8, v6
	v_fmac_f32_e32 v8, v10, v11
	v_fma_f32 v6, -v9, v8, v6
	v_div_fmas_f32 v6, v6, v11, v8
	v_div_fixup_f32 v4, v6, v7, v4
	global_store_dwordx2 v[2:3], v[4:5], off
	v_mov_b32_e32 v3, 0
.LBB29_376:                             ;   in Loop: Header=BB29_10 Depth=1
	s_or_b64 exec, exec, s[76:77]
	v_cmp_gt_i32_e32 vcc, s97, v3
	s_mov_b64 s[76:77], -1
	s_and_saveexec_b64 s[78:79], vcc
; %bb.377:                              ;   in Loop: Header=BB29_10 Depth=1
	v_cmp_eq_u32_e32 vcc, 0, v3
	s_orn2_b64 s[76:77], vcc, exec
; %bb.378:                              ;   in Loop: Header=BB29_10 Depth=1
	s_or_b64 exec, exec, s[78:79]
	s_and_b64 exec, exec, s[76:77]
	s_cbranch_execz .LBB29_8
; %bb.379:                              ;   in Loop: Header=BB29_10 Depth=1
	scratch_load_dword v2, off, off offset:16 ; 4-byte Folded Reload
	v_mov_b32_e32 v3, 0x47
	s_waitcnt vmcnt(0)
	v_add_u32_e32 v2, v2, v101
	v_cmp_gt_i32_e32 vcc, s36, v2
	s_and_b64 s[78:79], vcc, s[8:9]
	s_and_saveexec_b64 s[76:77], s[78:79]
	s_cbranch_execz .LBB29_381
; %bb.380:                              ;   in Loop: Header=BB29_10 Depth=1
	scratch_load_dword v6, off, off offset:20 ; 4-byte Folded Reload
	s_waitcnt vmcnt(0)
	v_add_u32_e32 v3, v183, v6
	ds_read2st64_b32 v[4:5], v3 offset1:17
	v_add_u32_e32 v3, 0, v6
	ds_read2_b32 v[6:7], v3 offset0:64 offset1:65
	ds_read_b32 v8, v3 offset:4608
	v_mad_u64_u32 v[2:3], s[78:79], v2, s37, v[128:129]
	s_waitcnt lgkmcnt(2)
	v_cvt_f32_f16_e32 v10, v4
	v_cvt_f32_f16_sdwa v11, v4 dst_sel:DWORD dst_unused:UNUSED_PAD src0_sel:WORD_1
	v_cvt_f32_f16_e32 v4, v5
	v_cvt_f32_f16_sdwa v5, v5 dst_sel:DWORD dst_unused:UNUSED_PAD src0_sel:WORD_1
	v_lshl_add_u32 v2, v2, 7, v236
	s_waitcnt lgkmcnt(1)
	v_pk_fma_f32 v[10:11], v[6:7], v[10:11], 0 op_sel_hi:[0,1,0]
	v_ashrrev_i32_e32 v3, 31, v2
	s_waitcnt lgkmcnt(0)
	v_pk_fma_f32 v[4:5], v[8:9], v[4:5], v[10:11] op_sel_hi:[0,1,1]
	v_div_scale_f32 v6, s[78:79], v7, v7, v5
	v_rcp_f32_e32 v8, v6
	v_lshl_add_u64 v[2:3], v[2:3], 3, v[150:151]
	v_fma_f32 v9, -v6, v8, 1.0
	v_fmac_f32_e32 v8, v9, v8
	v_div_scale_f32 v9, vcc, v5, v7, v5
	v_mul_f32_e32 v10, v9, v8
	v_fma_f32 v11, -v6, v10, v9
	v_fmac_f32_e32 v10, v11, v8
	v_fma_f32 v6, -v6, v10, v9
	v_div_scale_f32 v9, s[78:79], v7, v7, v4
	v_rcp_f32_e32 v11, v9
	v_div_fmas_f32 v6, v6, v8, v10
	v_div_fixup_f32 v5, v6, v7, v5
	v_fma_f32 v6, -v9, v11, 1.0
	v_fmac_f32_e32 v11, v6, v11
	v_div_scale_f32 v6, vcc, v4, v7, v4
	v_mul_f32_e32 v8, v6, v11
	v_fma_f32 v10, -v9, v8, v6
	v_fmac_f32_e32 v8, v10, v11
	v_fma_f32 v6, -v9, v8, v6
	v_div_fmas_f32 v6, v6, v11, v8
	v_div_fixup_f32 v4, v6, v7, v4
	global_store_dwordx2 v[2:3], v[4:5], off
	v_mov_b32_e32 v3, 0
.LBB29_381:                             ;   in Loop: Header=BB29_10 Depth=1
	s_or_b64 exec, exec, s[76:77]
	v_cmp_gt_i32_e32 vcc, s97, v3
	s_mov_b64 s[76:77], -1
	s_and_saveexec_b64 s[78:79], vcc
; %bb.382:                              ;   in Loop: Header=BB29_10 Depth=1
	v_cmp_eq_u32_e32 vcc, 0, v3
	s_orn2_b64 s[76:77], vcc, exec
; %bb.383:                              ;   in Loop: Header=BB29_10 Depth=1
	s_or_b64 exec, exec, s[78:79]
	s_and_b64 exec, exec, s[76:77]
	s_cbranch_execz .LBB29_8
; %bb.384:                              ;   in Loop: Header=BB29_10 Depth=1
	scratch_load_dword v2, off, off offset:24 ; 4-byte Folded Reload
	v_mov_b32_e32 v3, 0x47
	s_waitcnt vmcnt(0)
	v_add_u32_e32 v2, v2, v101
	v_cmp_gt_i32_e32 vcc, s36, v2
	s_and_b64 s[78:79], vcc, s[8:9]
	s_and_saveexec_b64 s[76:77], s[78:79]
	s_cbranch_execz .LBB29_386
; %bb.385:                              ;   in Loop: Header=BB29_10 Depth=1
	scratch_load_dword v6, off, off offset:28 ; 4-byte Folded Reload
	s_waitcnt vmcnt(0)
	v_add_u32_e32 v3, v183, v6
	ds_read2st64_b32 v[4:5], v3 offset1:17
	v_add_u32_e32 v3, 0, v6
	ds_read2_b32 v[6:7], v3 offset0:64 offset1:65
	ds_read_b32 v8, v3 offset:4608
	v_mad_u64_u32 v[2:3], s[78:79], v2, s37, v[128:129]
	s_waitcnt lgkmcnt(2)
	v_cvt_f32_f16_e32 v10, v4
	v_cvt_f32_f16_sdwa v11, v4 dst_sel:DWORD dst_unused:UNUSED_PAD src0_sel:WORD_1
	v_cvt_f32_f16_e32 v4, v5
	v_cvt_f32_f16_sdwa v5, v5 dst_sel:DWORD dst_unused:UNUSED_PAD src0_sel:WORD_1
	v_lshl_add_u32 v2, v2, 7, v236
	s_waitcnt lgkmcnt(1)
	v_pk_fma_f32 v[10:11], v[6:7], v[10:11], 0 op_sel_hi:[0,1,0]
	v_ashrrev_i32_e32 v3, 31, v2
	s_waitcnt lgkmcnt(0)
	v_pk_fma_f32 v[4:5], v[8:9], v[4:5], v[10:11] op_sel_hi:[0,1,1]
	v_div_scale_f32 v6, s[78:79], v7, v7, v5
	v_rcp_f32_e32 v8, v6
	v_lshl_add_u64 v[2:3], v[2:3], 3, v[150:151]
	v_fma_f32 v9, -v6, v8, 1.0
	v_fmac_f32_e32 v8, v9, v8
	v_div_scale_f32 v9, vcc, v5, v7, v5
	v_mul_f32_e32 v10, v9, v8
	v_fma_f32 v11, -v6, v10, v9
	v_fmac_f32_e32 v10, v11, v8
	v_fma_f32 v6, -v6, v10, v9
	v_div_scale_f32 v9, s[78:79], v7, v7, v4
	v_rcp_f32_e32 v11, v9
	v_div_fmas_f32 v6, v6, v8, v10
	v_div_fixup_f32 v5, v6, v7, v5
	v_fma_f32 v6, -v9, v11, 1.0
	v_fmac_f32_e32 v11, v6, v11
	v_div_scale_f32 v6, vcc, v4, v7, v4
	v_mul_f32_e32 v8, v6, v11
	v_fma_f32 v10, -v9, v8, v6
	v_fmac_f32_e32 v8, v10, v11
	v_fma_f32 v6, -v9, v8, v6
	v_div_fmas_f32 v6, v6, v11, v8
	v_div_fixup_f32 v4, v6, v7, v4
	global_store_dwordx2 v[2:3], v[4:5], off
	v_mov_b32_e32 v3, 0
.LBB29_386:                             ;   in Loop: Header=BB29_10 Depth=1
	s_or_b64 exec, exec, s[76:77]
	v_cmp_gt_i32_e32 vcc, s97, v3
	s_mov_b64 s[76:77], -1
	s_and_saveexec_b64 s[78:79], vcc
; %bb.387:                              ;   in Loop: Header=BB29_10 Depth=1
	v_cmp_eq_u32_e32 vcc, 0, v3
	s_orn2_b64 s[76:77], vcc, exec
; %bb.388:                              ;   in Loop: Header=BB29_10 Depth=1
	s_or_b64 exec, exec, s[78:79]
	s_and_b64 exec, exec, s[76:77]
	s_cbranch_execz .LBB29_8
; %bb.389:                              ;   in Loop: Header=BB29_10 Depth=1
	scratch_load_dword v2, off, off offset:32 ; 4-byte Folded Reload
	v_mov_b32_e32 v3, 0x47
	s_waitcnt vmcnt(0)
	v_add_u32_e32 v2, v2, v101
	v_cmp_gt_i32_e32 vcc, s36, v2
	s_and_b64 s[78:79], vcc, s[8:9]
	s_and_saveexec_b64 s[76:77], s[78:79]
	s_cbranch_execz .LBB29_391
; %bb.390:                              ;   in Loop: Header=BB29_10 Depth=1
	scratch_load_dword v6, off, off offset:36 ; 4-byte Folded Reload
	s_waitcnt vmcnt(0)
	v_add_u32_e32 v3, v183, v6
	ds_read2st64_b32 v[4:5], v3 offset1:17
	v_add_u32_e32 v3, 0, v6
	ds_read2_b32 v[6:7], v3 offset0:64 offset1:65
	ds_read_b32 v8, v3 offset:4608
	v_mad_u64_u32 v[2:3], s[78:79], v2, s37, v[128:129]
	s_waitcnt lgkmcnt(2)
	v_cvt_f32_f16_e32 v10, v4
	v_cvt_f32_f16_sdwa v11, v4 dst_sel:DWORD dst_unused:UNUSED_PAD src0_sel:WORD_1
	v_cvt_f32_f16_e32 v4, v5
	v_cvt_f32_f16_sdwa v5, v5 dst_sel:DWORD dst_unused:UNUSED_PAD src0_sel:WORD_1
	v_lshl_add_u32 v2, v2, 7, v236
	s_waitcnt lgkmcnt(1)
	v_pk_fma_f32 v[10:11], v[6:7], v[10:11], 0 op_sel_hi:[0,1,0]
	v_ashrrev_i32_e32 v3, 31, v2
	s_waitcnt lgkmcnt(0)
	v_pk_fma_f32 v[4:5], v[8:9], v[4:5], v[10:11] op_sel_hi:[0,1,1]
	v_div_scale_f32 v6, s[78:79], v7, v7, v5
	v_rcp_f32_e32 v8, v6
	v_lshl_add_u64 v[2:3], v[2:3], 3, v[150:151]
	v_fma_f32 v9, -v6, v8, 1.0
	v_fmac_f32_e32 v8, v9, v8
	v_div_scale_f32 v9, vcc, v5, v7, v5
	v_mul_f32_e32 v10, v9, v8
	v_fma_f32 v11, -v6, v10, v9
	v_fmac_f32_e32 v10, v11, v8
	v_fma_f32 v6, -v6, v10, v9
	v_div_scale_f32 v9, s[78:79], v7, v7, v4
	v_rcp_f32_e32 v11, v9
	v_div_fmas_f32 v6, v6, v8, v10
	v_div_fixup_f32 v5, v6, v7, v5
	v_fma_f32 v6, -v9, v11, 1.0
	v_fmac_f32_e32 v11, v6, v11
	v_div_scale_f32 v6, vcc, v4, v7, v4
	v_mul_f32_e32 v8, v6, v11
	v_fma_f32 v10, -v9, v8, v6
	v_fmac_f32_e32 v8, v10, v11
	v_fma_f32 v6, -v9, v8, v6
	v_div_fmas_f32 v6, v6, v11, v8
	v_div_fixup_f32 v4, v6, v7, v4
	global_store_dwordx2 v[2:3], v[4:5], off
	v_mov_b32_e32 v3, 0
.LBB29_391:                             ;   in Loop: Header=BB29_10 Depth=1
	s_or_b64 exec, exec, s[76:77]
	v_cmp_gt_i32_e32 vcc, s97, v3
	s_mov_b64 s[76:77], -1
	s_and_saveexec_b64 s[78:79], vcc
; %bb.392:                              ;   in Loop: Header=BB29_10 Depth=1
	v_cmp_eq_u32_e32 vcc, 0, v3
	s_orn2_b64 s[76:77], vcc, exec
; %bb.393:                              ;   in Loop: Header=BB29_10 Depth=1
	s_or_b64 exec, exec, s[78:79]
	s_and_b64 exec, exec, s[76:77]
	s_cbranch_execz .LBB29_8
; %bb.394:                              ;   in Loop: Header=BB29_10 Depth=1
	scratch_load_dword v2, off, off offset:40 ; 4-byte Folded Reload
	v_mov_b32_e32 v3, 0x47
	s_waitcnt vmcnt(0)
	v_add_u32_e32 v2, v2, v101
	v_cmp_gt_i32_e32 vcc, s36, v2
	s_and_b64 s[78:79], vcc, s[8:9]
	s_and_saveexec_b64 s[76:77], s[78:79]
	s_cbranch_execz .LBB29_396
; %bb.395:                              ;   in Loop: Header=BB29_10 Depth=1
	scratch_load_dword v6, off, off offset:44 ; 4-byte Folded Reload
	s_waitcnt vmcnt(0)
	v_add_u32_e32 v3, v183, v6
	ds_read2st64_b32 v[4:5], v3 offset1:17
	v_add_u32_e32 v3, 0, v6
	ds_read2_b32 v[6:7], v3 offset0:64 offset1:65
	ds_read_b32 v8, v3 offset:4608
	v_mad_u64_u32 v[2:3], s[78:79], v2, s37, v[128:129]
	s_waitcnt lgkmcnt(2)
	v_cvt_f32_f16_e32 v10, v4
	v_cvt_f32_f16_sdwa v11, v4 dst_sel:DWORD dst_unused:UNUSED_PAD src0_sel:WORD_1
	v_cvt_f32_f16_e32 v4, v5
	v_cvt_f32_f16_sdwa v5, v5 dst_sel:DWORD dst_unused:UNUSED_PAD src0_sel:WORD_1
	v_lshl_add_u32 v2, v2, 7, v236
	s_waitcnt lgkmcnt(1)
	v_pk_fma_f32 v[10:11], v[6:7], v[10:11], 0 op_sel_hi:[0,1,0]
	v_ashrrev_i32_e32 v3, 31, v2
	s_waitcnt lgkmcnt(0)
	v_pk_fma_f32 v[4:5], v[8:9], v[4:5], v[10:11] op_sel_hi:[0,1,1]
	v_div_scale_f32 v6, s[78:79], v7, v7, v5
	v_rcp_f32_e32 v8, v6
	v_lshl_add_u64 v[2:3], v[2:3], 3, v[150:151]
	v_fma_f32 v9, -v6, v8, 1.0
	v_fmac_f32_e32 v8, v9, v8
	v_div_scale_f32 v9, vcc, v5, v7, v5
	v_mul_f32_e32 v10, v9, v8
	v_fma_f32 v11, -v6, v10, v9
	v_fmac_f32_e32 v10, v11, v8
	v_fma_f32 v6, -v6, v10, v9
	v_div_scale_f32 v9, s[78:79], v7, v7, v4
	v_rcp_f32_e32 v11, v9
	v_div_fmas_f32 v6, v6, v8, v10
	v_div_fixup_f32 v5, v6, v7, v5
	v_fma_f32 v6, -v9, v11, 1.0
	v_fmac_f32_e32 v11, v6, v11
	v_div_scale_f32 v6, vcc, v4, v7, v4
	v_mul_f32_e32 v8, v6, v11
	v_fma_f32 v10, -v9, v8, v6
	v_fmac_f32_e32 v8, v10, v11
	v_fma_f32 v6, -v9, v8, v6
	v_div_fmas_f32 v6, v6, v11, v8
	v_div_fixup_f32 v4, v6, v7, v4
	global_store_dwordx2 v[2:3], v[4:5], off
	v_mov_b32_e32 v3, 0
.LBB29_396:                             ;   in Loop: Header=BB29_10 Depth=1
	s_or_b64 exec, exec, s[76:77]
	v_cmp_gt_i32_e32 vcc, s97, v3
	s_mov_b64 s[76:77], -1
	s_and_saveexec_b64 s[78:79], vcc
; %bb.397:                              ;   in Loop: Header=BB29_10 Depth=1
	v_cmp_eq_u32_e32 vcc, 0, v3
	s_orn2_b64 s[76:77], vcc, exec
; %bb.398:                              ;   in Loop: Header=BB29_10 Depth=1
	s_or_b64 exec, exec, s[78:79]
	s_and_b64 exec, exec, s[76:77]
	s_cbranch_execz .LBB29_8
; %bb.399:                              ;   in Loop: Header=BB29_10 Depth=1
	scratch_load_dword v2, off, off offset:48 ; 4-byte Folded Reload
	v_mov_b32_e32 v3, 0x47
	s_waitcnt vmcnt(0)
	v_add_u32_e32 v2, v2, v101
	v_cmp_gt_i32_e32 vcc, s36, v2
	s_and_b64 s[78:79], vcc, s[8:9]
	s_and_saveexec_b64 s[76:77], s[78:79]
	s_cbranch_execz .LBB29_401
; %bb.400:                              ;   in Loop: Header=BB29_10 Depth=1
	scratch_load_dword v6, off, off offset:52 ; 4-byte Folded Reload
	s_waitcnt vmcnt(0)
	v_add_u32_e32 v3, v183, v6
	ds_read2st64_b32 v[4:5], v3 offset1:17
	v_add_u32_e32 v3, 0, v6
	ds_read2_b32 v[6:7], v3 offset0:64 offset1:65
	ds_read_b32 v8, v3 offset:4608
	v_mad_u64_u32 v[2:3], s[78:79], v2, s37, v[128:129]
	s_waitcnt lgkmcnt(2)
	v_cvt_f32_f16_e32 v10, v4
	v_cvt_f32_f16_sdwa v11, v4 dst_sel:DWORD dst_unused:UNUSED_PAD src0_sel:WORD_1
	v_cvt_f32_f16_e32 v4, v5
	v_cvt_f32_f16_sdwa v5, v5 dst_sel:DWORD dst_unused:UNUSED_PAD src0_sel:WORD_1
	v_lshl_add_u32 v2, v2, 7, v236
	s_waitcnt lgkmcnt(1)
	v_pk_fma_f32 v[10:11], v[6:7], v[10:11], 0 op_sel_hi:[0,1,0]
	v_ashrrev_i32_e32 v3, 31, v2
	s_waitcnt lgkmcnt(0)
	v_pk_fma_f32 v[4:5], v[8:9], v[4:5], v[10:11] op_sel_hi:[0,1,1]
	v_div_scale_f32 v6, s[78:79], v7, v7, v5
	v_rcp_f32_e32 v8, v6
	v_lshl_add_u64 v[2:3], v[2:3], 3, v[150:151]
	v_fma_f32 v9, -v6, v8, 1.0
	v_fmac_f32_e32 v8, v9, v8
	v_div_scale_f32 v9, vcc, v5, v7, v5
	v_mul_f32_e32 v10, v9, v8
	v_fma_f32 v11, -v6, v10, v9
	v_fmac_f32_e32 v10, v11, v8
	v_fma_f32 v6, -v6, v10, v9
	v_div_scale_f32 v9, s[78:79], v7, v7, v4
	v_rcp_f32_e32 v11, v9
	v_div_fmas_f32 v6, v6, v8, v10
	v_div_fixup_f32 v5, v6, v7, v5
	v_fma_f32 v6, -v9, v11, 1.0
	v_fmac_f32_e32 v11, v6, v11
	v_div_scale_f32 v6, vcc, v4, v7, v4
	v_mul_f32_e32 v8, v6, v11
	v_fma_f32 v10, -v9, v8, v6
	v_fmac_f32_e32 v8, v10, v11
	v_fma_f32 v6, -v9, v8, v6
	v_div_fmas_f32 v6, v6, v11, v8
	v_div_fixup_f32 v4, v6, v7, v4
	global_store_dwordx2 v[2:3], v[4:5], off
	v_mov_b32_e32 v3, 0
.LBB29_401:                             ;   in Loop: Header=BB29_10 Depth=1
	s_or_b64 exec, exec, s[76:77]
	v_cmp_gt_i32_e32 vcc, s97, v3
	s_mov_b64 s[76:77], -1
	s_and_saveexec_b64 s[78:79], vcc
; %bb.402:                              ;   in Loop: Header=BB29_10 Depth=1
	v_cmp_eq_u32_e32 vcc, 0, v3
	s_orn2_b64 s[76:77], vcc, exec
; %bb.403:                              ;   in Loop: Header=BB29_10 Depth=1
	s_or_b64 exec, exec, s[78:79]
	s_and_b64 exec, exec, s[76:77]
	s_cbranch_execz .LBB29_8
; %bb.404:                              ;   in Loop: Header=BB29_10 Depth=1
	scratch_load_dword v2, off, off offset:56 ; 4-byte Folded Reload
	v_mov_b32_e32 v3, 0x47
	s_waitcnt vmcnt(0)
	v_add_u32_e32 v2, v2, v101
	v_cmp_gt_i32_e32 vcc, s36, v2
	s_and_b64 s[78:79], vcc, s[8:9]
	s_and_saveexec_b64 s[76:77], s[78:79]
	s_cbranch_execz .LBB29_406
; %bb.405:                              ;   in Loop: Header=BB29_10 Depth=1
	scratch_load_dword v6, off, off offset:60 ; 4-byte Folded Reload
	s_waitcnt vmcnt(0)
	v_add_u32_e32 v3, v183, v6
	ds_read2st64_b32 v[4:5], v3 offset1:17
	v_add_u32_e32 v3, 0, v6
	ds_read2_b32 v[6:7], v3 offset0:64 offset1:65
	ds_read_b32 v8, v3 offset:4608
	v_mad_u64_u32 v[2:3], s[78:79], v2, s37, v[128:129]
	s_waitcnt lgkmcnt(2)
	v_cvt_f32_f16_e32 v10, v4
	v_cvt_f32_f16_sdwa v11, v4 dst_sel:DWORD dst_unused:UNUSED_PAD src0_sel:WORD_1
	v_cvt_f32_f16_e32 v4, v5
	v_cvt_f32_f16_sdwa v5, v5 dst_sel:DWORD dst_unused:UNUSED_PAD src0_sel:WORD_1
	v_lshl_add_u32 v2, v2, 7, v236
	s_waitcnt lgkmcnt(1)
	v_pk_fma_f32 v[10:11], v[6:7], v[10:11], 0 op_sel_hi:[0,1,0]
	v_ashrrev_i32_e32 v3, 31, v2
	s_waitcnt lgkmcnt(0)
	v_pk_fma_f32 v[4:5], v[8:9], v[4:5], v[10:11] op_sel_hi:[0,1,1]
	v_div_scale_f32 v6, s[78:79], v7, v7, v5
	v_rcp_f32_e32 v8, v6
	v_lshl_add_u64 v[2:3], v[2:3], 3, v[150:151]
	v_fma_f32 v9, -v6, v8, 1.0
	v_fmac_f32_e32 v8, v9, v8
	v_div_scale_f32 v9, vcc, v5, v7, v5
	v_mul_f32_e32 v10, v9, v8
	v_fma_f32 v11, -v6, v10, v9
	v_fmac_f32_e32 v10, v11, v8
	v_fma_f32 v6, -v6, v10, v9
	v_div_scale_f32 v9, s[78:79], v7, v7, v4
	v_rcp_f32_e32 v11, v9
	v_div_fmas_f32 v6, v6, v8, v10
	v_div_fixup_f32 v5, v6, v7, v5
	v_fma_f32 v6, -v9, v11, 1.0
	v_fmac_f32_e32 v11, v6, v11
	v_div_scale_f32 v6, vcc, v4, v7, v4
	v_mul_f32_e32 v8, v6, v11
	v_fma_f32 v10, -v9, v8, v6
	v_fmac_f32_e32 v8, v10, v11
	v_fma_f32 v6, -v9, v8, v6
	v_div_fmas_f32 v6, v6, v11, v8
	v_div_fixup_f32 v4, v6, v7, v4
	global_store_dwordx2 v[2:3], v[4:5], off
	v_mov_b32_e32 v3, 0
.LBB29_406:                             ;   in Loop: Header=BB29_10 Depth=1
	s_or_b64 exec, exec, s[76:77]
	v_cmp_gt_i32_e32 vcc, s97, v3
	s_mov_b64 s[76:77], -1
	s_and_saveexec_b64 s[78:79], vcc
; %bb.407:                              ;   in Loop: Header=BB29_10 Depth=1
	v_cmp_eq_u32_e32 vcc, 0, v3
	s_orn2_b64 s[76:77], vcc, exec
; %bb.408:                              ;   in Loop: Header=BB29_10 Depth=1
	s_or_b64 exec, exec, s[78:79]
	s_and_b64 exec, exec, s[76:77]
	s_cbranch_execz .LBB29_8
; %bb.409:                              ;   in Loop: Header=BB29_10 Depth=1
	scratch_load_dword v2, off, off offset:64 ; 4-byte Folded Reload
	v_mov_b32_e32 v3, 0x47
	s_waitcnt vmcnt(0)
	v_add_u32_e32 v2, v2, v101
	v_cmp_gt_i32_e32 vcc, s36, v2
	s_and_b64 s[78:79], vcc, s[8:9]
	s_and_saveexec_b64 s[76:77], s[78:79]
	s_cbranch_execz .LBB29_411
; %bb.410:                              ;   in Loop: Header=BB29_10 Depth=1
	scratch_load_dword v6, off, off offset:68 ; 4-byte Folded Reload
	s_waitcnt vmcnt(0)
	v_add_u32_e32 v3, v183, v6
	ds_read2st64_b32 v[4:5], v3 offset1:17
	v_add_u32_e32 v3, 0, v6
	ds_read2_b32 v[6:7], v3 offset0:64 offset1:65
	ds_read_b32 v8, v3 offset:4608
	v_mad_u64_u32 v[2:3], s[78:79], v2, s37, v[128:129]
	s_waitcnt lgkmcnt(2)
	v_cvt_f32_f16_e32 v10, v4
	v_cvt_f32_f16_sdwa v11, v4 dst_sel:DWORD dst_unused:UNUSED_PAD src0_sel:WORD_1
	v_cvt_f32_f16_e32 v4, v5
	v_cvt_f32_f16_sdwa v5, v5 dst_sel:DWORD dst_unused:UNUSED_PAD src0_sel:WORD_1
	v_lshl_add_u32 v2, v2, 7, v236
	s_waitcnt lgkmcnt(1)
	v_pk_fma_f32 v[10:11], v[6:7], v[10:11], 0 op_sel_hi:[0,1,0]
	v_ashrrev_i32_e32 v3, 31, v2
	s_waitcnt lgkmcnt(0)
	v_pk_fma_f32 v[4:5], v[8:9], v[4:5], v[10:11] op_sel_hi:[0,1,1]
	v_div_scale_f32 v6, s[78:79], v7, v7, v5
	v_rcp_f32_e32 v8, v6
	v_lshl_add_u64 v[2:3], v[2:3], 3, v[150:151]
	v_fma_f32 v9, -v6, v8, 1.0
	v_fmac_f32_e32 v8, v9, v8
	v_div_scale_f32 v9, vcc, v5, v7, v5
	v_mul_f32_e32 v10, v9, v8
	v_fma_f32 v11, -v6, v10, v9
	v_fmac_f32_e32 v10, v11, v8
	v_fma_f32 v6, -v6, v10, v9
	v_div_scale_f32 v9, s[78:79], v7, v7, v4
	v_rcp_f32_e32 v11, v9
	v_div_fmas_f32 v6, v6, v8, v10
	v_div_fixup_f32 v5, v6, v7, v5
	v_fma_f32 v6, -v9, v11, 1.0
	v_fmac_f32_e32 v11, v6, v11
	v_div_scale_f32 v6, vcc, v4, v7, v4
	v_mul_f32_e32 v8, v6, v11
	v_fma_f32 v10, -v9, v8, v6
	v_fmac_f32_e32 v8, v10, v11
	v_fma_f32 v6, -v9, v8, v6
	v_div_fmas_f32 v6, v6, v11, v8
	v_div_fixup_f32 v4, v6, v7, v4
	global_store_dwordx2 v[2:3], v[4:5], off
	v_mov_b32_e32 v3, 0
.LBB29_411:                             ;   in Loop: Header=BB29_10 Depth=1
	s_or_b64 exec, exec, s[76:77]
	v_cmp_gt_i32_e32 vcc, s97, v3
	s_mov_b64 s[76:77], -1
	s_and_saveexec_b64 s[78:79], vcc
; %bb.412:                              ;   in Loop: Header=BB29_10 Depth=1
	v_cmp_eq_u32_e32 vcc, 0, v3
	s_orn2_b64 s[76:77], vcc, exec
; %bb.413:                              ;   in Loop: Header=BB29_10 Depth=1
	s_or_b64 exec, exec, s[78:79]
	s_and_b64 exec, exec, s[76:77]
	s_cbranch_execz .LBB29_8
; %bb.414:                              ;   in Loop: Header=BB29_10 Depth=1
	scratch_load_dword v2, off, off offset:72 ; 4-byte Folded Reload
	v_mov_b32_e32 v3, 0x47
	s_waitcnt vmcnt(0)
	v_add_u32_e32 v2, v2, v101
	v_cmp_gt_i32_e32 vcc, s36, v2
	s_and_b64 s[78:79], vcc, s[8:9]
	s_and_saveexec_b64 s[76:77], s[78:79]
	s_cbranch_execz .LBB29_416
; %bb.415:                              ;   in Loop: Header=BB29_10 Depth=1
	scratch_load_dword v6, off, off offset:76 ; 4-byte Folded Reload
	s_waitcnt vmcnt(0)
	v_add_u32_e32 v3, v183, v6
	ds_read2st64_b32 v[4:5], v3 offset1:17
	v_add_u32_e32 v3, 0, v6
	ds_read2_b32 v[6:7], v3 offset0:64 offset1:65
	ds_read_b32 v8, v3 offset:4608
	v_mad_u64_u32 v[2:3], s[78:79], v2, s37, v[128:129]
	s_waitcnt lgkmcnt(2)
	v_cvt_f32_f16_e32 v10, v4
	v_cvt_f32_f16_sdwa v11, v4 dst_sel:DWORD dst_unused:UNUSED_PAD src0_sel:WORD_1
	v_cvt_f32_f16_e32 v4, v5
	v_cvt_f32_f16_sdwa v5, v5 dst_sel:DWORD dst_unused:UNUSED_PAD src0_sel:WORD_1
	v_lshl_add_u32 v2, v2, 7, v236
	s_waitcnt lgkmcnt(1)
	v_pk_fma_f32 v[10:11], v[6:7], v[10:11], 0 op_sel_hi:[0,1,0]
	v_ashrrev_i32_e32 v3, 31, v2
	s_waitcnt lgkmcnt(0)
	v_pk_fma_f32 v[4:5], v[8:9], v[4:5], v[10:11] op_sel_hi:[0,1,1]
	v_div_scale_f32 v6, s[78:79], v7, v7, v5
	v_rcp_f32_e32 v8, v6
	v_lshl_add_u64 v[2:3], v[2:3], 3, v[150:151]
	v_fma_f32 v9, -v6, v8, 1.0
	v_fmac_f32_e32 v8, v9, v8
	v_div_scale_f32 v9, vcc, v5, v7, v5
	v_mul_f32_e32 v10, v9, v8
	v_fma_f32 v11, -v6, v10, v9
	v_fmac_f32_e32 v10, v11, v8
	v_fma_f32 v6, -v6, v10, v9
	v_div_scale_f32 v9, s[78:79], v7, v7, v4
	v_rcp_f32_e32 v11, v9
	v_div_fmas_f32 v6, v6, v8, v10
	v_div_fixup_f32 v5, v6, v7, v5
	v_fma_f32 v6, -v9, v11, 1.0
	v_fmac_f32_e32 v11, v6, v11
	v_div_scale_f32 v6, vcc, v4, v7, v4
	v_mul_f32_e32 v8, v6, v11
	v_fma_f32 v10, -v9, v8, v6
	v_fmac_f32_e32 v8, v10, v11
	v_fma_f32 v6, -v9, v8, v6
	v_div_fmas_f32 v6, v6, v11, v8
	v_div_fixup_f32 v4, v6, v7, v4
	global_store_dwordx2 v[2:3], v[4:5], off
	v_mov_b32_e32 v3, 0
.LBB29_416:                             ;   in Loop: Header=BB29_10 Depth=1
	s_or_b64 exec, exec, s[76:77]
	v_cmp_gt_i32_e32 vcc, s97, v3
	s_mov_b64 s[76:77], -1
	s_and_saveexec_b64 s[78:79], vcc
; %bb.417:                              ;   in Loop: Header=BB29_10 Depth=1
	v_cmp_eq_u32_e32 vcc, 0, v3
	s_orn2_b64 s[76:77], vcc, exec
; %bb.418:                              ;   in Loop: Header=BB29_10 Depth=1
	s_or_b64 exec, exec, s[78:79]
	s_and_b64 exec, exec, s[76:77]
	s_cbranch_execz .LBB29_8
; %bb.419:                              ;   in Loop: Header=BB29_10 Depth=1
	scratch_load_dword v2, off, off offset:80 ; 4-byte Folded Reload
	v_mov_b32_e32 v3, 0x47
	s_waitcnt vmcnt(0)
	v_add_u32_e32 v2, v2, v101
	v_cmp_gt_i32_e32 vcc, s36, v2
	s_and_b64 s[78:79], vcc, s[8:9]
	s_and_saveexec_b64 s[76:77], s[78:79]
	s_cbranch_execz .LBB29_421
; %bb.420:                              ;   in Loop: Header=BB29_10 Depth=1
	scratch_load_dword v6, off, off offset:84 ; 4-byte Folded Reload
	s_waitcnt vmcnt(0)
	v_add_u32_e32 v3, v183, v6
	ds_read2st64_b32 v[4:5], v3 offset1:17
	v_add_u32_e32 v3, 0, v6
	ds_read2_b32 v[6:7], v3 offset0:64 offset1:65
	ds_read_b32 v8, v3 offset:4608
	v_mad_u64_u32 v[2:3], s[78:79], v2, s37, v[128:129]
	s_waitcnt lgkmcnt(2)
	v_cvt_f32_f16_e32 v10, v4
	v_cvt_f32_f16_sdwa v11, v4 dst_sel:DWORD dst_unused:UNUSED_PAD src0_sel:WORD_1
	v_cvt_f32_f16_e32 v4, v5
	v_cvt_f32_f16_sdwa v5, v5 dst_sel:DWORD dst_unused:UNUSED_PAD src0_sel:WORD_1
	v_lshl_add_u32 v2, v2, 7, v236
	s_waitcnt lgkmcnt(1)
	v_pk_fma_f32 v[10:11], v[6:7], v[10:11], 0 op_sel_hi:[0,1,0]
	v_ashrrev_i32_e32 v3, 31, v2
	s_waitcnt lgkmcnt(0)
	v_pk_fma_f32 v[4:5], v[8:9], v[4:5], v[10:11] op_sel_hi:[0,1,1]
	v_div_scale_f32 v6, s[78:79], v7, v7, v5
	v_rcp_f32_e32 v8, v6
	v_lshl_add_u64 v[2:3], v[2:3], 3, v[150:151]
	v_fma_f32 v9, -v6, v8, 1.0
	v_fmac_f32_e32 v8, v9, v8
	v_div_scale_f32 v9, vcc, v5, v7, v5
	v_mul_f32_e32 v10, v9, v8
	v_fma_f32 v11, -v6, v10, v9
	v_fmac_f32_e32 v10, v11, v8
	v_fma_f32 v6, -v6, v10, v9
	v_div_scale_f32 v9, s[78:79], v7, v7, v4
	v_rcp_f32_e32 v11, v9
	v_div_fmas_f32 v6, v6, v8, v10
	v_div_fixup_f32 v5, v6, v7, v5
	v_fma_f32 v6, -v9, v11, 1.0
	v_fmac_f32_e32 v11, v6, v11
	v_div_scale_f32 v6, vcc, v4, v7, v4
	v_mul_f32_e32 v8, v6, v11
	v_fma_f32 v10, -v9, v8, v6
	v_fmac_f32_e32 v8, v10, v11
	v_fma_f32 v6, -v9, v8, v6
	v_div_fmas_f32 v6, v6, v11, v8
	v_div_fixup_f32 v4, v6, v7, v4
	global_store_dwordx2 v[2:3], v[4:5], off
	v_mov_b32_e32 v3, 0
.LBB29_421:                             ;   in Loop: Header=BB29_10 Depth=1
	s_or_b64 exec, exec, s[76:77]
	v_cmp_gt_i32_e32 vcc, s97, v3
	s_mov_b64 s[76:77], -1
	s_and_saveexec_b64 s[78:79], vcc
; %bb.422:                              ;   in Loop: Header=BB29_10 Depth=1
	v_cmp_eq_u32_e32 vcc, 0, v3
	s_orn2_b64 s[76:77], vcc, exec
; %bb.423:                              ;   in Loop: Header=BB29_10 Depth=1
	s_or_b64 exec, exec, s[78:79]
	s_and_b64 exec, exec, s[76:77]
	s_cbranch_execz .LBB29_8
; %bb.424:                              ;   in Loop: Header=BB29_10 Depth=1
	scratch_load_dword v2, off, off offset:88 ; 4-byte Folded Reload
	s_waitcnt vmcnt(0)
	v_add_u32_e32 v2, v2, v101
	v_cmp_gt_i32_e32 vcc, s36, v2
	s_and_b64 s[8:9], vcc, s[8:9]
	s_and_b64 exec, exec, s[8:9]
	s_cbranch_execz .LBB29_8
; %bb.425:                              ;   in Loop: Header=BB29_10 Depth=1
	scratch_load_dword v6, off, off offset:92 ; 4-byte Folded Reload
	s_waitcnt vmcnt(0)
	v_add_u32_e32 v3, v183, v6
	ds_read2st64_b32 v[4:5], v3 offset1:17
	v_add_u32_e32 v3, 0, v6
	ds_read2_b32 v[6:7], v3 offset0:64 offset1:65
	ds_read_b32 v8, v3 offset:4608
	v_mad_u64_u32 v[2:3], s[8:9], v2, s37, v[128:129]
	s_waitcnt lgkmcnt(2)
	v_cvt_f32_f16_e32 v10, v4
	v_cvt_f32_f16_sdwa v11, v4 dst_sel:DWORD dst_unused:UNUSED_PAD src0_sel:WORD_1
	v_cvt_f32_f16_e32 v4, v5
	v_cvt_f32_f16_sdwa v5, v5 dst_sel:DWORD dst_unused:UNUSED_PAD src0_sel:WORD_1
	v_lshl_add_u32 v2, v2, 7, v236
	s_waitcnt lgkmcnt(1)
	v_pk_fma_f32 v[10:11], v[6:7], v[10:11], 0 op_sel_hi:[0,1,0]
	v_ashrrev_i32_e32 v3, 31, v2
	s_waitcnt lgkmcnt(0)
	v_pk_fma_f32 v[4:5], v[8:9], v[4:5], v[10:11] op_sel_hi:[0,1,1]
	v_div_scale_f32 v6, s[8:9], v7, v7, v5
	v_rcp_f32_e32 v8, v6
	v_lshl_add_u64 v[2:3], v[2:3], 3, v[150:151]
	v_fma_f32 v9, -v6, v8, 1.0
	v_fmac_f32_e32 v8, v9, v8
	v_div_scale_f32 v9, vcc, v5, v7, v5
	v_mul_f32_e32 v10, v9, v8
	v_fma_f32 v11, -v6, v10, v9
	v_fmac_f32_e32 v10, v11, v8
	v_fma_f32 v6, -v6, v10, v9
	v_div_scale_f32 v9, s[8:9], v7, v7, v4
	v_rcp_f32_e32 v11, v9
	v_div_fmas_f32 v6, v6, v8, v10
	v_div_fixup_f32 v5, v6, v7, v5
	v_fma_f32 v6, -v9, v11, 1.0
	v_fmac_f32_e32 v11, v6, v11
	v_div_scale_f32 v6, vcc, v4, v7, v4
	v_mul_f32_e32 v8, v6, v11
	v_fma_f32 v10, -v9, v8, v6
	v_fmac_f32_e32 v8, v10, v11
	v_fma_f32 v6, -v9, v8, v6
	v_div_fmas_f32 v6, v6, v11, v8
	v_div_fixup_f32 v4, v6, v7, v4
	global_store_dwordx2 v[2:3], v[4:5], off
	s_branch .LBB29_8
.LBB29_426:
	s_andn2_b64 vcc, exec, s[8:9]
	s_cbranch_vccnz .LBB29_485
; %bb.427:
	s_abs_i32 s0, s83
	v_cvt_f32_u32_e32 v2, s0
	s_sub_i32 s5, 0, s0
	s_abs_i32 s4, s56
	s_xor_b32 s1, s56, s83
	v_rcp_iflag_f32_e32 v2, v2
	s_ashr_i32 s1, s1, 31
	v_mov_b32_e32 v32, s98
	v_mul_f32_e32 v2, 0x4f7ffffe, v2
	v_cvt_u32_f32_e32 v2, v2
	s_nop 0
	v_readfirstlane_b32 s6, v2
	s_mul_i32 s5, s5, s6
	s_mul_hi_u32 s5, s6, s5
	s_add_i32 s6, s6, s5
	s_mul_hi_u32 s5, s4, s6
	s_mul_i32 s6, s5, s0
	s_sub_i32 s4, s4, s6
	s_add_i32 s7, s5, 1
	s_sub_i32 s6, s4, s0
	s_cmp_ge_u32 s4, s0
	s_cselect_b32 s5, s7, s5
	s_cselect_b32 s4, s6, s4
	s_add_i32 s6, s5, 1
	s_cmp_ge_u32 s4, s0
	s_cselect_b32 s0, s6, s5
	s_abs_i32 s4, s82
	v_cvt_f32_u32_e32 v2, s4
	s_xor_b32 s0, s0, s1
	s_sub_i32 s5, 0, s4
	s_sub_i32 s8, s0, s1
	v_rcp_iflag_f32_e32 v2, v2
	s_mul_i32 s0, s8, s83
	s_sub_i32 s0, s56, s0
	s_abs_i32 s6, s0
	v_mul_f32_e32 v2, 0x4f7ffffe, v2
	v_cvt_u32_f32_e32 v2, v2
	s_xor_b32 s1, s0, s82
	s_ashr_i32 s1, s1, 31
	v_readfirstlane_b32 s7, v2
	s_mul_i32 s5, s5, s7
	s_mul_hi_u32 s5, s7, s5
	s_add_i32 s7, s7, s5
	s_mul_hi_u32 s5, s6, s7
	s_mul_i32 s7, s5, s4
	s_sub_i32 s6, s6, s7
	s_add_i32 s9, s5, 1
	s_sub_i32 s7, s6, s4
	s_cmp_ge_u32 s6, s4
	s_cselect_b32 s5, s9, s5
	s_cselect_b32 s6, s7, s6
	s_add_i32 s7, s5, 1
	s_cmp_ge_u32 s6, s4
	s_cselect_b32 s4, s7, s5
	s_abs_i32 s5, s81
	v_cvt_f32_u32_e32 v2, s5
	s_xor_b32 s4, s4, s1
	s_sub_i32 s6, 0, s5
	s_sub_i32 s9, s4, s1
	v_rcp_iflag_f32_e32 v2, v2
	s_mul_i32 s1, s9, s82
	s_sub_i32 s1, s0, s1
	s_abs_i32 s4, s1
	v_mul_f32_e32 v2, 0x4f7ffffe, v2
	v_cvt_u32_f32_e32 v2, v2
	s_xor_b32 s0, s1, s81
	s_ashr_i32 s0, s0, 31
	v_readfirstlane_b32 s7, v2
	s_mul_i32 s6, s6, s7
	s_mul_hi_u32 s6, s7, s6
	s_add_i32 s7, s7, s6
	s_mul_hi_u32 s6, s4, s7
	s_mul_i32 s7, s6, s5
	s_sub_i32 s4, s4, s7
	s_add_i32 s10, s6, 1
	s_sub_i32 s7, s4, s5
	s_cmp_ge_u32 s4, s5
	s_cselect_b32 s6, s10, s6
	s_cselect_b32 s4, s7, s4
	s_add_i32 s7, s6, 1
	s_cmp_ge_u32 s4, s5
	s_cselect_b32 s4, s7, s6
	s_xor_b32 s4, s4, s0
	s_sub_i32 s0, s4, s0
	s_mul_i32 s4, s0, s81
	s_sub_i32 s1, s1, s4
	s_ashr_i32 s4, s1, 31
	s_abs_i32 s1, s1
	s_mul_hi_u32 s5, s1, s52
	s_mul_i32 s6, s5, s85
	s_sub_i32 s1, s1, s6
	s_xor_b32 s4, s4, s42
	s_add_i32 s6, s5, 1
	s_sub_i32 s7, s1, s85
	s_cmp_ge_u32 s1, s85
	s_cselect_b32 s5, s6, s5
	s_cselect_b32 s1, s7, s1
	s_add_i32 s6, s5, 1
	s_cmp_ge_u32 s1, s85
	s_cselect_b32 s1, s6, s5
	s_abs_i32 s11, s58
	v_cvt_f32_u32_e32 v2, s11
	s_xor_b32 s1, s1, s4
	s_sub_i32 s1, s1, s4
	s_cmp_eq_u64 s[26:27], 0
	v_rcp_iflag_f32_e32 v2, v2
	s_nop 0
	v_mul_f32_e32 v2, 0x4f7ffffe, v2
	v_cvt_u32_f32_e32 v2, v2
	s_nop 0
	v_readfirstlane_b32 s12, v2
	s_cbranch_scc1 .LBB29_429
; %bb.428:
	s_mul_i32 s4, s8, s80
	s_add_i32 s4, s1, s4
	s_ashr_i32 s5, s4, 31
	s_lshl_b64 s[4:5], s[4:5], 2
	s_add_u32 s4, s26, s4
	s_addc_u32 s5, s27, s5
	v_mov_b32_e32 v2, 0
	global_load_dword v2, v2, s[4:5]
	s_waitcnt vmcnt(0)
	v_ashrrev_i32_e32 v3, 31, v2
	v_lshrrev_b32_e32 v3, 26, v3
	v_add_u32_e32 v2, v2, v3
	v_ashrrev_i32_e32 v2, 6, v2
	v_min_i32_e32 v32, s98, v2
.LBB29_429:
	s_mul_i32 s4, s9, s3
	s_lshl_b32 s5, s0, 2
	s_add_i32 s0, s5, s4
	s_mul_i32 s4, s8, s55
	s_ashr_i32 s6, s4, 31
	s_add_u32 s4, s16, s4
	s_mul_i32 s0, s0, s54
	s_addc_u32 s7, s17, s6
	s_ashr_i32 s10, s0, 31
	s_add_u32 s6, s4, s0
	s_addc_u32 s7, s7, s10
	v_and_b32_e32 v122, 0x3ff, v0
	s_lshl_b32 s10, s1, 4
	v_bfe_u32 v0, v182, 2, 8
	v_add_u32_e32 v2, s10, v0
	v_or_b32_e32 v0, s5, v99
	v_cmp_le_i32_e64 s[0:1], s36, v2
	v_cmp_le_i32_e64 s[4:5], s3, v0
	s_mov_b32 s13, 0x10001
	v_lshl_add_u32 v123, v122, 2, 0
	v_cmp_gt_i32_e32 vcc, s3, v0
	s_or_b64 s[0:1], s[0:1], s[4:5]
	s_and_saveexec_b64 s[4:5], s[0:1]
	s_xor_b64 s[0:1], exec, s[4:5]
; %bb.430:
	s_movk_i32 s3, 0x210
	v_mad_u32_u24 v0, v125, s3, v123
	v_mov_b32_e32 v2, 0
	ds_write2st64_b32 v0, v2, v2 offset1:1
                                        ; implicit-def: $vgpr2
; %bb.431:
	s_or_saveexec_b64 s[0:1], s[0:1]
	v_mul_lo_u32 v0, v181, s13
	s_xor_b64 exec, exec, s[0:1]
	s_cbranch_execz .LBB29_433
; %bb.432:
	v_mul_lo_u32 v2, v2, s57
	v_mul_lo_u32 v3, v99, s61
	v_add3_u32 v2, v2, v3, v122
	v_ashrrev_i32_e32 v3, 31, v2
	v_lshl_add_u64 v[2:3], v[2:3], 3, s[6:7]
	global_load_dwordx2 v[4:5], v[2:3], off
	global_load_dwordx2 v[6:7], v[2:3], off offset:512
	v_mul_u32_u24_e32 v2, 0x210, v125
	v_lshlrev_b32_e32 v3, 2, v122
	v_add3_u32 v2, 0, v2, v3
	s_waitcnt vmcnt(1)
	v_cvt_pk_f16_f32 v3, v4, v5
	s_waitcnt vmcnt(0)
	v_cvt_pk_f16_f32 v4, v6, v7
	v_pk_mul_f16 v3, v3, v0
	v_pk_mul_f16 v4, v4, v0
	ds_write2st64_b32 v2, v3, v4 offset1:1
.LBB29_433:
	s_or_b64 exec, exec, s[0:1]
	v_lshrrev_b32_e32 v2, 2, v180
	v_add_u32_e32 v2, s10, v2
	v_cmp_le_i32_e64 s[0:1], s36, v2
	s_xor_b64 s[4:5], vcc, -1
	s_or_b64 s[0:1], s[0:1], s[4:5]
	s_and_saveexec_b64 s[16:17], s[0:1]
	s_xor_b64 s[0:1], exec, s[16:17]
; %bb.434:
	s_movk_i32 s3, 0x210
	v_mad_u32_u24 v2, v180, s3, v123
	v_mov_b32_e32 v3, 0
	ds_write2st64_b32 v2, v3, v3 offset1:1
                                        ; implicit-def: $vgpr2
                                        ; implicit-def: $vgpr180
; %bb.435:
	s_andn2_saveexec_b64 s[0:1], s[0:1]
	s_cbranch_execz .LBB29_437
; %bb.436:
	v_mul_lo_u32 v2, v2, s57
	v_mul_lo_u32 v3, v99, s61
	v_add3_u32 v2, v2, v3, v122
	v_ashrrev_i32_e32 v3, 31, v2
	v_lshl_add_u64 v[2:3], v[2:3], 3, s[6:7]
	global_load_dwordx2 v[4:5], v[2:3], off
	global_load_dwordx2 v[6:7], v[2:3], off offset:512
	v_mul_u32_u24_e32 v2, 0x210, v180
	v_lshlrev_b32_e32 v3, 2, v122
	v_add3_u32 v2, 0, v2, v3
	s_waitcnt vmcnt(1)
	v_cvt_pk_f16_f32 v3, v4, v5
	s_waitcnt vmcnt(0)
	v_cvt_pk_f16_f32 v4, v6, v7
	v_pk_mul_f16 v3, v3, v0
	v_pk_mul_f16 v4, v4, v0
	ds_write2st64_b32 v2, v3, v4 offset1:1
.LBB29_437:
	s_or_b64 exec, exec, s[0:1]
	v_lshrrev_b32_e32 v2, 2, v179
	v_add_u32_e32 v2, s10, v2
	v_cmp_le_i32_e32 vcc, s36, v2
	s_or_b64 s[0:1], vcc, s[4:5]
	s_and_saveexec_b64 s[16:17], s[0:1]
	s_xor_b64 s[0:1], exec, s[16:17]
; %bb.438:
	s_movk_i32 s3, 0x210
	v_mad_u32_u24 v2, v179, s3, v123
	v_mov_b32_e32 v3, 0
	ds_write2st64_b32 v2, v3, v3 offset1:1
                                        ; implicit-def: $vgpr2
                                        ; implicit-def: $vgpr179
; %bb.439:
	s_andn2_saveexec_b64 s[0:1], s[0:1]
	s_cbranch_execz .LBB29_441
; %bb.440:
	v_mul_lo_u32 v2, v2, s57
	v_mul_lo_u32 v3, v99, s61
	v_add3_u32 v2, v2, v3, v122
	v_ashrrev_i32_e32 v3, 31, v2
	v_lshl_add_u64 v[2:3], v[2:3], 3, s[6:7]
	global_load_dwordx2 v[4:5], v[2:3], off
	global_load_dwordx2 v[6:7], v[2:3], off offset:512
	v_mul_u32_u24_e32 v2, 0x210, v179
	v_lshlrev_b32_e32 v3, 2, v122
	v_add3_u32 v2, 0, v2, v3
	s_waitcnt vmcnt(1)
	v_cvt_pk_f16_f32 v3, v4, v5
	s_waitcnt vmcnt(0)
	v_cvt_pk_f16_f32 v4, v6, v7
	v_pk_mul_f16 v3, v3, v0
	v_pk_mul_f16 v4, v4, v0
	ds_write2st64_b32 v2, v3, v4 offset1:1
.LBB29_441:
	s_or_b64 exec, exec, s[0:1]
	v_lshrrev_b32_e32 v2, 2, v178
	v_add_u32_e32 v2, s10, v2
	v_cmp_le_i32_e32 vcc, s36, v2
	s_or_b64 s[0:1], vcc, s[4:5]
	s_and_saveexec_b64 s[16:17], s[0:1]
	s_xor_b64 s[0:1], exec, s[16:17]
; %bb.442:
	s_movk_i32 s3, 0x210
	v_mad_u32_u24 v2, v178, s3, v123
	v_mov_b32_e32 v3, 0
	ds_write2st64_b32 v2, v3, v3 offset1:1
                                        ; implicit-def: $vgpr2
                                        ; implicit-def: $vgpr178
; %bb.443:
	s_andn2_saveexec_b64 s[0:1], s[0:1]
	s_cbranch_execz .LBB29_445
; %bb.444:
	v_mul_lo_u32 v2, v2, s57
	v_mul_lo_u32 v3, v99, s61
	v_add3_u32 v2, v2, v3, v122
	v_ashrrev_i32_e32 v3, 31, v2
	v_lshl_add_u64 v[2:3], v[2:3], 3, s[6:7]
	global_load_dwordx2 v[4:5], v[2:3], off
	global_load_dwordx2 v[6:7], v[2:3], off offset:512
	v_mul_u32_u24_e32 v2, 0x210, v178
	v_lshlrev_b32_e32 v3, 2, v122
	v_add3_u32 v2, 0, v2, v3
	s_waitcnt vmcnt(1)
	v_cvt_pk_f16_f32 v3, v4, v5
	s_waitcnt vmcnt(0)
	v_cvt_pk_f16_f32 v4, v6, v7
	v_pk_mul_f16 v3, v3, v0
	v_pk_mul_f16 v4, v4, v0
	ds_write2st64_b32 v2, v3, v4 offset1:1
.LBB29_445:
	s_or_b64 exec, exec, s[0:1]
	v_lshrrev_b32_e32 v2, 2, v177
	v_add_u32_e32 v2, s10, v2
	v_cmp_le_i32_e32 vcc, s36, v2
	s_or_b64 s[0:1], vcc, s[4:5]
	s_and_saveexec_b64 s[16:17], s[0:1]
	s_xor_b64 s[0:1], exec, s[16:17]
; %bb.446:
	s_movk_i32 s3, 0x210
	v_mad_u32_u24 v2, v177, s3, v123
	v_mov_b32_e32 v3, 0
	ds_write2st64_b32 v2, v3, v3 offset1:1
                                        ; implicit-def: $vgpr2
                                        ; implicit-def: $vgpr177
; %bb.447:
	s_andn2_saveexec_b64 s[0:1], s[0:1]
	s_cbranch_execz .LBB29_449
; %bb.448:
	v_mul_lo_u32 v2, v2, s57
	v_mul_lo_u32 v3, v99, s61
	v_add3_u32 v2, v2, v3, v122
	v_ashrrev_i32_e32 v3, 31, v2
	v_lshl_add_u64 v[2:3], v[2:3], 3, s[6:7]
	global_load_dwordx2 v[4:5], v[2:3], off
	global_load_dwordx2 v[6:7], v[2:3], off offset:512
	v_mul_u32_u24_e32 v2, 0x210, v177
	v_lshlrev_b32_e32 v3, 2, v122
	v_add3_u32 v2, 0, v2, v3
	s_waitcnt vmcnt(1)
	v_cvt_pk_f16_f32 v3, v4, v5
	s_waitcnt vmcnt(0)
	v_cvt_pk_f16_f32 v4, v6, v7
	v_pk_mul_f16 v3, v3, v0
	v_pk_mul_f16 v4, v4, v0
	ds_write2st64_b32 v2, v3, v4 offset1:1
.LBB29_449:
	s_or_b64 exec, exec, s[0:1]
	v_lshrrev_b32_e32 v2, 2, v176
	v_add_u32_e32 v2, s10, v2
	v_cmp_le_i32_e32 vcc, s36, v2
	s_sub_i32 s3, 0, s11
	s_or_b64 s[0:1], vcc, s[4:5]
	s_and_saveexec_b64 s[16:17], s[0:1]
	s_xor_b64 s[0:1], exec, s[16:17]
; %bb.450:
	s_movk_i32 s13, 0x210
	v_mad_u32_u24 v2, v176, s13, v123
	v_mov_b32_e32 v3, 0
	ds_write2st64_b32 v2, v3, v3 offset1:1
                                        ; implicit-def: $vgpr2
                                        ; implicit-def: $vgpr176
; %bb.451:
	s_or_saveexec_b64 s[0:1], s[0:1]
	s_mul_i32 s3, s3, s12
	s_xor_b64 exec, exec, s[0:1]
	s_cbranch_execz .LBB29_453
; %bb.452:
	v_mul_lo_u32 v2, v2, s57
	v_mul_lo_u32 v3, v99, s61
	v_add3_u32 v2, v2, v3, v122
	v_ashrrev_i32_e32 v3, 31, v2
	v_lshl_add_u64 v[2:3], v[2:3], 3, s[6:7]
	global_load_dwordx2 v[4:5], v[2:3], off
	global_load_dwordx2 v[6:7], v[2:3], off offset:512
	v_mul_u32_u24_e32 v2, 0x210, v176
	v_lshlrev_b32_e32 v3, 2, v122
	v_add3_u32 v2, 0, v2, v3
	s_waitcnt vmcnt(1)
	v_cvt_pk_f16_f32 v3, v4, v5
	s_waitcnt vmcnt(0)
	v_cvt_pk_f16_f32 v4, v6, v7
	v_pk_mul_f16 v3, v3, v0
	v_pk_mul_f16 v4, v4, v0
	ds_write2st64_b32 v2, v3, v4 offset1:1
.LBB29_453:
	s_or_b64 exec, exec, s[0:1]
	v_lshrrev_b32_e32 v2, 2, v121
	v_add_u32_e32 v2, s10, v2
	v_cmp_le_i32_e32 vcc, s36, v2
	s_mul_hi_u32 s13, s12, s3
	s_or_b64 s[0:1], vcc, s[4:5]
	s_and_saveexec_b64 s[16:17], s[0:1]
	s_xor_b64 s[0:1], exec, s[16:17]
; %bb.454:
	s_movk_i32 s3, 0x210
	v_mad_u32_u24 v2, v121, s3, v123
	v_mov_b32_e32 v3, 0
	ds_write2st64_b32 v2, v3, v3 offset1:1
                                        ; implicit-def: $vgpr2
                                        ; implicit-def: $vgpr121
; %bb.455:
	s_or_saveexec_b64 s[0:1], s[0:1]
	s_abs_i32 s3, s8
	s_add_i32 s12, s12, s13
	s_xor_b64 exec, exec, s[0:1]
	s_cbranch_execz .LBB29_457
; %bb.456:
	v_mul_lo_u32 v2, v2, s57
	v_mul_lo_u32 v3, v99, s61
	v_add3_u32 v2, v2, v3, v122
	v_ashrrev_i32_e32 v3, 31, v2
	v_lshl_add_u64 v[2:3], v[2:3], 3, s[6:7]
	global_load_dwordx2 v[4:5], v[2:3], off
	global_load_dwordx2 v[6:7], v[2:3], off offset:512
	v_mul_u32_u24_e32 v2, 0x210, v121
	v_lshlrev_b32_e32 v3, 2, v122
	v_add3_u32 v2, 0, v2, v3
	s_waitcnt vmcnt(1)
	v_cvt_pk_f16_f32 v3, v4, v5
	s_waitcnt vmcnt(0)
	v_cvt_pk_f16_f32 v4, v6, v7
	v_pk_mul_f16 v3, v3, v0
	v_pk_mul_f16 v4, v4, v0
	ds_write2st64_b32 v2, v3, v4 offset1:1
.LBB29_457:
	s_or_b64 exec, exec, s[0:1]
	v_lshrrev_b32_e32 v2, 2, v1
	v_add_u32_e32 v2, s10, v2
	v_cmp_le_i32_e32 vcc, s36, v2
	s_mul_hi_u32 s12, s3, s12
	s_or_b64 s[0:1], vcc, s[4:5]
	s_and_saveexec_b64 s[4:5], s[0:1]
	s_xor_b64 s[0:1], exec, s[4:5]
; %bb.458:
	s_movk_i32 s4, 0x210
	v_mad_u32_u24 v0, v1, s4, v123
	v_mov_b32_e32 v1, 0
	ds_write2st64_b32 v0, v1, v1 offset1:1
                                        ; implicit-def: $vgpr2
                                        ; implicit-def: $vgpr99
                                        ; implicit-def: $vgpr1
                                        ; implicit-def: $vgpr0
; %bb.459:
	s_or_saveexec_b64 s[0:1], s[0:1]
	s_ashr_i32 s13, s8, 31
	s_xor_b64 exec, exec, s[0:1]
	s_cbranch_execz .LBB29_461
; %bb.460:
	v_mul_lo_u32 v2, v2, s57
	v_mul_lo_u32 v3, v99, s61
	v_add3_u32 v2, v2, v3, v122
	v_ashrrev_i32_e32 v3, 31, v2
	v_lshl_add_u64 v[2:3], v[2:3], 3, s[6:7]
	global_load_dwordx2 v[4:5], v[2:3], off
	global_load_dwordx2 v[6:7], v[2:3], off offset:512
	v_mul_u32_u24_e32 v1, 0x210, v1
	v_lshlrev_b32_e32 v2, 2, v122
	v_add3_u32 v1, 0, v1, v2
	s_waitcnt vmcnt(1)
	v_cvt_pk_f16_f32 v2, v4, v5
	s_waitcnt vmcnt(0)
	v_cvt_pk_f16_f32 v3, v6, v7
	v_pk_mul_f16 v2, v2, v0
	v_pk_mul_f16 v0, v3, v0
	ds_write2st64_b32 v1, v2, v0 offset1:1
.LBB29_461:
	s_or_b64 exec, exec, s[0:1]
	s_mul_hi_u32 s0, s40, s8
	s_mul_i32 s1, s40, s13
	s_add_i32 s0, s0, s1
	s_mul_i32 s1, s41, s8
	s_add_i32 s0, s0, s1
	s_mul_i32 s1, s40, s8
	s_add_u32 s1, s18, s1
	s_mul_i32 s4, s9, s53
	s_addc_u32 s0, s19, s0
	s_ashr_i32 s5, s4, 31
	s_add_u32 s4, s1, s4
	s_mul_i32 s12, s12, s11
	s_addc_u32 s5, s0, s5
	s_sub_i32 s0, s3, s12
	s_sub_i32 s1, s0, s11
	s_cmp_ge_u32 s0, s11
	s_cselect_b32 s0, s1, s0
	s_sub_i32 s1, s0, s11
	s_cmp_ge_u32 s0, s11
	s_cselect_b32 s0, s1, s0
	s_xor_b32 s0, s0, s13
	s_sub_i32 s0, s0, s13
	s_ashr_i32 s1, s0, 31
	s_mul_i32 s1, s50, s1
	s_mul_hi_u32 s3, s50, s0
	s_add_i32 s1, s3, s1
	s_mul_i32 s3, s51, s0
	s_add_i32 s1, s1, s3
	s_mul_i32 s0, s50, s0
	s_add_u32 s6, s22, s0
	s_addc_u32 s7, s23, s1
	s_mul_hi_u32 s0, s48, s8
	s_mul_i32 s1, s48, s13
	s_add_i32 s0, s0, s1
	s_mul_i32 s1, s49, s8
	s_add_i32 s0, s0, s1
	s_mul_i32 s1, s48, s8
	s_add_u32 s1, s20, s1
	s_mul_i32 s9, s9, s43
	s_addc_u32 s3, s21, s0
	s_ashr_i32 s8, s9, 31
	s_add_u32 s0, s1, s9
	v_lshrrev_b32_e32 v1, 3, v122
	s_addc_u32 s1, s3, s8
	v_and_b32_e32 v37, 0x1ff0, v129
	s_movk_i32 s3, 0x210
	v_and_b32_e32 v124, 15, v122
	v_and_b32_e32 v1, 0x7e, v1
	v_mad_u32_u24 v0, v37, s3, 0
	v_mul_u32_u24_e32 v135, 0x210, v124
	v_lshlrev_b32_e32 v126, 2, v1
	v_add3_u32 v0, v0, v135, v126
	s_waitcnt lgkmcnt(0)
	s_barrier
	ds_read2_b64 v[28:31], v0 offset1:4
	ds_read2_b64 v[24:27], v0 offset0:8 offset1:12
	ds_read2_b64 v[20:23], v0 offset0:16 offset1:20
	;; [unrolled: 1-line block ×7, first 2 shown]
	v_add_u32_e32 v150, -1, v32
	v_lshrrev_b32_e32 v32, 5, v122
	v_lshl_add_u32 v36, v125, 1, v32
	v_add_u32_e32 v32, s10, v36
	v_mul_hi_u32 v33, s46, v32
	v_add_u32_e32 v33, v32, v33
	v_lshrrev_b32_e32 v33, s47, v33
	v_cmp_lt_i32_e32 vcc, s76, v150
	v_mul_lo_u32 v33, v33, s36
	v_sub_u32_e32 v38, v32, v33
	s_waitcnt lgkmcnt(0)
	s_barrier
	s_cbranch_vccnz .LBB29_466
; %bb.462:
	v_mov_b32_e32 v33, 0x6300
	v_lshlrev_b32_e32 v127, 4, v125
	v_lshrrev_b32_e32 v34, 2, v122
	v_lshlrev_b32_e32 v32, 1, v122
	v_mad_u32_u24 v147, v36, s3, v33
	v_and_b32_e32 v33, 16, v127
	v_and_b32_e32 v35, 0xfc, v34
	;; [unrolled: 1-line block ×3, first 2 shown]
	v_lshlrev_b32_e32 v32, 2, v122
	v_mul_u32_u24_e32 v148, 0x210, v33
	v_add_u32_e32 v39, v35, v33
	v_add_u16_e32 v33, v35, v33
	v_and_b32_e32 v106, 0x7c, v32
	v_mov_b32_e32 v32, 0x2100
	v_lshrrev_b16_e32 v146, 1, v33
	v_add_u32_e32 v33, 32, v39
	v_mad_i64_i32 v[108:109], s[8:9], v38, s44, 0
	v_mad_u32_u24 v142, v36, s3, v32
	v_mov_b32_e32 v32, 0x4200
	v_lshrrev_b32_e32 v140, 1, v33
	v_add_u32_e32 v33, 34, v39
	v_mul_lo_u32 v110, s34, v36
	s_lshl_b32 s8, s34, 4
	v_mad_u32_u24 v145, v36, s3, v32
	v_lshrrev_b32_e32 v141, 1, v33
	v_mbcnt_lo_u32_b32 v33, -1, 0
	v_mul_lo_u32 v96, s38, v36
	s_lshl_b32 s3, s38, 4
	v_add_u32_e32 v112, s8, v110
	v_mbcnt_hi_u32_b32 v136, -1, v33
	v_add_u32_e32 v98, s3, v96
	v_add_u32_e32 v114, s8, v112
	v_and_or_b32 v40, v122, 12, v37
	v_and_b32_e32 v33, 64, v136
	v_add_u32_e32 v100, s3, v98
	v_mov_b32_e32 v105, 0
	s_ashr_i32 s35, s34, 31
	v_add_u32_e32 v116, s8, v114
	v_lshrrev_b32_e32 v40, 2, v40
	v_add_u32_e32 v137, 64, v33
	s_ashr_i32 s39, s38, 31
	v_add_u32_e32 v102, s3, v100
	v_and_b32_e32 v33, 8, v129
	v_or_b32_e32 v34, 3, v34
	s_movk_i32 s3, 0x420
	v_mul_u32_u24_e32 v139, 0x210, v36
	v_mov_b32_e32 v107, v105
	v_ashrrev_i32_e32 v111, 31, v110
	v_ashrrev_i32_e32 v113, 31, v112
	;; [unrolled: 1-line block ×4, first 2 shown]
	v_mul_u32_u24_e32 v144, 0x90, v40
	v_xor_b32_e32 v143, 32, v136
	v_xor_b32_e32 v138, 16, v136
	v_ashrrev_i32_e32 v97, 31, v96
	v_ashrrev_i32_e32 v99, 31, v98
	;; [unrolled: 1-line block ×4, first 2 shown]
	v_mul_u32_u24_e32 v130, 0x210, v35
	v_mul_u32_u24_e32 v131, 0x210, v34
	;; [unrolled: 1-line block ×3, first 2 shown]
	v_mad_u32_u24 v133, v33, s3, v32
	v_mov_b64_e32 v[32:33], s[38:39]
	v_mov_b64_e32 v[34:35], s[34:35]
	v_mul_u32_u24_e32 v149, 0x90, v36
	v_lshlrev_b32_e32 v132, 1, v124
	s_cbranch_execz .LBB29_467
; %bb.463:
	v_mov_b32_e32 v151, 0xfeffffff
	v_mov_b32_e32 v128, 0
	;; [unrolled: 1-line block ×34, first 2 shown]
	s_branch .LBB29_470
.LBB29_464:
                                        ; implicit-def: $sgpr56_sgpr57
	s_load_dwordx2 s[54:55], s[0:1], 0x74
	v_cvt_f32_u32_e32 v1, s33
	s_branch .LBB29_2
.LBB29_465:
                                        ; implicit-def: $sgpr60_sgpr61
	s_load_dwordx2 s[46:47], s[0:1], 0x5c
	s_branch .LBB29_5
.LBB29_466:
                                        ; implicit-def: $vgpr104
                                        ; implicit-def: $vgpr108_vgpr109
                                        ; implicit-def: $vgpr34_vgpr35
                                        ; implicit-def: $vgpr139
                                        ; implicit-def: $vgpr106
                                        ; implicit-def: $vgpr110_vgpr111
                                        ; implicit-def: $vgpr142
                                        ; implicit-def: $vgpr112_vgpr113
                                        ; implicit-def: $vgpr145
                                        ; implicit-def: $vgpr114_vgpr115
                                        ; implicit-def: $vgpr147
                                        ; implicit-def: $vgpr116_vgpr117
                                        ; implicit-def: $vgpr127
                                        ; implicit-def: $vgpr148
                                        ; implicit-def: $vgpr144
                                        ; implicit-def: $vgpr146
                                        ; implicit-def: $vgpr140
                                        ; implicit-def: $vgpr141
                                        ; implicit-def: $vgpr136
                                        ; implicit-def: $vgpr137
                                        ; implicit-def: $vgpr143
                                        ; implicit-def: $vgpr138
                                        ; implicit-def: $vgpr32_vgpr33
                                        ; implicit-def: $vgpr96_vgpr97
                                        ; implicit-def: $vgpr98_vgpr99
                                        ; implicit-def: $vgpr100_vgpr101
                                        ; implicit-def: $vgpr102_vgpr103
                                        ; implicit-def: $vgpr130
                                        ; implicit-def: $vgpr131
                                        ; implicit-def: $vgpr134
                                        ; implicit-def: $vgpr133
	v_mul_u32_u24_e32 v149, 0x90, v36
	v_lshlrev_b32_e32 v132, 1, v124
.LBB29_467:
	v_lshlrev_b32_e32 v32, 1, v122
	v_and_b32_e32 v104, 62, v32
	v_mad_i64_i32 v[108:109], s[8:9], v38, s44, 0
	v_mov_b32_e32 v119, 0
	v_lshlrev_b32_e32 v118, 1, v104
	v_lshl_add_u64 v[32:33], v[108:109], 1, s[6:7]
	v_lshl_add_u64 v[120:121], v[32:33], 0, v[118:119]
	v_lshlrev_b32_e32 v33, 2, v122
	v_and_b32_e32 v106, 0x7c, v33
	v_add_u32_e32 v34, 0, v149
	v_mul_u32_u24_e32 v32, 0x180, v36
	v_lshlrev_b32_e32 v33, 2, v106
	s_movk_i32 s3, 0x210
	v_add3_u32 v153, v34, v32, v33
	v_mov_b32_e32 v32, 0x2100
	v_mov_b32_e32 v33, 0x6300
	v_lshlrev_b32_e32 v127, 4, v125
	v_lshrrev_b32_e32 v35, 2, v122
	v_mad_u32_u24 v142, v36, s3, v32
	v_mov_b32_e32 v32, 0x4200
	v_mad_u32_u24 v147, v36, s3, v33
	v_and_b32_e32 v33, 16, v127
	v_and_b32_e32 v38, 0xfc, v35
	v_and_or_b32 v37, v122, 12, v37
	v_mad_u32_u24 v145, v36, s3, v32
	v_mul_u32_u24_e32 v148, 0x210, v33
	v_add_u32_e32 v39, v38, v33
	v_lshrrev_b32_e32 v37, 2, v37
	s_movk_i32 s3, 0x90
	v_add_u16_e32 v33, v38, v33
	v_mul_u32_u24_e32 v144, 0x90, v37
	v_mad_u32_u24 v37, v37, s3, 0
	v_lshrrev_b16_e32 v146, 1, v33
	v_add_u32_e32 v40, 32, v39
	v_add_u32_e32 v39, 34, v39
	v_lshl_add_u32 v33, v146, 2, v37
	v_lshl_add_u32 v157, v40, 1, v37
	;; [unrolled: 1-line block ×3, first 2 shown]
	v_mbcnt_lo_u32_b32 v37, -1, 0
	v_mbcnt_hi_u32_b32 v136, -1, v37
	v_and_b32_e32 v37, 64, v136
	v_mul_lo_u32 v96, s38, v36
	s_lshl_b32 s3, s38, 4
	v_mul_lo_u32 v110, s34, v36
	s_lshl_b32 s8, s34, 4
	v_add_u32_e32 v137, 64, v37
	v_xor_b32_e32 v143, 32, v136
	v_add_u32_e32 v98, s3, v96
	v_add_u32_e32 v112, s8, v110
	v_cmp_lt_i32_e32 vcc, v143, v137
	v_xor_b32_e32 v138, 16, v136
	v_add_u32_e32 v100, s3, v98
	v_mul_u32_u24_e32 v139, 0x210, v36
	v_add_u32_e32 v114, s8, v112
	v_cndmask_b32_e32 v37, v136, v143, vcc
	v_cmp_lt_i32_e32 vcc, v138, v137
	v_add_u32_e32 v102, s3, v100
	v_and_b32_e32 v36, 8, v129
	v_or_b32_e32 v35, 3, v35
	s_movk_i32 s3, 0x420
	v_add_u32_e32 v152, v34, v118
	v_add_u32_e32 v116, s8, v114
	v_add3_u32 v34, 0, v135, v126
	v_lshlrev_b32_e32 v159, 2, v37
	v_cndmask_b32_e32 v37, v136, v138, vcc
	v_mul_u32_u24_e32 v130, 0x210, v38
	v_mul_u32_u24_e32 v131, 0x210, v35
	v_mad_u32_u24 v35, v36, s3, 0
	v_mov_b32_e32 v105, v119
	s_ashr_i32 s35, s34, 31
	v_mov_b32_e32 v107, v119
	v_ashrrev_i32_e32 v111, 31, v110
	v_add_u32_e32 v154, 0x2100, v153
	v_ashrrev_i32_e32 v113, 31, v112
	v_add_u32_e32 v155, 0x4200, v153
	v_ashrrev_i32_e32 v115, 31, v114
	v_add_u32_e32 v156, 0x6300, v153
	v_ashrrev_i32_e32 v117, 31, v116
	v_lshrrev_b32_e32 v140, 1, v40
	v_lshrrev_b32_e32 v141, 1, v39
	v_lshlrev_b32_e32 v160, 2, v37
	s_ashr_i32 s39, s38, 31
	v_ashrrev_i32_e32 v97, 31, v96
	v_ashrrev_i32_e32 v99, 31, v98
	;; [unrolled: 1-line block ×4, first 2 shown]
	v_mul_u32_u24_e32 v134, 0x420, v36
	v_add3_u32 v161, v35, v130, v132
	v_add3_u32 v162, v35, v131, v132
	v_mad_u32_u24 v133, v36, s3, v32
	s_lshl_b32 s8, s76, 6
	v_mov_b32_e32 v151, 0xfeffffff
	v_lshlrev_b32_e32 v118, 2, v106
	v_add_u32_e32 v163, v34, v148
	v_add_u32_e32 v164, 0x8400, v33
	s_mov_b32 s3, 0x3fb8aa3b
	s_mov_b32 s10, 0xc2ce8ed0
	s_mov_b32 s11, 0x42b17218
	s_mov_b32 s12, 0xc1a00000
	s_mov_b32 s13, 0x5040100
	v_mov_b32_e32 v165, 0x7f800000
	v_mov_b32_e32 v128, v119
	;; [unrolled: 1-line block ×34, first 2 shown]
.LBB29_468:                             ; =>This Inner Loop Header: Depth=1
	s_ashr_i32 s9, s8, 31
	v_lshl_add_u64 v[32:33], s[8:9], 1, v[120:121]
	global_load_dword v32, v[32:33], off
	s_mul_hi_i32 s17, s8, s34
	s_mul_i32 s16, s8, s34
	s_lshl_b64 s[16:17], s[16:17], 2
	s_add_u32 s16, s4, s16
	s_addc_u32 s17, s5, s17
	v_lshl_add_u64 v[34:35], v[112:113], 2, s[16:17]
	v_lshl_add_u64 v[42:43], v[34:35], 0, v[118:119]
	;; [unrolled: 1-line block ×6, first 2 shown]
	v_mov_b32_e32 v45, v151
	v_mov_b32_e32 v44, v128
	s_waitcnt vmcnt(0)
	ds_write_b32 v152, v32 offset:33792
	v_lshl_add_u64 v[32:33], v[110:111], 2, s[16:17]
	v_lshl_add_u64 v[32:33], v[32:33], 0, v[118:119]
	global_load_dwordx4 v[32:35], v[32:33], off
	s_mul_hi_i32 s17, s8, s38
	s_mul_i32 s16, s8, s38
	s_lshl_b64 s[16:17], s[16:17], 2
	s_add_u32 s16, s0, s16
	s_addc_u32 s17, s1, s17
	v_lshl_add_u64 v[62:63], v[102:103], 2, s[16:17]
	v_lshl_add_u64 v[62:63], v[62:63], 0, v[118:119]
	s_add_i32 s76, s76, 1
	s_add_i32 s8, s8, 64
	s_waitcnt vmcnt(0)
	ds_write_b128 v153, v[32:35]
	global_load_dwordx4 v[32:35], v[42:43], off
	v_add_u32_e32 v42, 0x4000, v163
	s_waitcnt vmcnt(0)
	ds_write_b128 v154, v[32:35]
	global_load_dwordx4 v[32:35], v[46:47], off
	s_waitcnt vmcnt(0)
	ds_write_b128 v155, v[32:35]
	global_load_dwordx4 v[32:35], v[54:55], off
	s_waitcnt vmcnt(0)
	ds_write_b128 v156, v[32:35]
	s_waitcnt lgkmcnt(0)
	s_barrier
	ds_read2_b64 v[32:35], v163 offset1:4
	s_waitcnt lgkmcnt(0)
	v_mfma_f32_16x16x16_f16 v[166:169], v[32:33], v[28:29], 0
	v_mfma_f32_16x16x16_f16 v[32:35], v[34:35], v[30:31], v[166:169]
	s_nop 6
	ds_read2_b64 v[166:169], v163 offset0:8 offset1:12
	s_waitcnt lgkmcnt(0)
	v_mfma_f32_16x16x16_f16 v[32:35], v[166:167], v[24:25], v[32:35]
	v_mfma_f32_16x16x16_f16 v[32:35], v[168:169], v[26:27], v[32:35]
	ds_read2_b64 v[166:169], v163 offset0:16 offset1:20
	s_waitcnt lgkmcnt(0)
	v_mfma_f32_16x16x16_f16 v[32:35], v[166:167], v[20:21], v[32:35]
	v_mfma_f32_16x16x16_f16 v[32:35], v[168:169], v[22:23], v[32:35]
	;; [unrolled: 4-line block ×8, first 2 shown]
	s_nop 6
	ds_read2_b64 v[170:173], v42 offset0:72 offset1:76
	s_waitcnt lgkmcnt(0)
	v_mfma_f32_16x16x16_f16 v[166:169], v[170:171], v[24:25], v[166:169]
	v_mfma_f32_16x16x16_f16 v[166:169], v[172:173], v[26:27], v[166:169]
	ds_read2_b64 v[170:173], v42 offset0:80 offset1:84
	s_waitcnt lgkmcnt(0)
	v_mfma_f32_16x16x16_f16 v[166:169], v[170:171], v[20:21], v[166:169]
	v_mfma_f32_16x16x16_f16 v[166:169], v[172:173], v[22:23], v[166:169]
	;; [unrolled: 4-line block ×6, first 2 shown]
	ds_read2_b64 v[170:173], v42 offset0:120 offset1:124
	s_waitcnt lgkmcnt(0)
	s_barrier
	ds_read2_b32 v[42:43], v164 offset1:1
	v_mfma_f32_16x16x16_f16 v[166:169], v[170:171], v[0:1], v[166:169]
	s_waitcnt lgkmcnt(0)
	v_cvt_f32_f16_e32 v46, v42
	v_cvt_f32_f16_sdwa v42, v42 dst_sel:DWORD dst_unused:UNUSED_PAD src0_sel:WORD_1
	v_add_f32_e32 v32, v32, v46
	v_add_f32_e32 v33, v33, v42
	v_cvt_f32_f16_e32 v42, v43
	v_cvt_f32_f16_sdwa v43, v43 dst_sel:DWORD dst_unused:UNUSED_PAD src0_sel:WORD_1
	v_mfma_f32_16x16x16_f16 v[166:169], v[172:173], v[2:3], v[166:169]
	v_add_f32_e32 v55, 0x40051340, v33
	v_add_f32_e32 v34, v34, v42
	ds_read_b32 v42, v157 offset:33792
	v_add_f32_e32 v35, v35, v43
	v_add_f32_e32 v58, 0x40051340, v35
	s_waitcnt lgkmcnt(0)
	v_cvt_f32_f16_e32 v43, v42
	v_cvt_f32_f16_sdwa v42, v42 dst_sel:DWORD dst_unused:UNUSED_PAD src0_sel:WORD_1
	v_add_f32_e32 v43, v166, v43
	v_add_f32_e32 v46, v167, v42
	ds_read_b32 v42, v158 offset:33792
	s_waitcnt lgkmcnt(0)
	v_cvt_f32_f16_e32 v47, v42
	v_cvt_f32_f16_sdwa v42, v42 dst_sel:DWORD dst_unused:UNUSED_PAD src0_sel:WORD_1
	v_add_f32_e32 v47, v168, v47
	v_add_f32_e32 v54, v169, v42
	;; [unrolled: 1-line block ×3, first 2 shown]
	v_max3_f32 v42, v45, v42, v55
	v_add_f32_e32 v55, 0x40051340, v34
	v_max3_f32 v42, v42, v55, v58
	v_add_f32_e32 v55, 0x40051340, v43
	v_add_f32_e32 v58, 0x40051340, v46
	v_max3_f32 v42, v42, v55, v58
	v_add_f32_e32 v55, 0x40051340, v47
	v_add_f32_e32 v58, 0x40051340, v54
	v_max3_f32 v42, v42, v55, v58
	ds_bpermute_b32 v55, v159, v42
	s_waitcnt lgkmcnt(0)
	v_max_f32_e32 v55, v55, v55
	v_max_f32_e32 v42, v42, v55
	ds_bpermute_b32 v55, v160, v42
	s_waitcnt lgkmcnt(0)
	v_max_f32_e32 v55, v55, v55
	v_max_f32_e32 v151, v42, v55
	v_sub_f32_e32 v32, v32, v151
	v_mul_f32_e32 v42, 0x3fb8aa3b, v32
	v_fma_f32 v55, v32, s3, -v42
	v_rndne_f32_e32 v58, v42
	v_fmac_f32_e32 v55, 0x32a5705f, v32
	v_sub_f32_e32 v42, v42, v58
	v_add_f32_e32 v42, v42, v55
	v_exp_f32_e32 v42, v42
	v_cvt_i32_f32_e32 v55, v58
	v_cmp_ngt_f32_e32 vcc, s10, v32
	v_sub_f32_e32 v33, v33, v151
	v_sub_f32_e32 v34, v34, v151
	v_ldexp_f32 v42, v42, v55
	v_cndmask_b32_e32 v42, 0, v42, vcc
	v_cmp_nlt_f32_e32 vcc, s11, v32
	v_sub_f32_e32 v35, v35, v151
	v_sub_f32_e32 v45, v45, v151
	v_cndmask_b32_e32 v32, v165, v42, vcc
	v_mul_f32_e32 v42, 0x3fb8aa3b, v33
	v_fma_f32 v55, v33, s3, -v42
	v_rndne_f32_e32 v58, v42
	v_fmac_f32_e32 v55, 0x32a5705f, v33
	v_sub_f32_e32 v42, v42, v58
	v_add_f32_e32 v42, v42, v55
	v_exp_f32_e32 v42, v42
	v_cvt_i32_f32_e32 v55, v58
	v_cmp_ngt_f32_e32 vcc, s10, v33
	v_ldexp_f32 v42, v42, v55
	v_mul_f32_e32 v55, 0x3fb8aa3b, v34
	v_fma_f32 v58, v34, s3, -v55
	v_rndne_f32_e32 v59, v55
	v_fmac_f32_e32 v58, 0x32a5705f, v34
	v_sub_f32_e32 v55, v55, v59
	v_add_f32_e32 v55, v55, v58
	v_exp_f32_e32 v55, v55
	v_cvt_i32_f32_e32 v58, v59
	v_cndmask_b32_e32 v42, 0, v42, vcc
	v_cmp_nlt_f32_e32 vcc, s11, v33
	v_ldexp_f32 v55, v55, v58
	s_nop 0
	v_cndmask_b32_e32 v33, v165, v42, vcc
	v_cmp_ngt_f32_e32 vcc, s10, v34
	v_add_f32_e32 v42, v32, v33
	s_nop 0
	v_cndmask_b32_e32 v55, 0, v55, vcc
	v_cmp_nlt_f32_e32 vcc, s11, v34
	s_nop 1
	v_cndmask_b32_e32 v34, v165, v55, vcc
	v_add_f32_e32 v55, v34, v42
	v_mul_f32_e32 v42, 0x3fb8aa3b, v35
	v_fma_f32 v58, v35, s3, -v42
	v_rndne_f32_e32 v59, v42
	v_fmac_f32_e32 v58, 0x32a5705f, v35
	v_sub_f32_e32 v42, v42, v59
	v_add_f32_e32 v42, v42, v58
	v_exp_f32_e32 v42, v42
	v_cvt_i32_f32_e32 v58, v59
	v_cmp_ngt_f32_e32 vcc, s10, v35
	v_ldexp_f32 v42, v42, v58
	s_nop 0
	v_cndmask_b32_e32 v42, 0, v42, vcc
	v_cmp_nlt_f32_e32 vcc, s11, v35
	v_sub_f32_e32 v35, v43, v151
	v_mul_f32_e32 v43, 0x3fb8aa3b, v35
	v_fma_f32 v58, v35, s3, -v43
	v_rndne_f32_e32 v59, v43
	v_fmac_f32_e32 v58, 0x32a5705f, v35
	v_sub_f32_e32 v43, v43, v59
	v_add_f32_e32 v43, v43, v58
	v_exp_f32_e32 v43, v43
	v_cvt_i32_f32_e32 v58, v59
	v_cndmask_b32_e32 v42, v165, v42, vcc
	v_cmp_ngt_f32_e32 vcc, s10, v35
	v_add_f32_e32 v55, v42, v55
	v_ldexp_f32 v43, v43, v58
	v_cndmask_b32_e32 v43, 0, v43, vcc
	v_cmp_nlt_f32_e32 vcc, s11, v35
	s_nop 1
	v_cndmask_b32_e32 v35, v165, v43, vcc
	v_sub_f32_e32 v43, v46, v151
	v_mul_f32_e32 v46, 0x3fb8aa3b, v43
	v_fma_f32 v58, v43, s3, -v46
	v_rndne_f32_e32 v59, v46
	v_fmac_f32_e32 v58, 0x32a5705f, v43
	v_sub_f32_e32 v46, v46, v59
	v_add_f32_e32 v46, v46, v58
	v_exp_f32_e32 v46, v46
	v_cvt_i32_f32_e32 v58, v59
	v_cmp_ngt_f32_e32 vcc, s10, v43
	v_add_f32_e32 v55, v35, v55
	v_ldexp_f32 v46, v46, v58
	v_cndmask_b32_e32 v46, 0, v46, vcc
	v_cmp_nlt_f32_e32 vcc, s11, v43
	s_nop 1
	v_cndmask_b32_e32 v43, v165, v46, vcc
	v_sub_f32_e32 v46, v47, v151
	v_mul_f32_e32 v47, 0x3fb8aa3b, v46
	v_fma_f32 v58, v46, s3, -v47
	v_rndne_f32_e32 v59, v47
	v_fmac_f32_e32 v58, 0x32a5705f, v46
	v_sub_f32_e32 v47, v47, v59
	v_add_f32_e32 v47, v47, v58
	v_exp_f32_e32 v47, v47
	v_cvt_i32_f32_e32 v58, v59
	v_cmp_ngt_f32_e32 vcc, s10, v46
	v_add_f32_e32 v55, v43, v55
	v_cvt_pk_f16_f32 v94, v35, v43
	v_ldexp_f32 v47, v47, v58
	v_cndmask_b32_e32 v47, 0, v47, vcc
	v_cmp_nlt_f32_e32 vcc, s11, v46
	s_nop 1
	v_cndmask_b32_e32 v46, v165, v47, vcc
	v_sub_f32_e32 v47, v54, v151
	v_mul_f32_e32 v54, 0x3fb8aa3b, v47
	v_fma_f32 v58, v47, s3, -v54
	v_rndne_f32_e32 v59, v54
	v_fmac_f32_e32 v58, 0x32a5705f, v47
	v_sub_f32_e32 v54, v54, v59
	v_add_f32_e32 v54, v54, v58
	v_exp_f32_e32 v54, v54
	v_cvt_i32_f32_e32 v58, v59
	v_cmp_ngt_f32_e32 vcc, s10, v47
	v_add_f32_e32 v55, v46, v55
	v_ldexp_f32 v54, v54, v58
	v_cndmask_b32_e32 v54, 0, v54, vcc
	v_cmp_nlt_f32_e32 vcc, s11, v47
	s_nop 1
	v_cndmask_b32_e32 v47, v165, v54, vcc
	v_mul_f32_e32 v54, 0x3fb8aa3b, v45
	v_add_f32_e32 v128, v47, v55
	v_fma_f32 v55, v45, s3, -v54
	v_rndne_f32_e32 v58, v54
	v_fmac_f32_e32 v55, 0x32a5705f, v45
	v_sub_f32_e32 v54, v54, v58
	v_add_f32_e32 v54, v54, v55
	v_exp_f32_e32 v54, v54
	v_cvt_i32_f32_e32 v55, v58
	v_cmp_ngt_f32_e32 vcc, s10, v45
	v_lshl_add_u64 v[58:59], v[100:101], 2, s[16:17]
	v_lshl_add_u64 v[58:59], v[58:59], 0, v[118:119]
	v_ldexp_f32 v54, v54, v55
	v_cndmask_b32_e32 v54, 0, v54, vcc
	v_cmp_nlt_f32_e32 vcc, s11, v45
	v_cvt_pk_f16_f32 v95, v46, v47
	s_nop 0
	v_cndmask_b32_e32 v54, v165, v54, vcc
	v_cmp_le_f32_e32 vcc, s12, v45
	s_nop 1
	v_cndmask_b32_e32 v45, 0, v54, vcc
	v_fmac_f32_e32 v128, v44, v45
	v_cvt_f16_f32_e32 v44, v45
	v_cmp_lt_i32_e32 vcc, s76, v150
	s_and_b64 vcc, exec, vcc
	v_mul_u32_u24_e32 v54, 0x10001, v44
	v_pk_mul_f16 v45, v51, v54
	v_pk_mul_f16 v44, v50, v54
	v_lshl_add_u64 v[50:51], v[96:97], 2, s[16:17]
	v_lshl_add_u64 v[50:51], v[50:51], 0, v[118:119]
	v_pk_mul_f16 v167, v93, v54
	v_pk_mul_f16 v166, v92, v54
	global_load_dwordx4 v[90:93], v[50:51], off
	v_pk_mul_f16 v39, v39, v54
	v_pk_mul_f16 v38, v38, v54
	;; [unrolled: 1-line block ×28, first 2 shown]
	v_lshl_add_u64 v[54:55], v[98:99], 2, s[16:17]
	v_lshl_add_u64 v[54:55], v[54:55], 0, v[118:119]
	v_cvt_f32_f16_e32 v170, v38
	v_cvt_f32_f16_sdwa v171, v38 dst_sel:DWORD dst_unused:UNUSED_PAD src0_sel:WORD_1
	v_cvt_f32_f16_e32 v168, v39
	v_cvt_f32_f16_sdwa v169, v39 dst_sel:DWORD dst_unused:UNUSED_PAD src0_sel:WORD_1
	s_waitcnt vmcnt(0)
	ds_write_b128 v153, v[90:93]
	global_load_dwordx4 v[90:93], v[54:55], off
	s_waitcnt vmcnt(0)
	ds_write_b128 v154, v[90:93]
	global_load_dwordx4 v[90:93], v[58:59], off
	;; [unrolled: 3-line block ×3, first 2 shown]
	s_waitcnt vmcnt(0)
	ds_write_b128 v156, v[90:93]
	s_waitcnt lgkmcnt(0)
	s_barrier
	ds_read_u16 v50, v161 offset:528
	ds_read_u16 v51, v161 offset:1056
	ds_read_u16 v38, v162
	ds_read_u16 v54, v162 offset:32
	v_cvt_pk_f16_f32 v93, v34, v42
	v_cvt_pk_f16_f32 v92, v32, v33
	s_waitcnt lgkmcnt(1)
	v_perm_b32 v39, v38, v51, s13
	ds_read_u16 v38, v161
	ds_read_u16 v51, v161 offset:32
	s_waitcnt lgkmcnt(1)
	v_perm_b32 v38, v50, v38, s13
	s_nop 1
	v_mfma_f32_16x16x16_f16 v[168:171], v[38:39], v[92:93], v[168:171]
	ds_read_u16 v39, v161 offset:16896
	ds_read_u16 v42, v161 offset:17424
	;; [unrolled: 1-line block ×4, first 2 shown]
	s_nop 3
	v_cvt_f16_f32_e32 v32, v168
	v_cvt_f16_f32_e32 v33, v169
	;; [unrolled: 1-line block ×4, first 2 shown]
	v_cvt_f32_f16_e32 v168, v32
	v_cvt_f32_f16_e32 v169, v33
	;; [unrolled: 1-line block ×3, first 2 shown]
	s_waitcnt lgkmcnt(0)
	v_perm_b32 v33, v55, v50, s13
	v_perm_b32 v32, v42, v39, s13
	ds_read_u16 v38, v161 offset:560
	ds_read_u16 v39, v161 offset:1088
	v_cvt_f32_f16_e32 v170, v34
	ds_read_u16 v42, v161 offset:16928
	ds_read_u16 v46, v161 offset:17456
	;; [unrolled: 1-line block ×4, first 2 shown]
	v_mfma_f32_16x16x16_f16 v[32:35], v[32:33], v[94:95], v[168:171]
	s_waitcnt lgkmcnt(2)
	v_perm_b32 v42, v46, v42, s13
	s_nop 0
	v_cvt_f32_f16_e32 v168, v37
	v_cvt_f32_f16_sdwa v169, v37 dst_sel:DWORD dst_unused:UNUSED_PAD src0_sel:WORD_1
	v_cvt_f32_f16_e32 v170, v36
	v_cvt_f32_f16_sdwa v171, v36 dst_sel:DWORD dst_unused:UNUSED_PAD src0_sel:WORD_1
	v_perm_b32 v37, v54, v39, s13
	v_perm_b32 v36, v38, v51, s13
	s_waitcnt lgkmcnt(0)
	v_perm_b32 v43, v47, v43, s13
	v_mfma_f32_16x16x16_f16 v[36:39], v[36:37], v[92:93], v[168:171]
	s_nop 2
	v_cvt_f32_f16_e32 v168, v41
	v_cvt_f32_f16_sdwa v169, v41 dst_sel:DWORD dst_unused:UNUSED_PAD src0_sel:WORD_1
	s_nop 2
	v_cvt_f16_f32_e32 v36, v36
	v_cvt_f16_f32_e32 v37, v37
	;; [unrolled: 1-line block ×4, first 2 shown]
	v_cvt_f32_f16_e32 v36, v36
	v_cvt_f32_f16_e32 v37, v37
	;; [unrolled: 1-line block ×5, first 2 shown]
	v_cvt_f32_f16_sdwa v171, v40 dst_sel:DWORD dst_unused:UNUSED_PAD src0_sel:WORD_1
	v_mfma_f32_16x16x16_f16 v[36:39], v[42:43], v[94:95], v[36:39]
	ds_read_u16 v42, v161 offset:64
	ds_read_u16 v43, v161 offset:592
	;; [unrolled: 1-line block ×4, first 2 shown]
	s_waitcnt lgkmcnt(2)
	v_perm_b32 v40, v43, v42, s13
	s_nop 1
	v_cvt_pk_f16_f32 v37, v36, v37
	s_waitcnt lgkmcnt(0)
	v_perm_b32 v41, v47, v46, s13
	ds_read_u16 v46, v161 offset:16960
	ds_read_u16 v50, v161 offset:17488
	ds_read_u16 v47, v161 offset:18016
	ds_read_u16 v51, v162 offset:16960
	v_mfma_f32_16x16x16_f16 v[40:43], v[40:41], v[92:93], v[168:171]
	s_waitcnt lgkmcnt(0)
	v_perm_b32 v47, v51, v47, s13
	v_perm_b32 v46, v50, v46, s13
	v_cvt_f32_f16_e32 v168, v45
	s_nop 3
	v_cvt_f16_f32_e32 v40, v40
	v_cvt_f16_f32_e32 v41, v41
	v_cvt_f16_f32_e32 v42, v42
	v_cvt_f16_f32_e32 v43, v43
	v_cvt_f32_f16_e32 v40, v40
	v_cvt_f32_f16_e32 v41, v41
	v_cvt_f32_f16_e32 v42, v42
	v_cvt_f32_f16_e32 v43, v43
	v_cvt_f32_f16_sdwa v169, v45 dst_sel:DWORD dst_unused:UNUSED_PAD src0_sel:WORD_1
	v_cvt_f32_f16_e32 v170, v44
	v_mfma_f32_16x16x16_f16 v[40:43], v[46:47], v[94:95], v[40:43]
	ds_read_u16 v46, v161 offset:96
	ds_read_u16 v47, v161 offset:624
	ds_read_u16 v50, v161 offset:1152
	ds_read_u16 v51, v162 offset:96
	v_cvt_f32_f16_sdwa v171, v44 dst_sel:DWORD dst_unused:UNUSED_PAD src0_sel:WORD_1
	v_cvt_pk_f16_f32 v36, v38, v39
	s_waitcnt lgkmcnt(2)
	v_perm_b32 v44, v47, v46, s13
	v_cvt_pk_f16_f32 v41, v40, v41
	s_waitcnt lgkmcnt(0)
	v_perm_b32 v45, v51, v50, s13
	ds_read_u16 v50, v161 offset:16992
	ds_read_u16 v54, v161 offset:17520
	ds_read_u16 v51, v161 offset:18048
	ds_read_u16 v55, v162 offset:16992
	v_mfma_f32_16x16x16_f16 v[44:47], v[44:45], v[92:93], v[168:171]
	s_waitcnt lgkmcnt(0)
	v_perm_b32 v51, v55, v51, s13
	v_perm_b32 v50, v54, v50, s13
	v_cvt_f32_f16_e32 v168, v49
	s_nop 3
	v_cvt_f16_f32_e32 v44, v44
	v_cvt_f16_f32_e32 v45, v45
	v_cvt_f16_f32_e32 v46, v46
	v_cvt_f16_f32_e32 v47, v47
	v_cvt_f32_f16_e32 v44, v44
	v_cvt_f32_f16_e32 v45, v45
	v_cvt_f32_f16_e32 v46, v46
	v_cvt_f32_f16_e32 v47, v47
	v_cvt_f32_f16_sdwa v169, v49 dst_sel:DWORD dst_unused:UNUSED_PAD src0_sel:WORD_1
	v_cvt_f32_f16_e32 v170, v48
	v_mfma_f32_16x16x16_f16 v[44:47], v[50:51], v[94:95], v[44:47]
	ds_read_u16 v50, v161 offset:128
	ds_read_u16 v51, v161 offset:656
	ds_read_u16 v54, v161 offset:1184
	ds_read_u16 v55, v162 offset:128
	v_cvt_f32_f16_sdwa v171, v48 dst_sel:DWORD dst_unused:UNUSED_PAD src0_sel:WORD_1
	v_cvt_pk_f16_f32 v40, v42, v43
	s_waitcnt lgkmcnt(2)
	v_perm_b32 v48, v51, v50, s13
	;; [unrolled: 32-line block ×11, first 2 shown]
	v_cvt_pk_f16_f32 v81, v80, v81
	s_waitcnt lgkmcnt(0)
	v_perm_b32 v85, v91, v90, s13
	v_cvt_pk_f16_f32 v80, v82, v83
	v_cvt_pk_f16_f32 v51, v44, v45
	v_mfma_f32_16x16x16_f16 v[84:87], v[84:85], v[92:93], v[168:171]
	ds_read_u16 v90, v161 offset:17312
	s_nop 1
	ds_read_u16 v168, v161 offset:17840
	ds_read_u16 v91, v161 offset:18368
	;; [unrolled: 1-line block ×3, first 2 shown]
	v_cvt_f32_f16_e32 v170, v88
	v_cvt_f32_f16_sdwa v171, v88 dst_sel:DWORD dst_unused:UNUSED_PAD src0_sel:WORD_1
	v_cvt_f16_f32_e32 v84, v84
	v_cvt_f16_f32_e32 v85, v85
	;; [unrolled: 1-line block ×4, first 2 shown]
	s_waitcnt lgkmcnt(0)
	v_perm_b32 v91, v169, v91, s13
	v_perm_b32 v90, v168, v90, s13
	v_cvt_f32_f16_e32 v84, v84
	v_cvt_f32_f16_e32 v85, v85
	;; [unrolled: 1-line block ×5, first 2 shown]
	v_cvt_f32_f16_sdwa v169, v89 dst_sel:DWORD dst_unused:UNUSED_PAD src0_sel:WORD_1
	v_mfma_f32_16x16x16_f16 v[84:87], v[90:91], v[94:95], v[84:87]
	ds_read_u16 v90, v161 offset:448
	ds_read_u16 v91, v161 offset:976
	;; [unrolled: 1-line block ×4, first 2 shown]
	v_cvt_pk_f16_f32 v50, v46, v47
	s_waitcnt lgkmcnt(2)
	v_perm_b32 v88, v91, v90, s13
	s_nop 0
	v_cvt_pk_f16_f32 v85, v84, v85
	s_waitcnt lgkmcnt(0)
	v_perm_b32 v89, v173, v172, s13
	v_cvt_pk_f16_f32 v84, v86, v87
	s_nop 0
	v_mfma_f32_16x16x16_f16 v[88:91], v[88:89], v[92:93], v[168:171]
	s_nop 2
	ds_read_u16 v168, v161 offset:17344
	ds_read_u16 v170, v161 offset:17872
	;; [unrolled: 1-line block ×8, first 2 shown]
	v_cvt_f16_f32_e32 v88, v88
	v_cvt_f16_f32_e32 v89, v89
	;; [unrolled: 1-line block ×4, first 2 shown]
	s_waitcnt lgkmcnt(4)
	v_perm_b32 v169, v171, v169, s13
	v_perm_b32 v168, v170, v168, s13
	v_cvt_f32_f16_e32 v88, v88
	v_cvt_f32_f16_e32 v89, v89
	;; [unrolled: 1-line block ×5, first 2 shown]
	v_cvt_f32_f16_sdwa v171, v166 dst_sel:DWORD dst_unused:UNUSED_PAD src0_sel:WORD_1
	v_mfma_f32_16x16x16_f16 v[88:91], v[168:169], v[94:95], v[88:91]
	v_cvt_f32_f16_e32 v168, v167
	v_cvt_f32_f16_sdwa v169, v167 dst_sel:DWORD dst_unused:UNUSED_PAD src0_sel:WORD_1
	s_waitcnt lgkmcnt(0)
	v_perm_b32 v167, v175, v174, s13
	v_perm_b32 v166, v173, v172, s13
	s_nop 2
	v_cvt_pk_f16_f32 v89, v88, v89
	v_cvt_pk_f16_f32 v88, v90, v91
	v_mfma_f32_16x16x16_f16 v[166:169], v[166:167], v[92:93], v[168:171]
	s_nop 2
	ds_read_u16 v170, v161 offset:17376
	ds_read_u16 v171, v161 offset:17904
	;; [unrolled: 1-line block ×4, first 2 shown]
	s_waitcnt lgkmcnt(0)
	s_barrier
	v_cvt_f16_f32_e32 v92, v166
	v_cvt_f16_f32_e32 v93, v167
	;; [unrolled: 1-line block ×4, first 2 shown]
	v_cvt_f32_f16_e32 v166, v92
	v_cvt_f32_f16_e32 v167, v93
	v_perm_b32 v93, v173, v172, s13
	v_perm_b32 v92, v171, v170, s13
	v_cvt_f32_f16_e32 v168, v168
	v_cvt_f32_f16_e32 v169, v169
	s_nop 1
	v_mfma_f32_16x16x16_f16 v[92:95], v[92:93], v[94:95], v[166:169]
	s_nop 7
	v_cvt_pk_f16_f32 v93, v92, v93
	v_cvt_pk_f16_f32 v92, v94, v95
	s_cbranch_vccnz .LBB29_468
; %bb.469:
	v_mov_b64_e32 v[32:33], s[38:39]
	v_mov_b64_e32 v[34:35], s[34:35]
.LBB29_470:
	s_lshl_b32 s8, s76, 6
	s_ashr_i32 s9, s8, 31
	s_lshl_b64 s[10:11], s[8:9], 1
	s_add_u32 s6, s6, s10
	s_addc_u32 s7, s7, s11
	v_lshl_add_u64 v[42:43], v[108:109], 1, s[6:7]
	v_lshl_add_u64 v[42:43], v[104:105], 1, v[42:43]
	global_load_dword v58, v[42:43], off
	v_mul_lo_u32 v42, v34, s9
	v_mul_hi_u32 v43, v34, s8
	v_add_u32_e32 v42, v43, v42
	v_mul_lo_u32 v35, v35, s8
	v_add_u32_e32 v35, v42, v35
	v_mul_lo_u32 v34, v34, s8
	v_lshlrev_b64 v[34:35], 2, v[34:35]
	v_lshl_add_u64 v[42:43], s[4:5], 0, v[34:35]
	v_lshl_add_u64 v[44:45], v[110:111], 2, v[42:43]
	v_lshlrev_b64 v[34:35], 2, v[106:107]
	v_lshl_add_u64 v[44:45], v[44:45], 0, v[34:35]
	v_lshl_add_u64 v[46:47], v[112:113], 2, v[42:43]
	;; [unrolled: 1-line block ×7, first 2 shown]
	global_load_dwordx4 v[108:111], v[44:45], off
	global_load_dwordx4 v[112:115], v[46:47], off
	;; [unrolled: 1-line block ×3, first 2 shown]
                                        ; kill: killed $vgpr54_vgpr55
                                        ; kill: killed $vgpr46_vgpr47
                                        ; kill: killed $vgpr44_vgpr45
	global_load_dwordx4 v[152:155], v[42:43], off
	v_lshlrev_b32_e32 v42, 1, v104
	v_add_u32_e32 v46, 0, v135
	v_lshlrev_b32_e32 v45, 2, v106
	v_add3_u32 v47, 0, v149, v42
	v_add3_u32 v46, v46, v126, v148
	;; [unrolled: 1-line block ×6, first 2 shown]
	s_mov_b32 s3, 0x8400
	v_cmp_lt_i32_e32 vcc, v143, v137
	s_mov_b32 s5, 0x3fb8aa3b
	s_mov_b32 s4, 0x42b17218
	s_waitcnt vmcnt(4)
	ds_write_b32 v47, v58 offset:33792
	s_waitcnt vmcnt(3)
	ds_write_b128 v42, v[108:111]
	s_waitcnt vmcnt(2)
	ds_write_b128 v43, v[112:115]
	;; [unrolled: 2-line block ×4, first 2 shown]
	v_add_u32_e32 v47, 0x4000, v46
	s_waitcnt lgkmcnt(0)
	s_barrier
	ds_read2_b64 v[104:107], v46 offset1:4
	ds_read2_b64 v[112:115], v47 offset0:64 offset1:68
	s_waitcnt lgkmcnt(1)
	v_mfma_f32_16x16x16_f16 v[108:111], v[104:105], v[28:29], 0
	s_waitcnt lgkmcnt(0)
	v_mfma_f32_16x16x16_f16 v[116:119], v[112:113], v[28:29], 0
	v_mfma_f32_16x16x16_f16 v[104:107], v[106:107], v[30:31], v[108:111]
	;; [unrolled: 1-line block ×3, first 2 shown]
	s_nop 3
	ds_read2_b64 v[108:111], v46 offset0:8 offset1:12
	ds_read2_b64 v[112:115], v47 offset0:72 offset1:76
	s_waitcnt lgkmcnt(1)
	v_mfma_f32_16x16x16_f16 v[104:107], v[108:109], v[24:25], v[104:107]
	s_waitcnt lgkmcnt(0)
	v_mfma_f32_16x16x16_f16 v[28:31], v[112:113], v[24:25], v[28:31]
	v_mfma_f32_16x16x16_f16 v[104:107], v[110:111], v[26:27], v[104:107]
	ds_read2_b64 v[108:111], v47 offset0:80 offset1:84
	v_mfma_f32_16x16x16_f16 v[24:27], v[114:115], v[26:27], v[28:31]
	s_nop 4
	ds_read2_b64 v[28:31], v46 offset0:16 offset1:20
	s_waitcnt lgkmcnt(0)
	v_mfma_f32_16x16x16_f16 v[104:107], v[28:29], v[20:21], v[104:107]
	v_mfma_f32_16x16x16_f16 v[24:27], v[108:109], v[20:21], v[24:27]
	v_mfma_f32_16x16x16_f16 v[28:31], v[30:31], v[22:23], v[104:107]
	v_mfma_f32_16x16x16_f16 v[20:23], v[110:111], v[22:23], v[24:27]
	s_nop 4
	ds_read2_b64 v[104:107], v47 offset0:88 offset1:92
	ds_read2_b64 v[24:27], v46 offset0:24 offset1:28
	s_waitcnt lgkmcnt(0)
	v_mfma_f32_16x16x16_f16 v[28:31], v[24:25], v[16:17], v[28:31]
	v_mfma_f32_16x16x16_f16 v[20:23], v[104:105], v[16:17], v[20:23]
	v_mfma_f32_16x16x16_f16 v[24:27], v[26:27], v[18:19], v[28:31]
	v_mfma_f32_16x16x16_f16 v[16:19], v[106:107], v[18:19], v[20:23]
	s_nop 4
	ds_read2_b64 v[28:31], v47 offset0:96 offset1:100
	;; [unrolled: 8-line block ×3, first 2 shown]
	ds_read2_b64 v[16:19], v46 offset0:40 offset1:44
	s_waitcnt lgkmcnt(0)
	v_mfma_f32_16x16x16_f16 v[20:23], v[16:17], v[8:9], v[20:23]
	v_mfma_f32_16x16x16_f16 v[12:15], v[24:25], v[8:9], v[12:15]
	v_add_u32_e32 v24, 0, v144
	v_lshlrev_b32_e32 v25, 2, v146
	v_add3_u32 v25, v24, v25, s3
	v_mfma_f32_16x16x16_f16 v[16:19], v[18:19], v[10:11], v[20:23]
	s_nop 2
	ds_read2_b64 v[20:23], v46 offset0:48 offset1:52
	ds_read2_b64 v[28:31], v47 offset0:112 offset1:116
	s_mov_b32 s3, 0xc2ce8ed0
	v_mfma_f32_16x16x16_f16 v[8:11], v[26:27], v[10:11], v[12:15]
	v_lshl_add_u32 v27, v140, 2, v24
	v_cndmask_b32_e32 v26, v136, v143, vcc
	v_lshlrev_b32_e32 v66, 2, v26
	s_waitcnt lgkmcnt(1)
	v_mfma_f32_16x16x16_f16 v[12:15], v[20:21], v[4:5], v[16:19]
	v_cmp_lt_i32_e32 vcc, v138, v137
	s_nop 1
	ds_read2_b64 v[16:19], v46 offset0:56 offset1:60
	v_mfma_f32_16x16x16_f16 v[12:15], v[22:23], v[6:7], v[12:15]
	ds_read2_b64 v[20:23], v47 offset0:120 offset1:124
	s_waitcnt lgkmcnt(0)
	s_barrier
	v_mfma_f32_16x16x16_f16 v[8:11], v[28:29], v[4:5], v[8:11]
	v_lshl_add_u32 v28, v141, 2, v24
	ds_read2_b32 v[24:25], v25 offset1:1
	v_mfma_f32_16x16x16_f16 v[4:7], v[30:31], v[6:7], v[8:11]
	v_mov_b32_e32 v29, 0x7f800000
	v_mfma_f32_16x16x16_f16 v[8:11], v[16:17], v[0:1], v[12:15]
	s_nop 2
	ds_read_b32 v12, v27 offset:33792
	ds_read_b32 v13, v28 offset:33792
	s_waitcnt lgkmcnt(2)
	v_cvt_f32_f16_e32 v14, v24
	v_cvt_f32_f16_sdwa v15, v24 dst_sel:DWORD dst_unused:UNUSED_PAD src0_sel:WORD_1
	v_mfma_f32_16x16x16_f16 v[4:7], v[20:21], v[0:1], v[4:7]
	v_cvt_f32_f16_e32 v16, v25
	v_cvt_f32_f16_sdwa v17, v25 dst_sel:DWORD dst_unused:UNUSED_PAD src0_sel:WORD_1
	s_waitcnt lgkmcnt(1)
	v_cvt_f32_f16_e32 v20, v12
	v_mfma_f32_16x16x16_f16 v[8:11], v[18:19], v[2:3], v[8:11]
	v_cvt_f32_f16_sdwa v12, v12 dst_sel:DWORD dst_unused:UNUSED_PAD src0_sel:WORD_1
	s_waitcnt lgkmcnt(0)
	v_cvt_f32_f16_e32 v18, v13
	v_cvt_f32_f16_sdwa v13, v13 dst_sel:DWORD dst_unused:UNUSED_PAD src0_sel:WORD_1
	v_mfma_f32_16x16x16_f16 v[0:3], v[22:23], v[2:3], v[4:7]
	s_nop 2
	v_add_f32_e32 v4, v8, v14
	v_add_f32_e32 v5, v9, v15
	;; [unrolled: 1-line block ×4, first 2 shown]
	s_nop 0
	v_add_f32_e32 v26, v1, v12
	v_add_f32_e32 v27, v2, v18
	;; [unrolled: 1-line block ×8, first 2 shown]
	v_max3_f32 v1, v151, v1, v2
	v_add_f32_e32 v9, 0x40051340, v0
	v_add_f32_e32 v10, 0x40051340, v26
	v_max3_f32 v1, v1, v3, v8
	v_add_f32_e32 v11, 0x40051340, v27
	v_add_f32_e32 v12, 0x40051340, v28
	v_max3_f32 v1, v1, v9, v10
	v_max3_f32 v1, v1, v11, v12
	ds_bpermute_b32 v2, v66, v1
	v_cndmask_b32_e32 v3, v136, v138, vcc
	v_lshlrev_b32_e32 v67, 2, v3
	s_waitcnt lgkmcnt(0)
	v_max_f32_e32 v2, v2, v2
	v_max_f32_e32 v1, v1, v2
	ds_bpermute_b32 v2, v67, v1
	s_waitcnt lgkmcnt(0)
	v_max_f32_e32 v2, v2, v2
	v_max_f32_e32 v70, v1, v2
	v_sub_f32_e32 v1, v4, v70
	v_sub_f32_e32 v2, v5, v70
	v_mul_f32_e32 v4, 0x3fb8aa3b, v1
	v_mul_f32_e32 v5, 0x3fb8aa3b, v2
	v_fma_f32 v8, v1, s5, -v4
	v_rndne_f32_e32 v9, v4
	v_fma_f32 v10, v2, s5, -v5
	v_rndne_f32_e32 v11, v5
	v_fmac_f32_e32 v8, 0x32a5705f, v1
	v_sub_f32_e32 v4, v4, v9
	v_fmac_f32_e32 v10, 0x32a5705f, v2
	v_sub_f32_e32 v5, v5, v11
	v_add_f32_e32 v4, v4, v8
	v_cvt_i32_f32_e32 v9, v9
	v_add_f32_e32 v5, v5, v10
	v_exp_f32_e32 v4, v4
	v_cvt_i32_f32_e32 v11, v11
	v_exp_f32_e32 v5, v5
	v_sub_f32_e32 v30, v7, v70
	v_mul_f32_e32 v7, 0x3fb8aa3b, v30
	v_ldexp_f32 v4, v4, v9
	v_cmp_ngt_f32_e32 vcc, s3, v1
	v_fma_f32 v14, v30, s5, -v7
	v_rndne_f32_e32 v15, v7
	v_ldexp_f32 v5, v5, v11
	v_cndmask_b32_e32 v4, 0, v4, vcc
	v_cmp_ngt_f32_e32 vcc, s3, v2
	v_fmac_f32_e32 v14, 0x32a5705f, v30
	v_sub_f32_e32 v3, v6, v70
	v_cndmask_b32_e32 v5, 0, v5, vcc
	v_cmp_nlt_f32_e32 vcc, s4, v1
	v_sub_f32_e32 v1, v7, v15
	v_add_f32_e32 v1, v1, v14
	v_mul_f32_e32 v6, 0x3fb8aa3b, v3
	v_cndmask_b32_e32 v24, v29, v4, vcc
	v_cmp_nlt_f32_e32 vcc, s4, v2
	v_exp_f32_e32 v1, v1
	v_cvt_i32_f32_e32 v2, v15
	v_fma_f32 v12, v3, s5, -v6
	v_rndne_f32_e32 v13, v6
	v_fmac_f32_e32 v12, 0x32a5705f, v3
	v_sub_f32_e32 v6, v6, v13
	v_add_f32_e32 v6, v6, v12
	v_cvt_i32_f32_e32 v13, v13
	v_exp_f32_e32 v6, v6
	v_ldexp_f32 v31, v1, v2
	v_sub_f32_e32 v46, v0, v70
	v_mul_lo_u32 v0, v32, s9
	v_mul_hi_u32 v1, v32, s8
	v_add_u32_e32 v0, v1, v0
	v_mul_lo_u32 v1, v33, s8
	v_add_u32_e32 v1, v0, v1
	v_mul_lo_u32 v0, v32, s8
	v_lshlrev_b64 v[0:1], 2, v[0:1]
	v_ldexp_f32 v6, v6, v13
	v_cndmask_b32_e32 v25, v29, v5, vcc
	v_cmp_ngt_f32_e32 vcc, s3, v3
	v_lshl_add_u64 v[0:1], s[0:1], 0, v[0:1]
	v_mul_f32_e32 v47, 0x3fb8aa3b, v46
	v_cndmask_b32_e32 v4, 0, v6, vcc
	v_cmp_nlt_f32_e32 vcc, s4, v3
	v_lshl_add_u64 v[2:3], v[96:97], 2, v[0:1]
	v_lshl_add_u64 v[16:17], v[2:3], 0, v[34:35]
	;; [unrolled: 1-line block ×6, first 2 shown]
	v_cndmask_b32_e32 v71, v29, v4, vcc
	v_lshl_add_u64 v[20:21], v[2:3], 0, v[34:35]
	v_lshl_add_u64 v[22:23], v[0:1], 0, v[34:35]
	global_load_dwordx4 v[0:3], v[16:17], off
	global_load_dwordx4 v[4:7], v[18:19], off
	;; [unrolled: 1-line block ×4, first 2 shown]
	v_fma_f32 v54, v46, s5, -v47
	v_rndne_f32_e32 v55, v47
	v_fmac_f32_e32 v54, 0x32a5705f, v46
	v_sub_f32_e32 v16, v47, v55
	v_add_f32_e32 v16, v16, v54
	v_exp_f32_e32 v16, v16
	v_cvt_i32_f32_e32 v17, v55
	v_cmp_ngt_f32_e32 vcc, s3, v30
	s_mov_b32 s0, 0xc1a00000
	s_waitcnt vmcnt(3)
	ds_write_b128 v42, v[0:3]
	s_waitcnt vmcnt(2)
	ds_write_b128 v43, v[4:7]
	;; [unrolled: 2-line block ×4, first 2 shown]
	v_cndmask_b32_e32 v18, 0, v31, vcc
	v_cmp_nlt_f32_e32 vcc, s4, v30
	v_ldexp_f32 v16, v16, v17
	v_sub_f32_e32 v17, v26, v70
	v_cndmask_b32_e32 v32, v29, v18, vcc
	v_mul_f32_e32 v18, 0x3fb8aa3b, v17
	v_fma_f32 v19, v17, s5, -v18
	v_rndne_f32_e32 v20, v18
	v_fmac_f32_e32 v19, 0x32a5705f, v17
	v_sub_f32_e32 v18, v18, v20
	v_add_f32_e32 v18, v18, v19
	v_exp_f32_e32 v18, v18
	v_cvt_i32_f32_e32 v19, v20
	v_cmp_ngt_f32_e32 vcc, s3, v46
	v_add_u32_e32 v0, 0, v134
	v_add3_u32 v4, v0, v130, v132
	v_cndmask_b32_e32 v16, 0, v16, vcc
	v_cmp_nlt_f32_e32 vcc, s4, v46
	s_waitcnt lgkmcnt(0)
	s_barrier
	v_cndmask_b32_e32 v33, v29, v16, vcc
	v_ldexp_f32 v16, v18, v19
	v_sub_f32_e32 v18, v27, v70
	v_mul_f32_e32 v19, 0x3fb8aa3b, v18
	v_fma_f32 v20, v18, s5, -v19
	v_rndne_f32_e32 v21, v19
	v_fmac_f32_e32 v20, 0x32a5705f, v18
	v_sub_f32_e32 v19, v19, v21
	v_add_f32_e32 v19, v19, v20
	v_exp_f32_e32 v19, v19
	v_cvt_i32_f32_e32 v20, v21
	v_cmp_ngt_f32_e32 vcc, s3, v17
	v_add3_u32 v5, v0, v131, v132
	s_nop 0
	v_cndmask_b32_e32 v16, 0, v16, vcc
	v_cmp_nlt_f32_e32 vcc, s4, v17
	v_sub_f32_e32 v17, v28, v70
	v_cvt_pk_f16_f32 v45, v71, v32
	v_cndmask_b32_e32 v34, v29, v16, vcc
	v_ldexp_f32 v16, v19, v20
	v_mul_f32_e32 v19, 0x3fb8aa3b, v17
	v_fma_f32 v20, v17, s5, -v19
	v_rndne_f32_e32 v21, v19
	v_fmac_f32_e32 v20, 0x32a5705f, v17
	v_sub_f32_e32 v19, v19, v21
	v_add_f32_e32 v19, v19, v20
	v_cvt_i32_f32_e32 v20, v21
	v_sub_f32_e32 v21, v151, v70
	v_mul_f32_e32 v22, 0x3fb8aa3b, v21
	v_fma_f32 v23, v21, s5, -v22
	v_rndne_f32_e32 v26, v22
	v_fmac_f32_e32 v23, 0x32a5705f, v21
	v_sub_f32_e32 v22, v22, v26
	v_add_f32_e32 v22, v22, v23
	v_exp_f32_e32 v22, v22
	v_cvt_i32_f32_e32 v23, v26
	v_cmp_ngt_f32_e32 vcc, s3, v18
	v_exp_f32_e32 v19, v19
	v_cvt_pk_f16_f32 v44, v24, v25
	v_cndmask_b32_e32 v16, 0, v16, vcc
	v_cmp_nlt_f32_e32 vcc, s4, v18
	v_ldexp_f32 v18, v22, v23
	v_cvt_pk_f16_f32 v46, v33, v34
	v_cndmask_b32_e32 v74, v29, v16, vcc
	v_cmp_ngt_f32_e32 vcc, s3, v21
	v_ldexp_f32 v16, v19, v20
	s_nop 0
	v_cndmask_b32_e32 v18, 0, v18, vcc
	v_cmp_nlt_f32_e32 vcc, s4, v21
	s_nop 1
	v_cndmask_b32_e32 v18, v29, v18, vcc
	v_cmp_le_f32_e32 vcc, s0, v21
	s_mov_b32 s0, 0x5040100
	s_nop 0
	v_cndmask_b32_e32 v75, 0, v18, vcc
	v_cvt_f16_f32_e32 v18, v75
	v_cmp_ngt_f32_e32 vcc, s3, v17
	v_mul_u32_u24_e32 v35, 0x10001, v18
	s_nop 0
	v_cndmask_b32_e32 v16, 0, v16, vcc
	v_cmp_nlt_f32_e32 vcc, s4, v17
	v_pk_mul_f16 v17, v38, v35
	v_pk_mul_f16 v36, v36, v35
	v_cndmask_b32_e32 v78, v29, v16, vcc
	v_pk_mul_f16 v16, v39, v35
	v_cvt_f32_f16_e32 v2, v17
	v_cvt_f32_f16_e32 v0, v16
	v_cvt_f32_f16_sdwa v1, v16 dst_sel:DWORD dst_unused:UNUSED_PAD src0_sel:WORD_1
	ds_read_u16 v3, v4 offset:1056
	ds_read_u16 v10, v4 offset:1088
	;; [unrolled: 1-line block ×8, first 2 shown]
	ds_read_u16 v6, v5
	ds_read_u16 v18, v5 offset:32
	ds_read_u16 v19, v5 offset:64
	ds_read_u16 v26, v5 offset:96
	ds_read_u16 v27, v5 offset:128
	ds_read_u16 v54, v5 offset:160
	ds_read_u16 v58, v5 offset:192
	ds_read_u16 v62, v5 offset:224
	s_waitcnt lgkmcnt(7)
	v_perm_b32 v7, v6, v3, s0
	ds_read_u16 v3, v4
	ds_read_u16 v28, v4 offset:32
	ds_read_u16 v38, v4 offset:64
	ds_read_u16 v42, v4 offset:96
	ds_read_u16 v55, v4 offset:128
	ds_read_u16 v59, v4 offset:160
	ds_read_u16 v63, v4 offset:192
	ds_read_u16 v79, v4 offset:224
	ds_read_u16 v6, v4 offset:528
	ds_read_u16 v29, v4 offset:560
	ds_read_u16 v39, v4 offset:592
	ds_read_u16 v43, v4 offset:624
	ds_read_u16 v82, v4 offset:656
	ds_read_u16 v83, v4 offset:688
	ds_read_u16 v86, v4 offset:720
	ds_read_u16 v87, v4 offset:752
	s_waitcnt lgkmcnt(7)
	v_perm_b32 v6, v6, v3, s0
	v_cvt_f32_f16_sdwa v3, v17 dst_sel:DWORD dst_unused:UNUSED_PAD src0_sel:WORD_1
	v_pk_mul_f16 v17, v37, v35
	v_cvt_pk_f16_f32 v47, v74, v78
	v_mfma_f32_16x16x16_f16 v[0:3], v[6:7], v[44:45], v[0:3]
	v_add_u32_e32 v7, 0, v133
	v_add3_u32 v6, v7, v130, v132
	v_add3_u32 v7, v7, v131, v132
	ds_read_u16 v8, v6 offset:1056
	ds_read_u16 v30, v6 offset:1088
	;; [unrolled: 1-line block ×8, first 2 shown]
	ds_read_u16 v9, v7
	ds_read_u16 v31, v7 offset:32
	ds_read_u16 v97, v7 offset:64
	;; [unrolled: 1-line block ×7, first 2 shown]
	v_cvt_f16_f32_e32 v0, v0
	v_cvt_f16_f32_e32 v1, v1
	;; [unrolled: 1-line block ×4, first 2 shown]
	s_waitcnt lgkmcnt(7)
	v_perm_b32 v9, v9, v8, s0
	ds_read_u16 v8, v6
	ds_read_u16 v103, v6 offset:32
	ds_read_u16 v104, v6 offset:64
	;; [unrolled: 1-line block ×15, first 2 shown]
	s_waitcnt lgkmcnt(7)
	v_perm_b32 v8, v20, v8, s0
	v_cvt_f32_f16_e32 v0, v0
	v_cvt_f32_f16_e32 v1, v1
	v_cvt_f32_f16_e32 v2, v2
	v_cvt_f32_f16_e32 v3, v3
	s_nop 1
	v_mfma_f32_16x16x16_f16 v[20:23], v[8:9], v[46:47], v[0:3]
	v_perm_b32 v9, v18, v10, s0
	v_perm_b32 v8, v29, v28, s0
	s_nop 0
	v_cvt_f32_f16_e32 v0, v17
	v_cvt_f32_f16_sdwa v1, v17 dst_sel:DWORD dst_unused:UNUSED_PAD src0_sel:WORD_1
	v_cvt_f32_f16_e32 v2, v36
	v_cvt_f32_f16_sdwa v3, v36 dst_sel:DWORD dst_unused:UNUSED_PAD src0_sel:WORD_1
	v_pk_mul_f16 v10, v41, v35
	v_pk_mul_f16 v17, v40, v35
	v_mfma_f32_16x16x16_f16 v[0:3], v[8:9], v[44:45], v[0:3]
	v_perm_b32 v9, v31, v30, s0
	s_waitcnt lgkmcnt(6)
	v_perm_b32 v8, v110, v103, s0
	s_nop 4
	v_cvt_f16_f32_e32 v0, v0
	v_cvt_f16_f32_e32 v1, v1
	v_cvt_f16_f32_e32 v2, v2
	v_cvt_f16_f32_e32 v3, v3
	v_cvt_f32_f16_e32 v0, v0
	v_cvt_f32_f16_e32 v1, v1
	v_cvt_f32_f16_e32 v2, v2
	v_cvt_f32_f16_e32 v3, v3
	s_nop 1
	v_mfma_f32_16x16x16_f16 v[28:31], v[8:9], v[46:47], v[0:3]
	v_perm_b32 v9, v19, v11, s0
	v_perm_b32 v8, v39, v38, s0
	s_nop 0
	v_cvt_f32_f16_e32 v0, v10
	v_cvt_f32_f16_sdwa v1, v10 dst_sel:DWORD dst_unused:UNUSED_PAD src0_sel:WORD_1
	v_cvt_f32_f16_e32 v2, v17
	v_cvt_f32_f16_sdwa v3, v17 dst_sel:DWORD dst_unused:UNUSED_PAD src0_sel:WORD_1
	v_pk_mul_f16 v10, v51, v35
	v_pk_mul_f16 v11, v50, v35
	v_mfma_f32_16x16x16_f16 v[0:3], v[8:9], v[44:45], v[0:3]
	v_perm_b32 v9, v97, v37, s0
	s_waitcnt lgkmcnt(5)
	v_perm_b32 v8, v111, v104, s0
	s_nop 4
	v_cvt_f16_f32_e32 v0, v0
	v_cvt_f16_f32_e32 v1, v1
	v_cvt_f16_f32_e32 v2, v2
	v_cvt_f16_f32_e32 v3, v3
	;; [unrolled: 24-line block ×7, first 2 shown]
	v_cvt_f32_f16_e32 v0, v0
	v_cvt_f32_f16_e32 v1, v1
	;; [unrolled: 1-line block ×4, first 2 shown]
	s_nop 1
	v_mfma_f32_16x16x16_f16 v[60:63], v[8:9], v[46:47], v[0:3]
	s_nop 2
	v_cvt_f32_f16_e32 v0, v10
	v_cvt_f32_f16_sdwa v1, v10 dst_sel:DWORD dst_unused:UNUSED_PAD src0_sel:WORD_1
	ds_read_u16 v3, v4 offset:1312
	ds_read_u16 v8, v4 offset:1344
	;; [unrolled: 1-line block ×16, first 2 shown]
	s_waitcnt lgkmcnt(7)
	v_perm_b32 v5, v9, v3, s0
	ds_read_u16 v3, v4 offset:256
	ds_read_u16 v14, v4 offset:288
	;; [unrolled: 1-line block ×16, first 2 shown]
	s_waitcnt lgkmcnt(7)
	v_perm_b32 v4, v9, v3, s0
	v_cvt_f32_f16_e32 v2, v11
	v_cvt_f32_f16_sdwa v3, v11 dst_sel:DWORD dst_unused:UNUSED_PAD src0_sel:WORD_1
	v_perm_b32 v9, v10, v8, s0
	s_waitcnt lgkmcnt(6)
	v_perm_b32 v8, v27, v14, s0
	v_mfma_f32_16x16x16_f16 v[0:3], v[4:5], v[44:45], v[0:3]
	ds_read_u16 v4, v6 offset:1312
	ds_read_u16 v11, v6 offset:1344
	;; [unrolled: 1-line block ×16, first 2 shown]
	s_waitcnt lgkmcnt(7)
	v_perm_b32 v5, v5, v4, s0
	ds_read_u16 v4, v6 offset:256
	ds_read_u16 v114, v6 offset:288
	;; [unrolled: 1-line block ×16, first 2 shown]
	v_cvt_f16_f32_e32 v0, v0
	v_cvt_f16_f32_e32 v1, v1
	;; [unrolled: 1-line block ×4, first 2 shown]
	s_waitcnt lgkmcnt(7)
	v_perm_b32 v4, v7, v4, s0
	v_cvt_f32_f16_e32 v0, v0
	v_cvt_f32_f16_e32 v1, v1
	;; [unrolled: 1-line block ×4, first 2 shown]
	v_pk_mul_f16 v6, v69, v35
	v_pk_mul_f16 v7, v68, v35
	v_mfma_f32_16x16x16_f16 v[0:3], v[4:5], v[46:47], v[0:3]
	v_cvt_f32_f16_e32 v4, v6
	v_cvt_f32_f16_sdwa v5, v6 dst_sel:DWORD dst_unused:UNUSED_PAD src0_sel:WORD_1
	v_cvt_f32_f16_e32 v6, v7
	v_cvt_f32_f16_sdwa v7, v7 dst_sel:DWORD dst_unused:UNUSED_PAD src0_sel:WORD_1
	v_pk_mul_f16 v10, v73, v35
	v_perm_b32 v13, v13, v12, s0
	v_mfma_f32_16x16x16_f16 v[4:7], v[8:9], v[44:45], v[4:7]
	v_perm_b32 v9, v107, v11, s0
	s_waitcnt lgkmcnt(6)
	v_perm_b32 v8, v121, v114, s0
	v_pk_mul_f16 v11, v72, v35
	v_perm_b32 v12, v95, v17, s0
	s_nop 2
	v_cvt_f16_f32_e32 v4, v4
	v_cvt_f16_f32_e32 v5, v5
	;; [unrolled: 1-line block ×4, first 2 shown]
	v_cvt_f32_f16_e32 v4, v4
	v_cvt_f32_f16_e32 v5, v5
	v_cvt_f32_f16_e32 v6, v6
	v_cvt_f32_f16_e32 v7, v7
	v_pk_mul_f16 v14, v77, v35
	v_pk_mul_f16 v27, v76, v35
	v_mfma_f32_16x16x16_f16 v[4:7], v[8:9], v[46:47], v[4:7]
	v_cvt_f32_f16_e32 v8, v10
	v_cvt_f32_f16_sdwa v9, v10 dst_sel:DWORD dst_unused:UNUSED_PAD src0_sel:WORD_1
	v_cvt_f32_f16_e32 v10, v11
	v_cvt_f32_f16_sdwa v11, v11 dst_sel:DWORD dst_unused:UNUSED_PAD src0_sel:WORD_1
	v_perm_b32 v17, v16, v15, s0
	v_perm_b32 v16, v96, v18, s0
	v_mfma_f32_16x16x16_f16 v[8:11], v[12:13], v[44:45], v[8:11]
	v_perm_b32 v13, v108, v101, s0
	s_waitcnt lgkmcnt(5)
	v_perm_b32 v12, v130, v115, s0
	v_cvt_f32_f16_sdwa v15, v27 dst_sel:DWORD dst_unused:UNUSED_PAD src0_sel:WORD_1
	v_pk_mul_f16 v18, v81, v35
	s_nop 2
	v_cvt_f16_f32_e32 v8, v8
	v_cvt_f16_f32_e32 v9, v9
	;; [unrolled: 1-line block ×4, first 2 shown]
	v_cvt_f32_f16_e32 v8, v8
	v_cvt_f32_f16_e32 v9, v9
	;; [unrolled: 1-line block ×4, first 2 shown]
	v_pk_mul_f16 v68, v80, v35
	v_pk_mul_f16 v69, v84, v35
	v_mfma_f32_16x16x16_f16 v[8:11], v[12:13], v[46:47], v[8:11]
	v_cvt_f32_f16_e32 v12, v14
	v_cvt_f32_f16_sdwa v13, v14 dst_sel:DWORD dst_unused:UNUSED_PAD src0_sel:WORD_1
	v_cvt_f32_f16_e32 v14, v27
	v_perm_b32 v27, v26, v19, s0
	v_perm_b32 v26, v97, v82, s0
	v_mfma_f32_16x16x16_f16 v[12:15], v[16:17], v[44:45], v[12:15]
	v_perm_b32 v17, v109, v102, s0
	s_waitcnt lgkmcnt(4)
	v_perm_b32 v16, v131, v116, s0
	v_cvt_f32_f16_sdwa v19, v68 dst_sel:DWORD dst_unused:UNUSED_PAD src0_sel:WORD_1
	v_cvt_f32_f16_e32 v82, v69
	s_nop 2
	v_cvt_f16_f32_e32 v12, v12
	v_cvt_f16_f32_e32 v13, v13
	v_cvt_f16_f32_e32 v14, v14
	v_cvt_f16_f32_e32 v15, v15
	v_cvt_f32_f16_e32 v12, v12
	v_cvt_f32_f16_e32 v13, v13
	;; [unrolled: 1-line block ×4, first 2 shown]
	v_perm_b32 v65, v86, v65, s0
	s_waitcnt lgkmcnt(0)
	v_mfma_f32_16x16x16_f16 v[12:15], v[16:17], v[46:47], v[12:15]
	v_cvt_f32_f16_e32 v16, v18
	v_cvt_f32_f16_sdwa v17, v18 dst_sel:DWORD dst_unused:UNUSED_PAD src0_sel:WORD_1
	v_cvt_f32_f16_e32 v18, v68
	v_pk_mul_f16 v68, v85, v35
	s_barrier
	v_mfma_f32_16x16x16_f16 v[16:19], v[26:27], v[44:45], v[16:19]
	v_perm_b32 v27, v110, v103, s0
	v_perm_b32 v26, v132, v117, s0
	v_cvt_f32_f16_e32 v80, v68
	v_cvt_f32_f16_sdwa v81, v68 dst_sel:DWORD dst_unused:UNUSED_PAD src0_sel:WORD_1
	s_nop 3
	v_cvt_f16_f32_e32 v16, v16
	v_cvt_f16_f32_e32 v17, v17
	;; [unrolled: 1-line block ×4, first 2 shown]
	v_cvt_f32_f16_e32 v16, v16
	v_cvt_f32_f16_e32 v17, v17
	;; [unrolled: 1-line block ×4, first 2 shown]
	s_nop 1
	v_mfma_f32_16x16x16_f16 v[16:19], v[26:27], v[46:47], v[16:19]
	v_perm_b32 v27, v83, v64, s0
	v_perm_b32 v26, v98, v90, s0
	v_cvt_f32_f16_sdwa v83, v69 dst_sel:DWORD dst_unused:UNUSED_PAD src0_sel:WORD_1
	v_pk_mul_f16 v69, v88, v35
	s_nop 0
	v_mfma_f32_16x16x16_f16 v[80:83], v[26:27], v[44:45], v[80:83]
	s_nop 7
	v_cvt_f16_f32_e32 v26, v80
	v_cvt_f16_f32_e32 v27, v81
	;; [unrolled: 1-line block ×4, first 2 shown]
	v_cvt_f32_f16_e32 v80, v26
	v_cvt_f32_f16_e32 v81, v27
	v_perm_b32 v27, v111, v104, s0
	v_perm_b32 v26, v133, v118, s0
	v_cvt_f32_f16_e32 v82, v64
	v_cvt_f32_f16_e32 v83, v68
	v_pk_mul_f16 v64, v89, v35
	v_add_f32_e32 v68, v24, v25
	v_mfma_f32_16x16x16_f16 v[24:27], v[26:27], v[46:47], v[80:83]
	v_add_f32_e32 v68, v71, v68
	v_add_f32_e32 v32, v32, v68
	s_nop 0
	v_cvt_f32_f16_e32 v80, v64
	v_cvt_f32_f16_sdwa v81, v64 dst_sel:DWORD dst_unused:UNUSED_PAD src0_sel:WORD_1
	v_perm_b32 v64, v99, v91, s0
	v_cvt_f32_f16_e32 v82, v69
	v_cvt_f32_f16_sdwa v83, v69 dst_sel:DWORD dst_unused:UNUSED_PAD src0_sel:WORD_1
	v_add_f32_e32 v68, v33, v32
	v_add_f32_e32 v68, v34, v68
	v_mfma_f32_16x16x16_f16 v[80:83], v[64:65], v[44:45], v[80:83]
	v_pk_mul_f16 v69, v92, v35
	v_add_f32_e32 v68, v74, v68
	v_add_f32_e32 v68, v78, v68
	v_fmac_f32_e32 v68, v128, v75
	s_nop 3
	v_cvt_f16_f32_e32 v32, v80
	v_cvt_f16_f32_e32 v33, v81
	;; [unrolled: 1-line block ×4, first 2 shown]
	v_cvt_f32_f16_e32 v80, v32
	v_cvt_f32_f16_e32 v81, v33
	v_perm_b32 v33, v112, v105, s0
	v_perm_b32 v32, v134, v119, s0
	v_cvt_f32_f16_e32 v82, v64
	v_cvt_f32_f16_e32 v83, v65
	v_pk_mul_f16 v64, v93, v35
	v_perm_b32 v65, v87, v79, s0
	v_mfma_f32_16x16x16_f16 v[32:35], v[32:33], v[46:47], v[80:83]
	s_nop 2
	v_cvt_f32_f16_e32 v80, v64
	v_cvt_f32_f16_sdwa v81, v64 dst_sel:DWORD dst_unused:UNUSED_PAD src0_sel:WORD_1
	v_perm_b32 v64, v100, v94, s0
	v_cvt_f32_f16_e32 v82, v69
	v_cvt_f32_f16_sdwa v83, v69 dst_sel:DWORD dst_unused:UNUSED_PAD src0_sel:WORD_1
	s_nop 1
	v_mfma_f32_16x16x16_f16 v[72:75], v[64:65], v[44:45], v[80:83]
	s_nop 7
	v_cvt_f16_f32_e32 v64, v74
	v_cvt_f16_f32_e32 v44, v72
	;; [unrolled: 1-line block ×4, first 2 shown]
	v_cvt_f32_f16_e32 v74, v64
	ds_bpermute_b32 v64, v66, v68
	v_cvt_f32_f16_e32 v72, v44
	v_cvt_f32_f16_e32 v73, v45
	v_perm_b32 v45, v113, v106, s0
	v_perm_b32 v44, v135, v120, s0
	v_cvt_f32_f16_e32 v75, v65
	s_waitcnt lgkmcnt(0)
	v_add_f32_e32 v64, v68, v64
	ds_bpermute_b32 v65, v67, v64
	v_mfma_f32_16x16x16_f16 v[44:47], v[44:45], v[46:47], v[72:75]
	v_cmp_gt_u32_e64 s[0:1], 16, v122
	s_and_saveexec_b64 s[4:5], s[0:1]
	s_cbranch_execz .LBB29_472
; %bb.471:
	s_waitcnt lgkmcnt(0)
	v_add_f32_e32 v64, v64, v65
	v_or_b32_e32 v65, v127, v122
	s_movk_i32 s3, 0x110
	v_mad_i32_i24 v65, v65, s3, 0
	ds_write2_b32 v65, v70, v64 offset0:64 offset1:65
.LBB29_472:
	s_or_b64 exec, exec, s[4:5]
	v_and_b32_e32 v64, 1, v125
	v_cmp_eq_u32_e32 vcc, 0, v64
	v_cmp_eq_u32_e64 s[4:5], 1, v64
	s_waitcnt lgkmcnt(0)
	s_barrier
	s_and_saveexec_b64 s[6:7], s[4:5]
	s_xor_b64 s[4:5], exec, s[6:7]
	s_cbranch_execz .LBB29_474
; %bb.473:
	s_barrier
                                        ; implicit-def: $vgpr129
                                        ; implicit-def: $vgpr67
.LBB29_474:
	s_andn2_saveexec_b64 s[6:7], s[4:5]
	s_cbranch_execz .LBB29_480
; %bb.475:
	v_and_b32_e32 v64, 31, v122
	v_add_u32_e32 v65, v127, v64
	s_movk_i32 s3, 0x110
	v_mad_i32_i24 v64, v65, s3, 0
	ds_read_b64 v[68:69], v64 offset:256
	s_mov_b32 s3, 0x3fb8aa3b
	s_mov_b32 s8, 0x42b17218
	s_waitcnt lgkmcnt(0)
	s_barrier
	ds_bpermute_b32 v64, v67, v68
	v_max_f32_e32 v66, v68, v68
	s_waitcnt lgkmcnt(0)
	v_max_f32_e32 v64, v64, v64
	v_max_f32_e32 v64, v66, v64
	v_sub_f32_e32 v66, v68, v64
	v_mul_f32_e32 v68, 0x3fb8aa3b, v66
	v_fma_f32 v70, v66, s3, -v68
	v_rndne_f32_e32 v71, v68
	v_fmamk_f32 v70, v66, 0x32a5705f, v70
	v_sub_f32_e32 v68, v68, v71
	v_add_f32_e32 v68, v68, v70
	v_cvt_i32_f32_e32 v71, v71
	v_exp_f32_e32 v68, v68
	s_mov_b32 s3, 0xc2ce8ed0
	v_cmp_ngt_f32_e64 s[4:5], s3, v66
	v_mov_b32_e32 v70, 0x7f800000
	v_ldexp_f32 v68, v68, v71
	v_cndmask_b32_e64 v68, 0, v68, s[4:5]
	v_cmp_nlt_f32_e64 s[4:5], s8, v66
	s_nop 1
	v_cndmask_b32_e64 v66, v70, v68, s[4:5]
	v_mul_f32_e32 v68, v69, v66
	ds_bpermute_b32 v67, v67, v68
	v_cmp_gt_u32_e64 s[4:5], 32, v122
	s_waitcnt lgkmcnt(0)
	v_fmac_f32_e32 v67, v69, v66
	s_and_saveexec_b64 s[8:9], s[4:5]
; %bb.476:
	v_mul_i32_i24_e32 v65, 0x110, v65
	v_add_u32_e32 v65, 0, v65
	ds_write_b64 v65, v[66:67] offset:256
; %bb.477:
	s_or_b64 exec, exec, s[8:9]
	s_and_saveexec_b64 s[4:5], s[0:1]
	s_cbranch_execz .LBB29_479
; %bb.478:
	s_add_i32 s0, s33, s2
	s_lshl_b32 s0, s0, 6
	s_mov_b32 s1, 0
	s_lshl_b64 s[0:1], s[0:1], 3
	s_add_u32 s0, s30, s0
	v_or_b32_e32 v65, v129, v122
	s_addc_u32 s1, s31, s1
	v_lshlrev_b32_e32 v66, 3, v65
	v_mov_b32_e32 v65, v67
	global_store_dwordx2 v66, v[64:65], s[0:1]
.LBB29_479:
	s_or_b64 exec, exec, s[4:5]
.LBB29_480:
	s_or_b64 exec, exec, s[6:7]
	s_mov_b32 s3, 0
	s_lshl_b32 s2, s2, 13
	v_cvt_pk_f16_f32 v22, v22, v23
	v_cvt_pk_f16_f32 v23, v20, v21
	v_or_b32_e32 v20, v127, v124
	s_lshl_b64 s[0:1], s[2:3], 3
	v_mul_i32_i24_e32 v20, 0x110, v20
	s_add_u32 s5, s30, s0
	s_movk_i32 s6, 0x110
	v_add3_u32 v21, 0, v20, v126
	s_addc_u32 s4, s31, s1
	v_lshrrev_b32_e32 v20, 1, v125
	v_cvt_pk_f16_f32 v30, v30, v31
	v_cvt_pk_f16_f32 v28, v28, v29
	;; [unrolled: 1-line block ×14, first 2 shown]
	ds_write2_b32 v21, v23, v22 offset1:1
	ds_write2_b32 v21, v28, v30 offset0:8 offset1:9
	ds_write2_b32 v21, v31, v29 offset0:16 offset1:17
	;; [unrolled: 1-line block ×7, first 2 shown]
	s_waitcnt lgkmcnt(0)
	s_barrier
	s_and_saveexec_b64 s[0:1], vcc
	s_cbranch_execz .LBB29_482
; %bb.481:
	v_bfe_u32 v36, v125, 1, 4
	s_movk_i32 s7, 0x3e0
	v_and_or_b32 v28, v125, s7, v36
	v_mad_u32_u24 v22, v28, s6, v123
	ds_read2st64_b32 v[22:23], v22 offset1:17
	s_load_dword s2, s[14:15], 0x10
	v_mad_u32_u24 v28, v28, s6, 0
	ds_read2st64_b32 v[28:29], v28 offset0:1 offset1:18
	s_movk_i32 s7, 0x7e0
	s_waitcnt lgkmcnt(0)
	v_cvt_f32_f16_e32 v30, v22
	v_cvt_f32_f16_sdwa v31, v22 dst_sel:DWORD dst_unused:UNUSED_PAD src0_sel:WORD_1
	v_cvt_f32_f16_e32 v22, v23
	v_cvt_f32_f16_sdwa v23, v23 dst_sel:DWORD dst_unused:UNUSED_PAD src0_sel:WORD_1
	s_lshr_b32 s2, s2, 16
	s_cmp_lg_u32 s2, 0
	v_pk_fma_f32 v[30:31], v[28:29], v[30:31], 0 op_sel_hi:[0,1,0]
	v_mov_b32_e32 v28, v29
	s_cselect_b64 s[8:9], -1, 0
	v_pk_fma_f32 v[22:23], v[28:29], v[22:23], v[30:31] op_sel_hi:[0,1,1]
	v_add_u32_e32 v30, 4, v20
	s_cmp_lg_u64 s[8:9], 0
	v_lshlrev_b32_e32 v28, 1, v30
	v_and_b32_e32 v29, 15, v30
	s_addc_u32 s2, s33, 0
	v_and_or_b32 v31, v28, s7, v29
	s_lshl_b32 s2, s2, 7
	v_mad_u32_u24 v28, v31, s6, v123
	s_lshl_b64 s[2:3], s[2:3], 3
	ds_read2st64_b32 v[28:29], v28 offset1:17
	s_add_u32 s2, s5, s2
	v_lshlrev_b32_e32 v37, 6, v125
	s_addc_u32 s3, s4, s3
	v_add_lshl_u32 v37, v37, v122, 3
	global_store_dwordx2 v37, v[22:23], s[2:3]
	v_mad_u32_u24 v22, v31, s6, 0
	ds_read2st64_b32 v[22:23], v22 offset0:1 offset1:18
	v_lshlrev_b32_e32 v37, 7, v30
	s_waitcnt lgkmcnt(1)
	v_cvt_f32_f16_e32 v30, v28
	v_cvt_f32_f16_sdwa v31, v28 dst_sel:DWORD dst_unused:UNUSED_PAD src0_sel:WORD_1
	v_cvt_f32_f16_e32 v28, v29
	v_cvt_f32_f16_sdwa v29, v29 dst_sel:DWORD dst_unused:UNUSED_PAD src0_sel:WORD_1
	v_add_lshl_u32 v37, v37, v122, 3
	s_waitcnt lgkmcnt(0)
	v_pk_fma_f32 v[30:31], v[22:23], v[30:31], 0 op_sel_hi:[0,1,0]
	v_mov_b32_e32 v22, v23
	v_pk_fma_f32 v[22:23], v[22:23], v[28:29], v[30:31] op_sel_hi:[0,1,1]
	v_add_u32_e32 v30, 8, v20
	v_lshlrev_b32_e32 v28, 1, v30
	v_and_b32_e32 v29, 15, v30
	v_and_or_b32 v31, v28, s7, v29
	v_mad_u32_u24 v28, v31, s6, v123
	ds_read2st64_b32 v[28:29], v28 offset1:17
	global_store_dwordx2 v37, v[22:23], s[2:3]
	v_mad_u32_u24 v22, v31, s6, 0
	ds_read2st64_b32 v[22:23], v22 offset0:1 offset1:18
	v_lshlrev_b32_e32 v37, 7, v30
	s_waitcnt lgkmcnt(1)
	v_cvt_f32_f16_e32 v30, v28
	v_cvt_f32_f16_sdwa v31, v28 dst_sel:DWORD dst_unused:UNUSED_PAD src0_sel:WORD_1
	v_cvt_f32_f16_e32 v28, v29
	v_cvt_f32_f16_sdwa v29, v29 dst_sel:DWORD dst_unused:UNUSED_PAD src0_sel:WORD_1
	v_add_lshl_u32 v37, v37, v122, 3
	s_waitcnt lgkmcnt(0)
	v_pk_fma_f32 v[30:31], v[22:23], v[30:31], 0 op_sel_hi:[0,1,0]
	v_mov_b32_e32 v22, v23
	v_pk_fma_f32 v[22:23], v[22:23], v[28:29], v[30:31] op_sel_hi:[0,1,1]
	v_add_u32_e32 v30, 12, v20
	v_lshlrev_b32_e32 v28, 1, v30
	v_and_b32_e32 v29, 15, v30
	v_and_or_b32 v31, v28, s7, v29
	v_mad_u32_u24 v28, v31, s6, v123
	ds_read2st64_b32 v[28:29], v28 offset1:17
	global_store_dwordx2 v37, v[22:23], s[2:3]
	v_mad_u32_u24 v22, v31, s6, 0
	ds_read2st64_b32 v[22:23], v22 offset0:1 offset1:18
	v_lshlrev_b32_e32 v37, 7, v30
	s_waitcnt lgkmcnt(1)
	v_cvt_f32_f16_e32 v30, v28
	v_cvt_f32_f16_sdwa v31, v28 dst_sel:DWORD dst_unused:UNUSED_PAD src0_sel:WORD_1
	v_cvt_f32_f16_e32 v28, v29
	v_cvt_f32_f16_sdwa v29, v29 dst_sel:DWORD dst_unused:UNUSED_PAD src0_sel:WORD_1
	v_add_lshl_u32 v37, v37, v122, 3
	s_waitcnt lgkmcnt(0)
	v_pk_fma_f32 v[30:31], v[22:23], v[30:31], 0 op_sel_hi:[0,1,0]
	v_mov_b32_e32 v22, v23
	v_pk_fma_f32 v[22:23], v[22:23], v[28:29], v[30:31] op_sel_hi:[0,1,1]
	v_add_u32_e32 v30, 16, v20
	v_lshlrev_b32_e32 v28, 1, v30
	v_and_or_b32 v31, v28, s7, v36
	v_mad_u32_u24 v28, v31, s6, v123
	ds_read2st64_b32 v[28:29], v28 offset1:17
	global_store_dwordx2 v37, v[22:23], s[2:3]
	v_mad_u32_u24 v22, v31, s6, 0
	ds_read2st64_b32 v[22:23], v22 offset0:1 offset1:18
	v_lshlrev_b32_e32 v37, 7, v30
	s_waitcnt lgkmcnt(1)
	v_cvt_f32_f16_e32 v30, v28
	v_cvt_f32_f16_sdwa v31, v28 dst_sel:DWORD dst_unused:UNUSED_PAD src0_sel:WORD_1
	v_cvt_f32_f16_e32 v28, v29
	v_cvt_f32_f16_sdwa v29, v29 dst_sel:DWORD dst_unused:UNUSED_PAD src0_sel:WORD_1
	v_add_lshl_u32 v37, v37, v122, 3
	s_waitcnt lgkmcnt(0)
	v_pk_fma_f32 v[30:31], v[22:23], v[30:31], 0 op_sel_hi:[0,1,0]
	v_mov_b32_e32 v22, v23
	v_pk_fma_f32 v[22:23], v[22:23], v[28:29], v[30:31] op_sel_hi:[0,1,1]
	v_add_u32_e32 v30, 20, v20
	v_lshlrev_b32_e32 v28, 1, v30
	v_and_b32_e32 v29, 15, v30
	v_and_or_b32 v31, v28, s7, v29
	v_mad_u32_u24 v28, v31, s6, v123
	ds_read2st64_b32 v[28:29], v28 offset1:17
	global_store_dwordx2 v37, v[22:23], s[2:3]
	v_mad_u32_u24 v22, v31, s6, 0
	ds_read2st64_b32 v[22:23], v22 offset0:1 offset1:18
	v_lshlrev_b32_e32 v37, 7, v30
	s_waitcnt lgkmcnt(1)
	v_cvt_f32_f16_e32 v30, v28
	v_cvt_f32_f16_sdwa v31, v28 dst_sel:DWORD dst_unused:UNUSED_PAD src0_sel:WORD_1
	v_cvt_f32_f16_e32 v28, v29
	v_cvt_f32_f16_sdwa v29, v29 dst_sel:DWORD dst_unused:UNUSED_PAD src0_sel:WORD_1
	v_add_lshl_u32 v37, v37, v122, 3
	s_waitcnt lgkmcnt(0)
	v_pk_fma_f32 v[30:31], v[22:23], v[30:31], 0 op_sel_hi:[0,1,0]
	v_mov_b32_e32 v22, v23
	v_pk_fma_f32 v[22:23], v[22:23], v[28:29], v[30:31] op_sel_hi:[0,1,1]
	v_add_u32_e32 v30, 24, v20
	v_lshlrev_b32_e32 v28, 1, v30
	v_and_b32_e32 v29, 15, v30
	;; [unrolled: 20-line block ×3, first 2 shown]
	v_and_or_b32 v31, v28, s7, v29
	v_mad_u32_u24 v28, v31, s6, v123
	ds_read2st64_b32 v[28:29], v28 offset1:17
	global_store_dwordx2 v37, v[22:23], s[2:3]
	v_mad_u32_u24 v22, v31, s6, 0
	ds_read2st64_b32 v[22:23], v22 offset0:1 offset1:18
	v_lshlrev_b32_e32 v37, 7, v30
	s_waitcnt lgkmcnt(1)
	v_cvt_f32_f16_e32 v30, v28
	v_cvt_f32_f16_sdwa v31, v28 dst_sel:DWORD dst_unused:UNUSED_PAD src0_sel:WORD_1
	v_cvt_f32_f16_e32 v28, v29
	v_cvt_f32_f16_sdwa v29, v29 dst_sel:DWORD dst_unused:UNUSED_PAD src0_sel:WORD_1
	v_add_lshl_u32 v37, v37, v122, 3
	s_waitcnt lgkmcnt(0)
	v_pk_fma_f32 v[30:31], v[22:23], v[30:31], 0 op_sel_hi:[0,1,0]
	v_mov_b32_e32 v22, v23
	v_pk_fma_f32 v[22:23], v[22:23], v[28:29], v[30:31] op_sel_hi:[0,1,1]
	v_add_u32_e32 v30, 32, v20
	v_lshlrev_b32_e32 v28, 1, v30
	v_and_or_b32 v31, v28, s7, v36
	v_mad_u32_u24 v28, v31, s6, v123
	ds_read2st64_b32 v[28:29], v28 offset1:17
	global_store_dwordx2 v37, v[22:23], s[2:3]
	v_mad_u32_u24 v22, v31, s6, 0
	ds_read2st64_b32 v[22:23], v22 offset0:1 offset1:18
	v_lshlrev_b32_e32 v37, 7, v30
	s_waitcnt lgkmcnt(1)
	v_cvt_f32_f16_e32 v30, v28
	v_cvt_f32_f16_sdwa v31, v28 dst_sel:DWORD dst_unused:UNUSED_PAD src0_sel:WORD_1
	v_cvt_f32_f16_e32 v28, v29
	v_cvt_f32_f16_sdwa v29, v29 dst_sel:DWORD dst_unused:UNUSED_PAD src0_sel:WORD_1
	v_add_lshl_u32 v37, v37, v122, 3
	s_waitcnt lgkmcnt(0)
	v_pk_fma_f32 v[30:31], v[22:23], v[30:31], 0 op_sel_hi:[0,1,0]
	v_mov_b32_e32 v22, v23
	v_pk_fma_f32 v[22:23], v[22:23], v[28:29], v[30:31] op_sel_hi:[0,1,1]
	v_add_u32_e32 v30, 36, v20
	v_lshlrev_b32_e32 v28, 1, v30
	v_and_b32_e32 v29, 15, v30
	v_and_or_b32 v31, v28, s7, v29
	v_mad_u32_u24 v28, v31, s6, v123
	ds_read2st64_b32 v[28:29], v28 offset1:17
	global_store_dwordx2 v37, v[22:23], s[2:3]
	v_mad_u32_u24 v22, v31, s6, 0
	ds_read2st64_b32 v[22:23], v22 offset0:1 offset1:18
	v_lshlrev_b32_e32 v37, 7, v30
	s_waitcnt lgkmcnt(1)
	v_cvt_f32_f16_e32 v30, v28
	v_cvt_f32_f16_sdwa v31, v28 dst_sel:DWORD dst_unused:UNUSED_PAD src0_sel:WORD_1
	v_cvt_f32_f16_e32 v28, v29
	v_cvt_f32_f16_sdwa v29, v29 dst_sel:DWORD dst_unused:UNUSED_PAD src0_sel:WORD_1
	v_add_lshl_u32 v37, v37, v122, 3
	s_waitcnt lgkmcnt(0)
	v_pk_fma_f32 v[30:31], v[22:23], v[30:31], 0 op_sel_hi:[0,1,0]
	v_mov_b32_e32 v22, v23
	v_pk_fma_f32 v[22:23], v[22:23], v[28:29], v[30:31] op_sel_hi:[0,1,1]
	v_add_u32_e32 v30, 40, v20
	v_lshlrev_b32_e32 v28, 1, v30
	v_and_b32_e32 v29, 15, v30
	;; [unrolled: 20-line block ×3, first 2 shown]
	v_and_or_b32 v31, v28, s7, v29
	v_mad_u32_u24 v28, v31, s6, v123
	ds_read2st64_b32 v[28:29], v28 offset1:17
	global_store_dwordx2 v37, v[22:23], s[2:3]
	v_mad_u32_u24 v22, v31, s6, 0
	ds_read2st64_b32 v[22:23], v22 offset0:1 offset1:18
	v_lshlrev_b32_e32 v37, 7, v30
	s_waitcnt lgkmcnt(1)
	v_cvt_f32_f16_e32 v30, v28
	v_cvt_f32_f16_sdwa v31, v28 dst_sel:DWORD dst_unused:UNUSED_PAD src0_sel:WORD_1
	v_cvt_f32_f16_e32 v28, v29
	v_cvt_f32_f16_sdwa v29, v29 dst_sel:DWORD dst_unused:UNUSED_PAD src0_sel:WORD_1
	v_add_lshl_u32 v37, v37, v122, 3
	s_waitcnt lgkmcnt(0)
	v_pk_fma_f32 v[30:31], v[22:23], v[30:31], 0 op_sel_hi:[0,1,0]
	v_mov_b32_e32 v22, v23
	v_pk_fma_f32 v[22:23], v[22:23], v[28:29], v[30:31] op_sel_hi:[0,1,1]
	v_add_u32_e32 v30, 48, v20
	v_lshlrev_b32_e32 v28, 1, v30
	v_and_or_b32 v31, v28, s7, v36
	v_mad_u32_u24 v28, v31, s6, v123
	ds_read2st64_b32 v[28:29], v28 offset1:17
	global_store_dwordx2 v37, v[22:23], s[2:3]
	v_mad_u32_u24 v22, v31, s6, 0
	ds_read2st64_b32 v[22:23], v22 offset0:1 offset1:18
	v_lshlrev_b32_e32 v36, 7, v30
	s_waitcnt lgkmcnt(1)
	v_cvt_f32_f16_e32 v30, v28
	v_cvt_f32_f16_sdwa v31, v28 dst_sel:DWORD dst_unused:UNUSED_PAD src0_sel:WORD_1
	v_cvt_f32_f16_e32 v28, v29
	v_cvt_f32_f16_sdwa v29, v29 dst_sel:DWORD dst_unused:UNUSED_PAD src0_sel:WORD_1
	v_add_lshl_u32 v36, v36, v122, 3
	s_waitcnt lgkmcnt(0)
	v_pk_fma_f32 v[30:31], v[22:23], v[30:31], 0 op_sel_hi:[0,1,0]
	v_mov_b32_e32 v22, v23
	v_pk_fma_f32 v[22:23], v[22:23], v[28:29], v[30:31] op_sel_hi:[0,1,1]
	v_add_u32_e32 v30, 52, v20
	v_lshlrev_b32_e32 v28, 1, v30
	v_and_b32_e32 v29, 15, v30
	v_and_or_b32 v31, v28, s7, v29
	v_mad_u32_u24 v28, v31, s6, v123
	ds_read2st64_b32 v[28:29], v28 offset1:17
	global_store_dwordx2 v36, v[22:23], s[2:3]
	v_mad_u32_u24 v22, v31, s6, 0
	ds_read2st64_b32 v[22:23], v22 offset0:1 offset1:18
	v_lshlrev_b32_e32 v36, 7, v30
	s_waitcnt lgkmcnt(1)
	v_cvt_f32_f16_e32 v30, v28
	v_cvt_f32_f16_sdwa v31, v28 dst_sel:DWORD dst_unused:UNUSED_PAD src0_sel:WORD_1
	v_cvt_f32_f16_e32 v28, v29
	v_cvt_f32_f16_sdwa v29, v29 dst_sel:DWORD dst_unused:UNUSED_PAD src0_sel:WORD_1
	v_add_lshl_u32 v36, v36, v122, 3
	s_waitcnt lgkmcnt(0)
	v_pk_fma_f32 v[30:31], v[22:23], v[30:31], 0 op_sel_hi:[0,1,0]
	v_mov_b32_e32 v22, v23
	v_pk_fma_f32 v[22:23], v[22:23], v[28:29], v[30:31] op_sel_hi:[0,1,1]
	v_add_u32_e32 v30, 56, v20
	v_lshlrev_b32_e32 v28, 1, v30
	v_and_b32_e32 v29, 15, v30
	;; [unrolled: 20-line block ×3, first 2 shown]
	v_and_or_b32 v31, v28, s7, v29
	v_mad_u32_u24 v28, v31, s6, v123
	ds_read2st64_b32 v[28:29], v28 offset1:17
	global_store_dwordx2 v36, v[22:23], s[2:3]
	v_mad_u32_u24 v22, v31, s6, 0
	ds_read2st64_b32 v[22:23], v22 offset0:1 offset1:18
	v_lshlrev_b32_e32 v36, 7, v30
	s_waitcnt lgkmcnt(1)
	v_cvt_f32_f16_e32 v30, v28
	v_cvt_f32_f16_sdwa v31, v28 dst_sel:DWORD dst_unused:UNUSED_PAD src0_sel:WORD_1
	v_cvt_f32_f16_e32 v28, v29
	v_cvt_f32_f16_sdwa v29, v29 dst_sel:DWORD dst_unused:UNUSED_PAD src0_sel:WORD_1
	v_add_lshl_u32 v36, v36, v122, 3
	s_waitcnt lgkmcnt(0)
	v_pk_fma_f32 v[30:31], v[22:23], v[30:31], 0 op_sel_hi:[0,1,0]
	v_mov_b32_e32 v22, v23
	v_pk_fma_f32 v[22:23], v[22:23], v[28:29], v[30:31] op_sel_hi:[0,1,1]
	global_store_dwordx2 v36, v[22:23], s[2:3]
.LBB29_482:
	s_or_b64 exec, exec, s[0:1]
	v_cvt_pk_f16_f32 v2, v2, v3
	v_cvt_pk_f16_f32 v0, v0, v1
	v_cvt_pk_f16_f32 v1, v6, v7
	v_cvt_pk_f16_f32 v3, v4, v5
	v_cvt_pk_f16_f32 v4, v10, v11
	v_cvt_pk_f16_f32 v5, v8, v9
	v_cvt_pk_f16_f32 v6, v14, v15
	v_cvt_pk_f16_f32 v7, v12, v13
	v_cvt_pk_f16_f32 v8, v18, v19
	v_cvt_pk_f16_f32 v9, v16, v17
	v_cvt_pk_f16_f32 v10, v26, v27
	v_cvt_pk_f16_f32 v11, v24, v25
	v_cvt_pk_f16_f32 v12, v34, v35
	v_cvt_pk_f16_f32 v13, v32, v33
	v_cvt_pk_f16_f32 v14, v46, v47
	v_cvt_pk_f16_f32 v15, v44, v45
	s_barrier
	ds_write2_b32 v21, v0, v2 offset1:1
	ds_write2_b32 v21, v3, v1 offset0:8 offset1:9
	ds_write2_b32 v21, v5, v4 offset0:16 offset1:17
	;; [unrolled: 1-line block ×7, first 2 shown]
	s_waitcnt lgkmcnt(0)
	s_barrier
	s_and_saveexec_b64 s[0:1], vcc
	s_cbranch_execz .LBB29_484
; %bb.483:
	s_load_dword s2, s[14:15], 0x10
	v_bfe_u32 v6, v125, 1, 4
	s_movk_i32 s6, 0x3e0
	v_and_or_b32 v2, v125, s6, v6
	s_mov_b32 s3, 0
	s_waitcnt lgkmcnt(0)
	s_lshr_b32 s2, s2, 16
	s_cmp_lg_u32 s2, 0
	s_cselect_b64 s[6:7], -1, 0
	s_cmp_lg_u64 s[6:7], 0
	s_addc_u32 s2, s33, 0
	s_lshl_b32 s2, s2, 7
	s_lshl_b64 s[2:3], s[2:3], 3
	s_add_u32 s2, s5, s2
	s_movk_i32 s5, 0x110
	v_mad_u32_u24 v0, v2, s5, v123
	ds_read2st64_b32 v[0:1], v0 offset1:17
	v_mad_u32_u24 v2, v2, s5, 0
	ds_read2st64_b32 v[2:3], v2 offset0:1 offset1:18
	s_addc_u32 s3, s4, s3
	s_movk_i32 s4, 0x7e0
	s_waitcnt lgkmcnt(1)
	v_cvt_f32_f16_e32 v4, v0
	v_cvt_f32_f16_sdwa v5, v0 dst_sel:DWORD dst_unused:UNUSED_PAD src0_sel:WORD_1
	v_cvt_f32_f16_e32 v0, v1
	v_cvt_f32_f16_sdwa v1, v1 dst_sel:DWORD dst_unused:UNUSED_PAD src0_sel:WORD_1
	v_lshlrev_b32_e32 v7, 6, v125
	s_waitcnt lgkmcnt(0)
	v_pk_fma_f32 v[4:5], v[2:3], v[4:5], 0 op_sel_hi:[0,1,0]
	v_mov_b32_e32 v2, v3
	v_pk_fma_f32 v[0:1], v[2:3], v[0:1], v[4:5] op_sel_hi:[0,1,1]
	v_add_u32_e32 v4, 4, v20
	v_lshlrev_b32_e32 v2, 1, v4
	v_and_b32_e32 v3, 15, v4
	v_and_or_b32 v5, v2, s4, v3
	v_mad_u32_u24 v2, v5, s5, v123
	ds_read2st64_b32 v[2:3], v2 offset1:17
	v_add_lshl_u32 v7, v122, v7, 3
	global_store_dwordx2 v7, v[0:1], s[2:3] offset:512
	v_mad_u32_u24 v0, v5, s5, 0
	ds_read2st64_b32 v[0:1], v0 offset0:1 offset1:18
	v_lshlrev_b32_e32 v7, 7, v4
	s_waitcnt lgkmcnt(1)
	v_cvt_f32_f16_e32 v4, v2
	v_cvt_f32_f16_sdwa v5, v2 dst_sel:DWORD dst_unused:UNUSED_PAD src0_sel:WORD_1
	v_cvt_f32_f16_e32 v2, v3
	v_cvt_f32_f16_sdwa v3, v3 dst_sel:DWORD dst_unused:UNUSED_PAD src0_sel:WORD_1
	v_add_lshl_u32 v7, v122, v7, 3
	s_waitcnt lgkmcnt(0)
	v_pk_fma_f32 v[4:5], v[0:1], v[4:5], 0 op_sel_hi:[0,1,0]
	v_mov_b32_e32 v0, v1
	v_pk_fma_f32 v[0:1], v[0:1], v[2:3], v[4:5] op_sel_hi:[0,1,1]
	v_add_u32_e32 v4, 8, v20
	v_lshlrev_b32_e32 v2, 1, v4
	v_and_b32_e32 v3, 15, v4
	v_and_or_b32 v5, v2, s4, v3
	v_mad_u32_u24 v2, v5, s5, v123
	ds_read2st64_b32 v[2:3], v2 offset1:17
	global_store_dwordx2 v7, v[0:1], s[2:3] offset:512
	v_mad_u32_u24 v0, v5, s5, 0
	ds_read2st64_b32 v[0:1], v0 offset0:1 offset1:18
	v_lshlrev_b32_e32 v7, 7, v4
	s_waitcnt lgkmcnt(1)
	v_cvt_f32_f16_e32 v4, v2
	v_cvt_f32_f16_sdwa v5, v2 dst_sel:DWORD dst_unused:UNUSED_PAD src0_sel:WORD_1
	v_cvt_f32_f16_e32 v2, v3
	v_cvt_f32_f16_sdwa v3, v3 dst_sel:DWORD dst_unused:UNUSED_PAD src0_sel:WORD_1
	v_add_lshl_u32 v7, v122, v7, 3
	s_waitcnt lgkmcnt(0)
	v_pk_fma_f32 v[4:5], v[0:1], v[4:5], 0 op_sel_hi:[0,1,0]
	v_mov_b32_e32 v0, v1
	v_pk_fma_f32 v[0:1], v[0:1], v[2:3], v[4:5] op_sel_hi:[0,1,1]
	v_add_u32_e32 v4, 12, v20
	v_lshlrev_b32_e32 v2, 1, v4
	v_and_b32_e32 v3, 15, v4
	v_and_or_b32 v5, v2, s4, v3
	v_mad_u32_u24 v2, v5, s5, v123
	ds_read2st64_b32 v[2:3], v2 offset1:17
	global_store_dwordx2 v7, v[0:1], s[2:3] offset:512
	v_mad_u32_u24 v0, v5, s5, 0
	ds_read2st64_b32 v[0:1], v0 offset0:1 offset1:18
	v_lshlrev_b32_e32 v7, 7, v4
	s_waitcnt lgkmcnt(1)
	v_cvt_f32_f16_e32 v4, v2
	v_cvt_f32_f16_sdwa v5, v2 dst_sel:DWORD dst_unused:UNUSED_PAD src0_sel:WORD_1
	v_cvt_f32_f16_e32 v2, v3
	v_cvt_f32_f16_sdwa v3, v3 dst_sel:DWORD dst_unused:UNUSED_PAD src0_sel:WORD_1
	v_add_lshl_u32 v7, v122, v7, 3
	s_waitcnt lgkmcnt(0)
	v_pk_fma_f32 v[4:5], v[0:1], v[4:5], 0 op_sel_hi:[0,1,0]
	v_mov_b32_e32 v0, v1
	v_pk_fma_f32 v[0:1], v[0:1], v[2:3], v[4:5] op_sel_hi:[0,1,1]
	v_add_u32_e32 v4, 16, v20
	v_lshlrev_b32_e32 v2, 1, v4
	v_and_or_b32 v5, v2, s4, v6
	v_mad_u32_u24 v2, v5, s5, v123
	ds_read2st64_b32 v[2:3], v2 offset1:17
	global_store_dwordx2 v7, v[0:1], s[2:3] offset:512
	v_mad_u32_u24 v0, v5, s5, 0
	ds_read2st64_b32 v[0:1], v0 offset0:1 offset1:18
	v_lshlrev_b32_e32 v7, 7, v4
	s_waitcnt lgkmcnt(1)
	v_cvt_f32_f16_e32 v4, v2
	v_cvt_f32_f16_sdwa v5, v2 dst_sel:DWORD dst_unused:UNUSED_PAD src0_sel:WORD_1
	v_cvt_f32_f16_e32 v2, v3
	v_cvt_f32_f16_sdwa v3, v3 dst_sel:DWORD dst_unused:UNUSED_PAD src0_sel:WORD_1
	v_add_lshl_u32 v7, v122, v7, 3
	s_waitcnt lgkmcnt(0)
	v_pk_fma_f32 v[4:5], v[0:1], v[4:5], 0 op_sel_hi:[0,1,0]
	v_mov_b32_e32 v0, v1
	v_pk_fma_f32 v[0:1], v[0:1], v[2:3], v[4:5] op_sel_hi:[0,1,1]
	v_add_u32_e32 v4, 20, v20
	v_lshlrev_b32_e32 v2, 1, v4
	v_and_b32_e32 v3, 15, v4
	v_and_or_b32 v5, v2, s4, v3
	v_mad_u32_u24 v2, v5, s5, v123
	ds_read2st64_b32 v[2:3], v2 offset1:17
	global_store_dwordx2 v7, v[0:1], s[2:3] offset:512
	v_mad_u32_u24 v0, v5, s5, 0
	ds_read2st64_b32 v[0:1], v0 offset0:1 offset1:18
	v_lshlrev_b32_e32 v7, 7, v4
	s_waitcnt lgkmcnt(1)
	v_cvt_f32_f16_e32 v4, v2
	v_cvt_f32_f16_sdwa v5, v2 dst_sel:DWORD dst_unused:UNUSED_PAD src0_sel:WORD_1
	v_cvt_f32_f16_e32 v2, v3
	v_cvt_f32_f16_sdwa v3, v3 dst_sel:DWORD dst_unused:UNUSED_PAD src0_sel:WORD_1
	v_add_lshl_u32 v7, v122, v7, 3
	s_waitcnt lgkmcnt(0)
	v_pk_fma_f32 v[4:5], v[0:1], v[4:5], 0 op_sel_hi:[0,1,0]
	v_mov_b32_e32 v0, v1
	v_pk_fma_f32 v[0:1], v[0:1], v[2:3], v[4:5] op_sel_hi:[0,1,1]
	v_add_u32_e32 v4, 24, v20
	v_lshlrev_b32_e32 v2, 1, v4
	v_and_b32_e32 v3, 15, v4
	v_and_or_b32 v5, v2, s4, v3
	v_mad_u32_u24 v2, v5, s5, v123
	ds_read2st64_b32 v[2:3], v2 offset1:17
	global_store_dwordx2 v7, v[0:1], s[2:3] offset:512
	v_mad_u32_u24 v0, v5, s5, 0
	ds_read2st64_b32 v[0:1], v0 offset0:1 offset1:18
	v_lshlrev_b32_e32 v7, 7, v4
	s_waitcnt lgkmcnt(1)
	v_cvt_f32_f16_e32 v4, v2
	v_cvt_f32_f16_sdwa v5, v2 dst_sel:DWORD dst_unused:UNUSED_PAD src0_sel:WORD_1
	v_cvt_f32_f16_e32 v2, v3
	v_cvt_f32_f16_sdwa v3, v3 dst_sel:DWORD dst_unused:UNUSED_PAD src0_sel:WORD_1
	v_add_lshl_u32 v7, v122, v7, 3
	s_waitcnt lgkmcnt(0)
	v_pk_fma_f32 v[4:5], v[0:1], v[4:5], 0 op_sel_hi:[0,1,0]
	v_mov_b32_e32 v0, v1
	v_pk_fma_f32 v[0:1], v[0:1], v[2:3], v[4:5] op_sel_hi:[0,1,1]
	v_add_u32_e32 v4, 28, v20
	v_lshlrev_b32_e32 v2, 1, v4
	v_and_b32_e32 v3, 15, v4
	v_and_or_b32 v5, v2, s4, v3
	v_mad_u32_u24 v2, v5, s5, v123
	ds_read2st64_b32 v[2:3], v2 offset1:17
	global_store_dwordx2 v7, v[0:1], s[2:3] offset:512
	v_mad_u32_u24 v0, v5, s5, 0
	ds_read2st64_b32 v[0:1], v0 offset0:1 offset1:18
	v_lshlrev_b32_e32 v7, 7, v4
	s_waitcnt lgkmcnt(1)
	v_cvt_f32_f16_e32 v4, v2
	v_cvt_f32_f16_sdwa v5, v2 dst_sel:DWORD dst_unused:UNUSED_PAD src0_sel:WORD_1
	v_cvt_f32_f16_e32 v2, v3
	v_cvt_f32_f16_sdwa v3, v3 dst_sel:DWORD dst_unused:UNUSED_PAD src0_sel:WORD_1
	v_add_lshl_u32 v7, v122, v7, 3
	s_waitcnt lgkmcnt(0)
	v_pk_fma_f32 v[4:5], v[0:1], v[4:5], 0 op_sel_hi:[0,1,0]
	v_mov_b32_e32 v0, v1
	v_pk_fma_f32 v[0:1], v[0:1], v[2:3], v[4:5] op_sel_hi:[0,1,1]
	v_add_u32_e32 v4, 32, v20
	v_lshlrev_b32_e32 v2, 1, v4
	v_and_or_b32 v5, v2, s4, v6
	v_mad_u32_u24 v2, v5, s5, v123
	ds_read2st64_b32 v[2:3], v2 offset1:17
	global_store_dwordx2 v7, v[0:1], s[2:3] offset:512
	v_mad_u32_u24 v0, v5, s5, 0
	ds_read2st64_b32 v[0:1], v0 offset0:1 offset1:18
	v_lshlrev_b32_e32 v7, 7, v4
	s_waitcnt lgkmcnt(1)
	v_cvt_f32_f16_e32 v4, v2
	v_cvt_f32_f16_sdwa v5, v2 dst_sel:DWORD dst_unused:UNUSED_PAD src0_sel:WORD_1
	v_cvt_f32_f16_e32 v2, v3
	v_cvt_f32_f16_sdwa v3, v3 dst_sel:DWORD dst_unused:UNUSED_PAD src0_sel:WORD_1
	v_add_lshl_u32 v7, v122, v7, 3
	s_waitcnt lgkmcnt(0)
	v_pk_fma_f32 v[4:5], v[0:1], v[4:5], 0 op_sel_hi:[0,1,0]
	v_mov_b32_e32 v0, v1
	v_pk_fma_f32 v[0:1], v[0:1], v[2:3], v[4:5] op_sel_hi:[0,1,1]
	v_add_u32_e32 v4, 36, v20
	v_lshlrev_b32_e32 v2, 1, v4
	v_and_b32_e32 v3, 15, v4
	v_and_or_b32 v5, v2, s4, v3
	v_mad_u32_u24 v2, v5, s5, v123
	ds_read2st64_b32 v[2:3], v2 offset1:17
	global_store_dwordx2 v7, v[0:1], s[2:3] offset:512
	v_mad_u32_u24 v0, v5, s5, 0
	ds_read2st64_b32 v[0:1], v0 offset0:1 offset1:18
	v_lshlrev_b32_e32 v7, 7, v4
	s_waitcnt lgkmcnt(1)
	v_cvt_f32_f16_e32 v4, v2
	v_cvt_f32_f16_sdwa v5, v2 dst_sel:DWORD dst_unused:UNUSED_PAD src0_sel:WORD_1
	v_cvt_f32_f16_e32 v2, v3
	v_cvt_f32_f16_sdwa v3, v3 dst_sel:DWORD dst_unused:UNUSED_PAD src0_sel:WORD_1
	v_add_lshl_u32 v7, v122, v7, 3
	s_waitcnt lgkmcnt(0)
	v_pk_fma_f32 v[4:5], v[0:1], v[4:5], 0 op_sel_hi:[0,1,0]
	v_mov_b32_e32 v0, v1
	v_pk_fma_f32 v[0:1], v[0:1], v[2:3], v[4:5] op_sel_hi:[0,1,1]
	v_add_u32_e32 v4, 40, v20
	v_lshlrev_b32_e32 v2, 1, v4
	v_and_b32_e32 v3, 15, v4
	v_and_or_b32 v5, v2, s4, v3
	v_mad_u32_u24 v2, v5, s5, v123
	ds_read2st64_b32 v[2:3], v2 offset1:17
	global_store_dwordx2 v7, v[0:1], s[2:3] offset:512
	v_mad_u32_u24 v0, v5, s5, 0
	ds_read2st64_b32 v[0:1], v0 offset0:1 offset1:18
	v_lshlrev_b32_e32 v7, 7, v4
	s_waitcnt lgkmcnt(1)
	v_cvt_f32_f16_e32 v4, v2
	v_cvt_f32_f16_sdwa v5, v2 dst_sel:DWORD dst_unused:UNUSED_PAD src0_sel:WORD_1
	v_cvt_f32_f16_e32 v2, v3
	v_cvt_f32_f16_sdwa v3, v3 dst_sel:DWORD dst_unused:UNUSED_PAD src0_sel:WORD_1
	v_add_lshl_u32 v7, v122, v7, 3
	s_waitcnt lgkmcnt(0)
	v_pk_fma_f32 v[4:5], v[0:1], v[4:5], 0 op_sel_hi:[0,1,0]
	v_mov_b32_e32 v0, v1
	v_pk_fma_f32 v[0:1], v[0:1], v[2:3], v[4:5] op_sel_hi:[0,1,1]
	v_add_u32_e32 v4, 44, v20
	v_lshlrev_b32_e32 v2, 1, v4
	v_and_b32_e32 v3, 15, v4
	v_and_or_b32 v5, v2, s4, v3
	v_mad_u32_u24 v2, v5, s5, v123
	ds_read2st64_b32 v[2:3], v2 offset1:17
	global_store_dwordx2 v7, v[0:1], s[2:3] offset:512
	v_mad_u32_u24 v0, v5, s5, 0
	ds_read2st64_b32 v[0:1], v0 offset0:1 offset1:18
	v_lshlrev_b32_e32 v7, 7, v4
	s_waitcnt lgkmcnt(1)
	v_cvt_f32_f16_e32 v4, v2
	v_cvt_f32_f16_sdwa v5, v2 dst_sel:DWORD dst_unused:UNUSED_PAD src0_sel:WORD_1
	v_cvt_f32_f16_e32 v2, v3
	v_cvt_f32_f16_sdwa v3, v3 dst_sel:DWORD dst_unused:UNUSED_PAD src0_sel:WORD_1
	v_add_lshl_u32 v7, v122, v7, 3
	s_waitcnt lgkmcnt(0)
	v_pk_fma_f32 v[4:5], v[0:1], v[4:5], 0 op_sel_hi:[0,1,0]
	v_mov_b32_e32 v0, v1
	v_pk_fma_f32 v[0:1], v[0:1], v[2:3], v[4:5] op_sel_hi:[0,1,1]
	v_add_u32_e32 v4, 48, v20
	v_lshlrev_b32_e32 v2, 1, v4
	v_and_or_b32 v5, v2, s4, v6
	v_mad_u32_u24 v2, v5, s5, v123
	ds_read2st64_b32 v[2:3], v2 offset1:17
	global_store_dwordx2 v7, v[0:1], s[2:3] offset:512
	v_mad_u32_u24 v0, v5, s5, 0
	ds_read2st64_b32 v[0:1], v0 offset0:1 offset1:18
	v_lshlrev_b32_e32 v6, 7, v4
	s_waitcnt lgkmcnt(1)
	v_cvt_f32_f16_e32 v4, v2
	v_cvt_f32_f16_sdwa v5, v2 dst_sel:DWORD dst_unused:UNUSED_PAD src0_sel:WORD_1
	v_cvt_f32_f16_e32 v2, v3
	v_cvt_f32_f16_sdwa v3, v3 dst_sel:DWORD dst_unused:UNUSED_PAD src0_sel:WORD_1
	v_add_lshl_u32 v6, v122, v6, 3
	s_waitcnt lgkmcnt(0)
	v_pk_fma_f32 v[4:5], v[0:1], v[4:5], 0 op_sel_hi:[0,1,0]
	v_mov_b32_e32 v0, v1
	v_pk_fma_f32 v[0:1], v[0:1], v[2:3], v[4:5] op_sel_hi:[0,1,1]
	v_add_u32_e32 v4, 52, v20
	v_lshlrev_b32_e32 v2, 1, v4
	v_and_b32_e32 v3, 15, v4
	v_and_or_b32 v5, v2, s4, v3
	v_mad_u32_u24 v2, v5, s5, v123
	ds_read2st64_b32 v[2:3], v2 offset1:17
	global_store_dwordx2 v6, v[0:1], s[2:3] offset:512
	v_mad_u32_u24 v0, v5, s5, 0
	ds_read2st64_b32 v[0:1], v0 offset0:1 offset1:18
	v_lshlrev_b32_e32 v6, 7, v4
	s_waitcnt lgkmcnt(1)
	v_cvt_f32_f16_e32 v4, v2
	v_cvt_f32_f16_sdwa v5, v2 dst_sel:DWORD dst_unused:UNUSED_PAD src0_sel:WORD_1
	v_cvt_f32_f16_e32 v2, v3
	v_cvt_f32_f16_sdwa v3, v3 dst_sel:DWORD dst_unused:UNUSED_PAD src0_sel:WORD_1
	v_add_lshl_u32 v6, v122, v6, 3
	s_waitcnt lgkmcnt(0)
	v_pk_fma_f32 v[4:5], v[0:1], v[4:5], 0 op_sel_hi:[0,1,0]
	v_mov_b32_e32 v0, v1
	v_pk_fma_f32 v[0:1], v[0:1], v[2:3], v[4:5] op_sel_hi:[0,1,1]
	v_add_u32_e32 v4, 56, v20
	v_lshlrev_b32_e32 v2, 1, v4
	v_and_b32_e32 v3, 15, v4
	;; [unrolled: 20-line block ×3, first 2 shown]
	v_and_or_b32 v5, v2, s4, v3
	v_mad_u32_u24 v2, v5, s5, v123
	ds_read2st64_b32 v[2:3], v2 offset1:17
	global_store_dwordx2 v6, v[0:1], s[2:3] offset:512
	v_mad_u32_u24 v0, v5, s5, 0
	ds_read2st64_b32 v[0:1], v0 offset0:1 offset1:18
	v_lshlrev_b32_e32 v6, 7, v4
	s_waitcnt lgkmcnt(1)
	v_cvt_f32_f16_e32 v4, v2
	v_cvt_f32_f16_sdwa v5, v2 dst_sel:DWORD dst_unused:UNUSED_PAD src0_sel:WORD_1
	v_cvt_f32_f16_e32 v2, v3
	v_cvt_f32_f16_sdwa v3, v3 dst_sel:DWORD dst_unused:UNUSED_PAD src0_sel:WORD_1
	v_add_lshl_u32 v6, v122, v6, 3
	s_waitcnt lgkmcnt(0)
	v_pk_fma_f32 v[4:5], v[0:1], v[4:5], 0 op_sel_hi:[0,1,0]
	v_mov_b32_e32 v0, v1
	v_pk_fma_f32 v[0:1], v[0:1], v[2:3], v[4:5] op_sel_hi:[0,1,1]
	global_store_dwordx2 v6, v[0:1], s[2:3] offset:512
.LBB29_484:
	s_or_b64 exec, exec, s[0:1]
	s_barrier
.LBB29_485:
	s_endpgm
	.section	.rodata,"a",@progbits
	.p2align	6, 0x0
	.amdhsa_kernel _ZL18flash_attn_ext_f16ILi256ELi256ELi16ELi4ELb0ELb0EEvPKcS1_S1_S1_S1_PKiPfP15HIP_vector_typeIfLj2EEffffjfiS5_IjLj3EEiiiiiiiiiiiliiliiiiil
		.amdhsa_group_segment_fixed_size 0
		.amdhsa_private_segment_fixed_size 100
		.amdhsa_kernarg_size 464
		.amdhsa_user_sgpr_count 2
		.amdhsa_user_sgpr_dispatch_ptr 0
		.amdhsa_user_sgpr_queue_ptr 0
		.amdhsa_user_sgpr_kernarg_segment_ptr 1
		.amdhsa_user_sgpr_dispatch_id 0
		.amdhsa_user_sgpr_kernarg_preload_length 0
		.amdhsa_user_sgpr_kernarg_preload_offset 0
		.amdhsa_user_sgpr_private_segment_size 0
		.amdhsa_uses_dynamic_stack 0
		.amdhsa_enable_private_segment 1
		.amdhsa_system_sgpr_workgroup_id_x 1
		.amdhsa_system_sgpr_workgroup_id_y 0
		.amdhsa_system_sgpr_workgroup_id_z 0
		.amdhsa_system_sgpr_workgroup_info 0
		.amdhsa_system_vgpr_workitem_id 1
		.amdhsa_next_free_vgpr 256
		.amdhsa_next_free_sgpr 99
		.amdhsa_accum_offset 256
		.amdhsa_reserve_vcc 1
		.amdhsa_float_round_mode_32 0
		.amdhsa_float_round_mode_16_64 0
		.amdhsa_float_denorm_mode_32 3
		.amdhsa_float_denorm_mode_16_64 3
		.amdhsa_dx10_clamp 1
		.amdhsa_ieee_mode 1
		.amdhsa_fp16_overflow 0
		.amdhsa_tg_split 0
		.amdhsa_exception_fp_ieee_invalid_op 0
		.amdhsa_exception_fp_denorm_src 0
		.amdhsa_exception_fp_ieee_div_zero 0
		.amdhsa_exception_fp_ieee_overflow 0
		.amdhsa_exception_fp_ieee_underflow 0
		.amdhsa_exception_fp_ieee_inexact 0
		.amdhsa_exception_int_div_zero 0
	.end_amdhsa_kernel
	.section	.text._ZL18flash_attn_ext_f16ILi256ELi256ELi16ELi4ELb0ELb0EEvPKcS1_S1_S1_S1_PKiPfP15HIP_vector_typeIfLj2EEffffjfiS5_IjLj3EEiiiiiiiiiiiliiliiiiil,"axG",@progbits,_ZL18flash_attn_ext_f16ILi256ELi256ELi16ELi4ELb0ELb0EEvPKcS1_S1_S1_S1_PKiPfP15HIP_vector_typeIfLj2EEffffjfiS5_IjLj3EEiiiiiiiiiiiliiliiiiil,comdat
.Lfunc_end29:
	.size	_ZL18flash_attn_ext_f16ILi256ELi256ELi16ELi4ELb0ELb0EEvPKcS1_S1_S1_S1_PKiPfP15HIP_vector_typeIfLj2EEffffjfiS5_IjLj3EEiiiiiiiiiiiliiliiiiil, .Lfunc_end29-_ZL18flash_attn_ext_f16ILi256ELi256ELi16ELi4ELb0ELb0EEvPKcS1_S1_S1_S1_PKiPfP15HIP_vector_typeIfLj2EEffffjfiS5_IjLj3EEiiiiiiiiiiiliiliiiiil
                                        ; -- End function
	.set _ZL18flash_attn_ext_f16ILi256ELi256ELi16ELi4ELb0ELb0EEvPKcS1_S1_S1_S1_PKiPfP15HIP_vector_typeIfLj2EEffffjfiS5_IjLj3EEiiiiiiiiiiiliiliiiiil.num_vgpr, 256
	.set _ZL18flash_attn_ext_f16ILi256ELi256ELi16ELi4ELb0ELb0EEvPKcS1_S1_S1_S1_PKiPfP15HIP_vector_typeIfLj2EEffffjfiS5_IjLj3EEiiiiiiiiiiiliiliiiiil.num_agpr, 0
	.set _ZL18flash_attn_ext_f16ILi256ELi256ELi16ELi4ELb0ELb0EEvPKcS1_S1_S1_S1_PKiPfP15HIP_vector_typeIfLj2EEffffjfiS5_IjLj3EEiiiiiiiiiiiliiliiiiil.numbered_sgpr, 99
	.set _ZL18flash_attn_ext_f16ILi256ELi256ELi16ELi4ELb0ELb0EEvPKcS1_S1_S1_S1_PKiPfP15HIP_vector_typeIfLj2EEffffjfiS5_IjLj3EEiiiiiiiiiiiliiliiiiil.num_named_barrier, 0
	.set _ZL18flash_attn_ext_f16ILi256ELi256ELi16ELi4ELb0ELb0EEvPKcS1_S1_S1_S1_PKiPfP15HIP_vector_typeIfLj2EEffffjfiS5_IjLj3EEiiiiiiiiiiiliiliiiiil.private_seg_size, 100
	.set _ZL18flash_attn_ext_f16ILi256ELi256ELi16ELi4ELb0ELb0EEvPKcS1_S1_S1_S1_PKiPfP15HIP_vector_typeIfLj2EEffffjfiS5_IjLj3EEiiiiiiiiiiiliiliiiiil.uses_vcc, 1
	.set _ZL18flash_attn_ext_f16ILi256ELi256ELi16ELi4ELb0ELb0EEvPKcS1_S1_S1_S1_PKiPfP15HIP_vector_typeIfLj2EEffffjfiS5_IjLj3EEiiiiiiiiiiiliiliiiiil.uses_flat_scratch, 0
	.set _ZL18flash_attn_ext_f16ILi256ELi256ELi16ELi4ELb0ELb0EEvPKcS1_S1_S1_S1_PKiPfP15HIP_vector_typeIfLj2EEffffjfiS5_IjLj3EEiiiiiiiiiiiliiliiiiil.has_dyn_sized_stack, 0
	.set _ZL18flash_attn_ext_f16ILi256ELi256ELi16ELi4ELb0ELb0EEvPKcS1_S1_S1_S1_PKiPfP15HIP_vector_typeIfLj2EEffffjfiS5_IjLj3EEiiiiiiiiiiiliiliiiiil.has_recursion, 0
	.set _ZL18flash_attn_ext_f16ILi256ELi256ELi16ELi4ELb0ELb0EEvPKcS1_S1_S1_S1_PKiPfP15HIP_vector_typeIfLj2EEffffjfiS5_IjLj3EEiiiiiiiiiiiliiliiiiil.has_indirect_call, 0
	.section	.AMDGPU.csdata,"",@progbits
; Kernel info:
; codeLenInByte = 69660
; TotalNumSgprs: 105
; NumVgprs: 256
; NumAgprs: 0
; TotalNumVgprs: 256
; ScratchSize: 100
; MemoryBound: 0
; FloatMode: 240
; IeeeMode: 1
; LDSByteSize: 0 bytes/workgroup (compile time only)
; SGPRBlocks: 13
; VGPRBlocks: 31
; NumSGPRsForWavesPerEU: 105
; NumVGPRsForWavesPerEU: 256
; AccumOffset: 256
; Occupancy: 2
; WaveLimiterHint : 1
; COMPUTE_PGM_RSRC2:SCRATCH_EN: 1
; COMPUTE_PGM_RSRC2:USER_SGPR: 2
; COMPUTE_PGM_RSRC2:TRAP_HANDLER: 0
; COMPUTE_PGM_RSRC2:TGID_X_EN: 1
; COMPUTE_PGM_RSRC2:TGID_Y_EN: 0
; COMPUTE_PGM_RSRC2:TGID_Z_EN: 0
; COMPUTE_PGM_RSRC2:TIDIG_COMP_CNT: 1
; COMPUTE_PGM_RSRC3_GFX90A:ACCUM_OFFSET: 63
; COMPUTE_PGM_RSRC3_GFX90A:TG_SPLIT: 0
	.section	.text._ZL18flash_attn_ext_f16ILi256ELi256ELi16ELi4ELb1ELb0EEvPKcS1_S1_S1_S1_PKiPfP15HIP_vector_typeIfLj2EEffffjfiS5_IjLj3EEiiiiiiiiiiiliiliiiiil,"axG",@progbits,_ZL18flash_attn_ext_f16ILi256ELi256ELi16ELi4ELb1ELb0EEvPKcS1_S1_S1_S1_PKiPfP15HIP_vector_typeIfLj2EEffffjfiS5_IjLj3EEiiiiiiiiiiiliiliiiiil,comdat
	.globl	_ZL18flash_attn_ext_f16ILi256ELi256ELi16ELi4ELb1ELb0EEvPKcS1_S1_S1_S1_PKiPfP15HIP_vector_typeIfLj2EEffffjfiS5_IjLj3EEiiiiiiiiiiiliiliiiiil ; -- Begin function _ZL18flash_attn_ext_f16ILi256ELi256ELi16ELi4ELb1ELb0EEvPKcS1_S1_S1_S1_PKiPfP15HIP_vector_typeIfLj2EEffffjfiS5_IjLj3EEiiiiiiiiiiiliiliiiiil
	.p2align	8
	.type	_ZL18flash_attn_ext_f16ILi256ELi256ELi16ELi4ELb1ELb0EEvPKcS1_S1_S1_S1_PKiPfP15HIP_vector_typeIfLj2EEffffjfiS5_IjLj3EEiiiiiiiiiiiliiliiiiil,@function
_ZL18flash_attn_ext_f16ILi256ELi256ELi16ELi4ELb1ELb0EEvPKcS1_S1_S1_S1_PKiPfP15HIP_vector_typeIfLj2EEffffjfiS5_IjLj3EEiiiiiiiiiiiliiliiiiil: ; @_ZL18flash_attn_ext_f16ILi256ELi256ELi16ELi4ELb1ELb0EEvPKcS1_S1_S1_S1_PKiPfP15HIP_vector_typeIfLj2EEffffjfiS5_IjLj3EEiiiiiiiiiiiliiliiiiil
; %bb.0:
	s_load_dwordx2 s[4:5], s[0:1], 0x80
	s_load_dwordx4 s[36:39], s[0:1], 0x64
	s_load_dword s33, s[0:1], 0xd0
	s_mov_b32 s6, 0
	s_waitcnt lgkmcnt(0)
	s_abs_i32 s3, s5
	v_cvt_f32_u32_e32 v1, s3
	s_sub_i32 s9, 0, s3
	s_abs_i32 s8, s37
	s_xor_b32 s7, s37, s5
	v_rcp_iflag_f32_e32 v1, v1
	s_ashr_i32 s7, s7, 31
	v_mul_f32_e32 v1, 0x4f7ffffe, v1
	v_cvt_u32_f32_e32 v1, v1
	s_nop 0
	v_readfirstlane_b32 s10, v1
	s_mul_i32 s9, s9, s10
	s_mul_hi_u32 s9, s10, s9
	s_add_i32 s10, s10, s9
	s_mul_hi_u32 s9, s8, s10
	s_mul_i32 s10, s9, s3
	s_sub_i32 s8, s8, s10
	s_add_i32 s11, s9, 1
	s_sub_i32 s10, s8, s3
	s_cmp_ge_u32 s8, s3
	s_cselect_b32 s9, s11, s9
	s_cselect_b32 s8, s10, s8
	s_add_i32 s10, s9, 1
	s_cmp_ge_u32 s8, s3
	s_cselect_b32 s3, s10, s9
	s_add_i32 s4, s4, 63
	s_xor_b32 s3, s3, s7
	s_ashr_i32 s8, s4, 31
	s_sub_i32 s78, s3, s7
	s_lshr_b32 s3, s8, 26
	s_add_i32 s4, s4, s3
	s_add_i32 s3, s36, 15
	s_lshr_b32 s79, s3, 4
	s_add_i32 s3, s78, 3
	s_ashr_i32 s83, s4, 6
	s_ashr_i32 s4, s3, 31
	s_lshr_b32 s4, s4, 30
	s_add_i32 s3, s3, s4
	s_ashr_i32 s3, s3, 2
	s_mul_i32 s80, s79, s83
	s_mul_i32 s81, s80, s3
	;; [unrolled: 1-line block ×4, first 2 shown]
	s_ashr_i32 s10, s3, 31
	s_mul_i32 s4, s10, s2
	s_mul_hi_u32 s5, s3, s2
	s_add_i32 s7, s5, s4
	s_add_u32 s14, s0, 0xd0
	s_addc_u32 s15, s1, 0
	s_cmp_lg_u64 s[6:7], 0
	s_mul_i32 s6, s3, s2
	s_cbranch_scc0 .LBB30_593
; %bb.1:
	s_add_u32 s4, s33, 0
	s_addc_u32 s5, 0, 0
	s_xor_b64 s[8:9], s[4:5], 0
	v_cvt_f32_u32_e32 v1, s8
	v_cvt_f32_u32_e32 v2, s9
	s_sub_u32 s11, 0, s8
	s_subb_u32 s16, 0, s9
	v_fmamk_f32 v1, v2, 0x4f800000, v1
	v_rcp_f32_e32 v1, v1
	s_nop 0
	v_mul_f32_e32 v1, 0x5f7ffffc, v1
	v_mul_f32_e32 v2, 0x2f800000, v1
	v_trunc_f32_e32 v2, v2
	v_fmamk_f32 v1, v2, 0xcf800000, v1
	v_cvt_u32_f32_e32 v2, v2
	v_cvt_u32_f32_e32 v1, v1
	v_readfirstlane_b32 s17, v2
	v_readfirstlane_b32 s12, v1
	s_mul_i32 s13, s11, s17
	s_mul_hi_u32 s19, s11, s12
	s_mul_i32 s18, s16, s12
	s_add_i32 s13, s19, s13
	s_add_i32 s13, s13, s18
	s_mul_i32 s20, s11, s12
	s_mul_i32 s19, s12, s13
	s_mul_hi_u32 s21, s12, s20
	s_mul_hi_u32 s18, s12, s13
	s_add_u32 s19, s21, s19
	s_addc_u32 s18, 0, s18
	s_mul_hi_u32 s22, s17, s20
	s_mul_i32 s20, s17, s20
	s_add_u32 s19, s19, s20
	s_mul_hi_u32 s21, s17, s13
	s_addc_u32 s18, s18, s22
	s_addc_u32 s19, s21, 0
	s_mul_i32 s13, s17, s13
	s_add_u32 s13, s18, s13
	s_addc_u32 s18, 0, s19
	s_add_u32 s19, s12, s13
	s_cselect_b64 s[12:13], -1, 0
	s_cmp_lg_u64 s[12:13], 0
	s_addc_u32 s17, s17, s18
	s_mul_i32 s12, s11, s17
	s_mul_hi_u32 s13, s11, s19
	s_add_i32 s12, s13, s12
	s_mul_i32 s16, s16, s19
	s_add_i32 s12, s12, s16
	s_mul_i32 s11, s11, s19
	s_mul_hi_u32 s16, s17, s11
	s_mul_i32 s18, s17, s11
	s_mul_i32 s21, s19, s12
	s_mul_hi_u32 s11, s19, s11
	s_mul_hi_u32 s20, s19, s12
	s_add_u32 s11, s11, s21
	s_addc_u32 s20, 0, s20
	s_add_u32 s11, s11, s18
	s_mul_hi_u32 s13, s17, s12
	s_addc_u32 s11, s20, s16
	s_addc_u32 s13, s13, 0
	s_mul_i32 s12, s17, s12
	s_add_u32 s11, s11, s12
	s_addc_u32 s16, 0, s13
	s_add_u32 s11, s19, s11
	s_cselect_b64 s[12:13], -1, 0
	s_cmp_lg_u64 s[12:13], 0
	s_addc_u32 s18, s17, s16
	s_ashr_i32 s12, s7, 31
	s_add_u32 s16, s6, s12
	s_mov_b32 s13, s12
	s_addc_u32 s17, s7, s12
	s_xor_b64 s[16:17], s[16:17], s[12:13]
	s_mul_i32 s19, s16, s18
	s_mul_hi_u32 s20, s16, s11
	s_mul_hi_u32 s7, s16, s18
	s_add_u32 s19, s20, s19
	s_addc_u32 s7, 0, s7
	s_mul_hi_u32 s21, s17, s11
	s_mul_i32 s11, s17, s11
	s_add_u32 s11, s19, s11
	s_mul_hi_u32 s20, s17, s18
	s_addc_u32 s7, s7, s21
	s_addc_u32 s11, s20, 0
	s_mul_i32 s18, s17, s18
	s_add_u32 s7, s7, s18
	s_addc_u32 s11, 0, s11
	s_mul_i32 s18, s8, s11
	s_mul_hi_u32 s19, s8, s7
	s_add_i32 s18, s19, s18
	s_mul_i32 s19, s9, s7
	s_add_i32 s22, s18, s19
	s_sub_i32 s20, s17, s22
	s_mul_i32 s18, s8, s7
	s_sub_u32 s16, s16, s18
	s_cselect_b64 s[18:19], -1, 0
	s_cmp_lg_u64 s[18:19], 0
	s_subb_u32 s23, s20, s9
	s_sub_u32 s24, s16, s8
	s_cselect_b64 s[20:21], -1, 0
	s_cmp_lg_u64 s[20:21], 0
	s_subb_u32 s20, s23, 0
	s_cmp_ge_u32 s20, s9
	s_cselect_b32 s21, -1, 0
	s_cmp_ge_u32 s24, s8
	s_cselect_b32 s23, -1, 0
	s_cmp_eq_u32 s20, s9
	s_cselect_b32 s20, s23, s21
	s_add_u32 s21, s7, 1
	s_addc_u32 s23, s11, 0
	s_add_u32 s24, s7, 2
	s_addc_u32 s25, s11, 0
	s_cmp_lg_u32 s20, 0
	s_cselect_b32 s20, s24, s21
	s_cselect_b32 s21, s25, s23
	s_cmp_lg_u64 s[18:19], 0
	s_subb_u32 s17, s17, s22
	s_cmp_ge_u32 s17, s9
	s_cselect_b32 s18, -1, 0
	s_cmp_ge_u32 s16, s8
	s_cselect_b32 s8, -1, 0
	s_cmp_eq_u32 s17, s9
	s_cselect_b32 s8, s8, s18
	s_cmp_lg_u32 s8, 0
	s_cselect_b32 s9, s21, s11
	s_cselect_b32 s8, s20, s7
	s_xor_b64 s[12:13], s[12:13], 0
	s_xor_b64 s[8:9], s[8:9], s[12:13]
	s_sub_u32 s56, s8, s12
	s_load_dwordx2 s[54:55], s[0:1], 0x74
	v_cvt_f32_u32_e32 v1, s33
	s_cbranch_execnz .LBB30_3
.LBB30_2:
	v_rcp_iflag_f32_e32 v2, v1
	s_sub_i32 s4, 0, s33
	v_mul_f32_e32 v2, 0x4f7ffffe, v2
	v_cvt_u32_f32_e32 v2, v2
	s_nop 0
	v_readfirstlane_b32 s5, v2
	s_mul_i32 s4, s4, s5
	s_mul_hi_u32 s4, s5, s4
	s_add_i32 s5, s5, s4
	s_mul_hi_u32 s4, s6, s5
	s_mul_i32 s7, s4, s33
	s_sub_i32 s6, s6, s7
	s_add_i32 s5, s4, 1
	s_sub_i32 s7, s6, s33
	s_cmp_ge_u32 s6, s33
	s_cselect_b32 s4, s5, s4
	s_cselect_b32 s6, s7, s6
	s_add_i32 s5, s4, 1
	s_cmp_ge_u32 s6, s33
	s_cselect_b32 s56, s5, s4
.LBB30_3:
	s_add_i32 s4, s2, 1
	s_mul_i32 s5, s10, s4
	s_mul_hi_u32 s6, s3, s4
	s_add_i32 s9, s6, s5
	s_mov_b32 s8, 0
	s_cmp_lg_u64 s[8:9], 0
	s_mul_i32 s3, s3, s4
	s_cbranch_scc0 .LBB30_594
; %bb.4:
	s_add_u32 s4, s33, 0
	s_addc_u32 s5, 0, 0
	s_xor_b64 s[6:7], s[4:5], 0
	v_cvt_f32_u32_e32 v2, s6
	v_cvt_f32_u32_e32 v3, s7
	s_sub_u32 s8, 0, s6
	s_subb_u32 s12, 0, s7
	v_fmamk_f32 v2, v3, 0x4f800000, v2
	v_rcp_f32_e32 v2, v2
	s_nop 0
	v_mul_f32_e32 v2, 0x5f7ffffc, v2
	v_mul_f32_e32 v3, 0x2f800000, v2
	v_trunc_f32_e32 v3, v3
	v_fmamk_f32 v2, v3, 0xcf800000, v2
	v_cvt_u32_f32_e32 v3, v3
	v_cvt_u32_f32_e32 v2, v2
	v_readfirstlane_b32 s13, v3
	v_readfirstlane_b32 s10, v2
	s_mul_i32 s11, s8, s13
	s_mul_hi_u32 s17, s8, s10
	s_mul_i32 s16, s12, s10
	s_add_i32 s11, s17, s11
	s_add_i32 s11, s11, s16
	s_mul_i32 s18, s8, s10
	s_mul_i32 s17, s10, s11
	s_mul_hi_u32 s19, s10, s18
	s_mul_hi_u32 s16, s10, s11
	s_add_u32 s17, s19, s17
	s_addc_u32 s16, 0, s16
	s_mul_hi_u32 s20, s13, s18
	s_mul_i32 s18, s13, s18
	s_add_u32 s17, s17, s18
	s_mul_hi_u32 s19, s13, s11
	s_addc_u32 s16, s16, s20
	s_addc_u32 s17, s19, 0
	s_mul_i32 s11, s13, s11
	s_add_u32 s11, s16, s11
	s_addc_u32 s16, 0, s17
	s_add_u32 s17, s10, s11
	s_cselect_b64 s[10:11], -1, 0
	s_cmp_lg_u64 s[10:11], 0
	s_addc_u32 s13, s13, s16
	s_mul_i32 s10, s8, s13
	s_mul_hi_u32 s11, s8, s17
	s_add_i32 s10, s11, s10
	s_mul_i32 s12, s12, s17
	s_add_i32 s10, s10, s12
	s_mul_i32 s8, s8, s17
	s_mul_hi_u32 s12, s13, s8
	s_mul_i32 s16, s13, s8
	s_mul_i32 s19, s17, s10
	s_mul_hi_u32 s8, s17, s8
	s_mul_hi_u32 s18, s17, s10
	s_add_u32 s8, s8, s19
	s_addc_u32 s18, 0, s18
	s_add_u32 s8, s8, s16
	s_mul_hi_u32 s11, s13, s10
	s_addc_u32 s8, s18, s12
	s_addc_u32 s11, s11, 0
	s_mul_i32 s10, s13, s10
	s_add_u32 s8, s8, s10
	s_addc_u32 s12, 0, s11
	s_add_u32 s16, s17, s8
	s_cselect_b64 s[10:11], -1, 0
	s_cmp_lg_u64 s[10:11], 0
	s_addc_u32 s12, s13, s12
	s_ashr_i32 s10, s9, 31
	s_add_u32 s8, s3, s10
	s_mov_b32 s11, s10
	s_addc_u32 s9, s9, s10
	s_xor_b64 s[8:9], s[8:9], s[10:11]
	s_mul_i32 s17, s8, s12
	s_mul_hi_u32 s18, s8, s16
	s_mul_hi_u32 s13, s8, s12
	s_add_u32 s17, s18, s17
	s_addc_u32 s13, 0, s13
	s_mul_hi_u32 s19, s9, s16
	s_mul_i32 s16, s9, s16
	s_add_u32 s16, s17, s16
	s_mul_hi_u32 s18, s9, s12
	s_addc_u32 s13, s13, s19
	s_addc_u32 s16, s18, 0
	s_mul_i32 s12, s9, s12
	s_add_u32 s18, s13, s12
	s_addc_u32 s19, 0, s16
	s_mul_i32 s12, s6, s19
	s_mul_hi_u32 s13, s6, s18
	s_add_i32 s12, s13, s12
	s_mul_i32 s13, s7, s18
	s_add_i32 s20, s12, s13
	s_sub_i32 s16, s9, s20
	s_mul_i32 s12, s6, s18
	s_sub_u32 s8, s8, s12
	s_cselect_b64 s[12:13], -1, 0
	s_cmp_lg_u64 s[12:13], 0
	s_subb_u32 s21, s16, s7
	s_sub_u32 s22, s8, s6
	s_cselect_b64 s[16:17], -1, 0
	s_cmp_lg_u64 s[16:17], 0
	s_subb_u32 s16, s21, 0
	s_cmp_ge_u32 s16, s7
	s_cselect_b32 s17, -1, 0
	s_cmp_ge_u32 s22, s6
	s_cselect_b32 s21, -1, 0
	s_cmp_eq_u32 s16, s7
	s_cselect_b32 s16, s21, s17
	s_add_u32 s17, s18, 1
	s_addc_u32 s21, s19, 0
	s_add_u32 s22, s18, 2
	s_addc_u32 s23, s19, 0
	s_cmp_lg_u32 s16, 0
	s_cselect_b32 s16, s22, s17
	s_cselect_b32 s17, s23, s21
	s_cmp_lg_u64 s[12:13], 0
	s_subb_u32 s9, s9, s20
	s_cmp_ge_u32 s9, s7
	s_cselect_b32 s12, -1, 0
	s_cmp_ge_u32 s8, s6
	s_cselect_b32 s6, -1, 0
	s_cmp_eq_u32 s9, s7
	s_cselect_b32 s6, s6, s12
	s_cmp_lg_u32 s6, 0
	s_cselect_b32 s7, s17, s19
	s_cselect_b32 s6, s16, s18
	s_xor_b64 s[8:9], s[10:11], 0
	s_xor_b64 s[6:7], s[6:7], s[8:9]
	s_sub_u32 s60, s6, s8
	s_load_dwordx2 s[46:47], s[0:1], 0x5c
	s_cbranch_execnz .LBB30_6
.LBB30_5:
	v_rcp_iflag_f32_e32 v1, v1
	s_sub_i32 s4, 0, s33
	v_mul_f32_e32 v1, 0x4f7ffffe, v1
	v_cvt_u32_f32_e32 v1, v1
	s_nop 0
	v_readfirstlane_b32 s5, v1
	s_mul_i32 s4, s4, s5
	s_mul_hi_u32 s4, s5, s4
	s_add_i32 s5, s5, s4
	s_mul_hi_u32 s4, s3, s5
	s_mul_i32 s6, s4, s33
	s_sub_i32 s3, s3, s6
	s_add_i32 s5, s4, 1
	s_sub_i32 s6, s3, s33
	s_cmp_ge_u32 s3, s33
	s_cselect_b32 s4, s5, s4
	s_cselect_b32 s3, s6, s3
	s_add_i32 s5, s4, 1
	s_cmp_ge_u32 s3, s33
	s_cselect_b32 s60, s5, s4
.LBB30_6:
	s_abs_i32 s84, s83
	v_cvt_f32_u32_e32 v1, s84
	s_load_dwordx16 s[16:31], s[0:1], 0x0
	s_load_dword s6, s[0:1], 0x40
	s_load_dword s3, s[0:1], 0x54
	s_load_dwordx2 s[52:53], s[0:1], 0x8c
	s_load_dwordx4 s[40:43], s[0:1], 0x98
	s_load_dwordx2 s[48:49], s[0:1], 0xa8
	s_load_dwordx2 s[58:59], s[0:1], 0xb8
	;; [unrolled: 1-line block ×3, first 2 shown]
	s_waitcnt lgkmcnt(0)
	s_ashr_i32 s38, s52, 2
	s_sub_i32 s4, 0, s84
	v_rcp_iflag_f32_e32 v1, v1
	s_abs_i32 s1, s56
	s_ashr_i32 s57, s39, 3
	s_ashr_i32 s61, s54, 3
	v_mul_f32_e32 v1, 0x4f7ffffe, v1
	v_cvt_u32_f32_e32 v1, v1
	s_ashr_i32 s44, s59, 1
	s_ashr_i32 s34, s42, 2
	;; [unrolled: 1-line block ×3, first 2 shown]
	v_readfirstlane_b32 s52, v1
	s_mul_i32 s4, s4, s52
	s_mul_hi_u32 s4, s52, s4
	s_add_i32 s52, s52, s4
	s_mul_hi_u32 s4, s1, s52
	s_mul_i32 s4, s4, s84
	s_sub_i32 s1, s1, s4
	s_ashr_i32 s42, s83, 31
	s_sub_i32 s4, s1, s84
	s_cmp_ge_u32 s1, s84
	s_cselect_b32 s1, s4, s1
	s_sub_i32 s4, s1, s84
	s_cmp_ge_u32 s1, s84
	s_cselect_b32 s1, s4, s1
	s_xor_b32 s1, s1, s0
	s_sub_i32 s74, s1, s0
	s_sub_i32 s0, s60, s56
	s_add_i32 s4, s0, s74
	s_min_i32 s98, s83, s4
	s_cmp_gt_i32 s60, s56
	s_cselect_b64 s[8:9], -1, 0
	s_cmp_le_i32 s60, s56
	s_cselect_b64 s[0:1], -1, 0
	s_cmp_gt_i32 s83, s4
	v_cvt_f16_f32_e32 v183, s6
	s_cselect_b64 s[4:5], -1, 0
	s_or_b64 s[0:1], s[4:5], s[0:1]
	v_bfe_u32 v109, v0, 10, 10
	s_mov_b32 s63, 0
	s_and_b64 vcc, exec, s[0:1]
	v_bfe_u32 v95, v0, 10, 2
	v_lshlrev_b32_e32 v121, 3, v109
	v_lshrrev_b32_e32 v184, 10, v0
	v_add_u32_e32 v182, 8, v109
	v_add_u32_e32 v181, 16, v109
	;; [unrolled: 1-line block ×7, first 2 shown]
	s_cbranch_vccnz .LBB30_556
; %bb.7:
	v_and_b32_e32 v94, 0x3ff, v0
	v_and_b32_e32 v3, 0xff0, v121
	s_movk_i32 s12, 0x210
	v_and_b32_e32 v5, 15, v0
	v_lshrrev_b32_e32 v7, 1, v0
	v_lshlrev_b32_e32 v2, 2, v94
	v_mad_u32_u24 v4, v3, s12, 0
	v_mul_u32_u24_e32 v6, 0x210, v5
	v_and_b32_e32 v7, 0xf8, v7
	v_add_u32_e32 v185, 0, v2
	v_add3_u32 v186, v4, v6, v7
	v_bfe_u32 v4, v0, 5, 5
	v_and_b32_e32 v96, 0x7c, v2
	v_lshlrev_b32_e32 v2, 4, v109
	v_lshl_add_u32 v187, v109, 1, v4
	v_and_b32_e32 v4, 16, v2
	v_mul_u32_u24_e32 v8, 0x210, v4
	v_add_u32_e32 v189, 0, v7
	v_add3_u32 v190, v189, v6, v8
	v_bfe_u32 v6, v0, 2, 8
	v_and_b32_e32 v7, 0x7c, v6
	v_and_or_b32 v3, v0, 12, v3
	s_movk_i32 s0, 0x90
	v_add_u32_e32 v8, v7, v4
	v_lshrrev_b32_e32 v3, 2, v3
	v_add_u16_e32 v4, v7, v4
	v_mad_u32_u24 v3, v3, s0, 0
	v_lshrrev_b16_e32 v4, 1, v4
	v_mad_u32_u24 v9, v187, s0, 0
	v_lshl_add_u32 v191, v4, 2, v3
	v_and_b32_e32 v4, 8, v121
	v_or_b32_e32 v6, 3, v6
	s_movk_i32 s0, 0x420
	v_lshl_add_u32 v3, v8, 1, v3
	v_mul_u32_u24_e32 v7, 0x210, v7
	v_mul_u32_u24_e32 v6, 0x210, v6
	v_mad_u32_u24 v4, v4, s0, 0
	v_lshlrev_b32_e32 v8, 1, v5
	v_add3_u32 v192, v4, v7, v8
	v_add3_u32 v193, v4, v6, v8
	v_bfe_u32 v4, v0, 10, 1
	s_cmp_eq_u64 s[24:25], 0
	v_cmp_eq_u32_e64 s[0:1], 0, v4
	v_and_b32_e32 v4, 0x400, v0
	s_cselect_b64 s[64:65], -1, 0
	s_cmp_lg_u64 s[26:27], 0
	v_cmp_ne_u32_e64 s[10:11], 0, v4
	v_bfe_u32 v4, v184, 1, 9
	s_cselect_b64 s[66:67], -1, 0
	s_lshl_b32 s62, s2, 6
	v_add_u32_e32 v6, 4, v4
	s_lshl_b64 s[6:7], s[62:63], 3
	v_lshlrev_b32_e32 v7, 1, v6
	v_and_b32_e32 v8, 15, v6
	s_movk_i32 s62, 0x3e0
	v_mul_u32_u24_e32 v10, 0x180, v187
	v_lshlrev_b32_e32 v11, 2, v96
	v_and_or_b32 v7, v7, s62, v8
	v_add_u32_e32 v8, 8, v4
	v_add3_u32 v188, v9, v10, v11
	v_lshlrev_b32_e32 v10, 1, v8
	v_and_b32_e32 v11, 15, v8
	v_and_or_b32 v10, v10, s62, v11
	v_add_u32_e32 v11, 12, v4
	v_lshlrev_b32_e32 v12, 1, v11
	v_and_b32_e32 v13, 15, v11
	v_and_or_b32 v12, v12, s62, v13
	v_add_u32_e32 v13, 20, v4
	v_lshlrev_b32_e32 v14, 1, v13
	v_and_b32_e32 v15, 15, v13
	s_ashr_i32 s45, s44, 31
	s_ashr_i32 s39, s38, 31
	s_lshl_b32 s4, s38, 4
	s_ashr_i32 s35, s34, 31
	s_lshl_b32 s5, s34, 4
	v_and_or_b32 v14, v14, s62, v15
	v_add_u32_e32 v15, 24, v4
	s_add_u32 s8, s30, s6
	v_lshlrev_b32_e32 v16, 1, v15
	v_and_b32_e32 v17, 15, v15
	s_addc_u32 s9, s31, s7
	v_and_or_b32 v16, v16, s62, v17
	v_add_u32_e32 v17, 28, v4
	s_abs_i32 s59, s82
	v_lshlrev_b32_e32 v18, 1, v17
	v_and_b32_e32 v19, 15, v17
	v_cvt_f32_u32_e32 v30, s59
	v_and_or_b32 v18, v18, s62, v19
	v_add_u32_e32 v19, 36, v4
	v_lshlrev_b32_e32 v20, 1, v19
	v_and_b32_e32 v21, 15, v19
	v_and_or_b32 v20, v20, s62, v21
	v_add_u32_e32 v21, 40, v4
	v_lshlrev_b32_e32 v22, 1, v21
	v_and_b32_e32 v23, 15, v21
	v_rcp_iflag_f32_e32 v30, v30
	v_and_or_b32 v22, v22, s62, v23
	v_add_u32_e32 v23, 44, v4
	v_lshlrev_b32_e32 v24, 1, v23
	v_and_b32_e32 v25, 15, v23
	v_and_or_b32 v24, v24, s62, v25
	v_add_u32_e32 v25, 52, v4
	v_lshlrev_b32_e32 v26, 1, v25
	v_and_b32_e32 v27, 15, v25
	s_abs_i32 s85, s81
	v_mul_f32_e32 v30, 0x4f7ffffe, v30
	v_and_or_b32 v26, v26, s62, v27
	v_add_u32_e32 v27, 56, v4
	v_cvt_f32_u32_e32 v33, s85
	v_cvt_u32_f32_e32 v30, v30
	v_lshlrev_b32_e32 v28, 1, v27
	v_and_b32_e32 v29, 15, v27
	s_abs_i32 s86, s80
	v_and_or_b32 v28, v28, s62, v29
	v_add_u32_e32 v29, 60, v4
	v_cvt_f32_u32_e32 v34, s86
	v_lshlrev_b32_e32 v31, 1, v29
	v_and_b32_e32 v32, 15, v29
	s_sub_i32 s6, 0, s59
	v_and_or_b32 v31, v31, s62, v32
	v_rcp_iflag_f32_e32 v32, v33
	v_mul_lo_u32 v33, s6, v30
	v_mul_hi_u32 v33, v30, v33
	v_add_u32_e32 v194, v30, v33
	v_rcp_iflag_f32_e32 v33, v34
	s_abs_i32 s87, s58
	v_cvt_f32_u32_e32 v34, s87
	v_mul_f32_e32 v32, 0x4f7ffffe, v32
	v_cvt_u32_f32_e32 v32, v32
	v_mul_f32_e32 v33, 0x4f7ffffe, v33
	v_cvt_u32_f32_e32 v33, v33
	v_rcp_iflag_f32_e32 v34, v34
	s_sub_i32 s6, 0, s85
	v_mul_lo_u32 v30, s6, v32
	v_mul_hi_u32 v30, v32, v30
	s_sub_i32 s6, 0, s86
	v_add_u32_e32 v195, v32, v30
	v_mul_lo_u32 v30, s6, v33
	v_mul_f32_e32 v32, 0x4f7ffffe, v34
	v_cvt_u32_f32_e32 v32, v32
	v_mul_hi_u32 v30, v33, v30
	v_add_u32_e32 v196, v33, v30
	v_or_b32_e32 v30, v121, v94
	v_add_u32_e32 v198, 64, v3
	v_add_u32_e32 v199, 0x44, v3
	v_or_b32_e32 v3, v2, v94
	v_lshlrev_b32_e32 v98, 3, v30
	v_lshlrev_b32_e32 v30, 1, v94
	v_mul_u32_u24_e32 v200, 0x110, v3
	v_or_b32_e32 v3, v2, v5
	v_and_b32_e32 v5, 31, v0
	v_and_b32_e32 v108, 62, v30
	v_or_b32_e32 v2, v2, v5
	v_mul_u32_u24_e32 v202, 0x110, v3
	v_add_u32_e32 v3, 16, v4
	v_add_u32_e32 v30, 32, v4
	;; [unrolled: 1-line block ×3, first 2 shown]
	v_readfirstlane_b32 s68, v32
	v_lshl_add_u32 v197, v108, 1, v9
	v_mul_u32_u24_e32 v201, 0x110, v2
	s_movk_i32 s69, 0x1e0
	v_bfe_u32 v2, v109, 1, 4
	v_lshlrev_b32_e32 v9, 1, v3
	v_lshlrev_b32_e32 v32, 1, v30
	;; [unrolled: 1-line block ×3, first 2 shown]
	v_and_or_b32 v9, v9, s62, v2
	v_and_or_b32 v32, v32, s62, v2
	;; [unrolled: 1-line block ×4, first 2 shown]
	v_mul_u32_u24_e32 v203, 0x110, v2
	v_lshrrev_b32_e32 v2, 2, v17
	scratch_store_dword off, v2, off        ; 4-byte Folded Spill
	v_lshrrev_b32_e32 v2, 2, v30
	scratch_store_dword off, v2, off offset:4 ; 4-byte Folded Spill
	v_mul_u32_u24_e32 v2, 0x110, v32
	scratch_store_dword off, v2, off offset:8 ; 4-byte Folded Spill
	v_lshrrev_b32_e32 v2, 2, v19
	scratch_store_dword off, v2, off offset:12 ; 4-byte Folded Spill
	v_mul_u32_u24_e32 v2, 0x110, v20
	scratch_store_dword off, v2, off offset:16 ; 4-byte Folded Spill
	;; [unrolled: 4-line block ×6, first 2 shown]
	v_lshrrev_b32_e32 v2, 2, v27
	v_mul_lo_u32 v100, s38, v187
	v_mul_lo_u32 v110, s34, v187
	scratch_store_dword off, v2, off offset:52 ; 4-byte Folded Spill
	v_mul_u32_u24_e32 v2, 0x110, v28
	v_add_u32_e32 v102, s4, v100
	v_add_u32_e32 v112, s5, v110
	scratch_store_dword off, v2, off offset:56 ; 4-byte Folded Spill
	v_lshrrev_b32_e32 v2, 2, v29
	s_sub_i32 s62, 0, s87
	v_add_u32_e32 v104, s4, v102
	v_add_u32_e32 v114, s5, v112
	scratch_store_dword off, v2, off offset:60 ; 4-byte Folded Spill
	v_mul_u32_u24_e32 v2, 0x110, v31
	s_mul_i32 s62, s62, s68
	v_mov_b32_e32 v99, 0
	v_add_u32_e32 v106, s4, v104
	v_add_u32_e32 v116, s5, v114
	scratch_store_dword off, v2, off offset:64 ; 4-byte Folded Spill
	s_mul_hi_u32 s62, s68, s62
                                        ; implicit-def: $vgpr2
                                        ; implicit-def: $vgpr2
                                        ; implicit-def: $vgpr2
	s_mov_b32 s13, 0x10001
	v_mov_b32_e32 v97, v99
	v_ashrrev_i32_e32 v101, 31, v100
	v_ashrrev_i32_e32 v103, 31, v102
	;; [unrolled: 1-line block ×8, first 2 shown]
	s_add_i32 s91, s68, s62
	s_lshl_b64 s[68:69], s[44:45], 1
	v_mbcnt_lo_u32_b32 v2, -1, 0
	v_mad_u32_u24 v241, v109, s12, v185
	v_cmp_gt_u32_e64 s[4:5], 16, v94
	v_cmp_gt_u32_e64 s[6:7], 32, v94
	v_lshrrev_b32_e32 v204, 2, v6
	v_mul_u32_u24_e32 v205, 0x110, v7
	v_lshrrev_b32_e32 v206, 2, v8
	v_mul_u32_u24_e32 v207, 0x110, v10
	;; [unrolled: 2-line block ×6, first 2 shown]
	v_mul_u32_u24_e32 v217, 0x110, v18
	s_ashr_i32 s88, s82, 31
	s_ashr_i32 s89, s81, 31
	;; [unrolled: 1-line block ×3, first 2 shown]
	v_lshlrev_b32_e32 v118, 4, v5
	v_mov_b32_e32 v119, v99
	s_lshl_b64 s[70:71], s[34:35], 8
	s_lshl_b64 s[72:73], s[38:39], 8
	s_mov_b32 s45, 0x3f200000
	s_mov_b32 s69, 0x3fb8aa3b
	;; [unrolled: 1-line block ×4, first 2 shown]
	s_brev_b32 s94, -2
	s_mov_b32 s95, 0xc1a00000
	s_mov_b32 s96, 0x5040100
	s_movk_i32 s97, 0x47
	v_mbcnt_hi_u32_b32 v234, -1, v2
	v_mul_lo_u32 v235, v183, s13
	v_add_u32_e32 v236, 0x2100, v188
	v_add_u32_e32 v237, 0x4200, v188
	;; [unrolled: 1-line block ×4, first 2 shown]
	v_mul_u32_u24_e32 v240, 0x210, v109
	v_lshrrev_b32_e32 v242, 2, v182
	v_add_u32_e32 v243, 0x1080, v241
	v_lshrrev_b32_e32 v244, 2, v181
	v_add_u32_e32 v245, 0x2100, v241
	;; [unrolled: 2-line block ×7, first 2 shown]
	v_bfe_u32 v232, v184, 3, 7
	v_mov_b32_e32 v233, 0x3ca908c9
	v_mov_b32_e32 v230, 0x7f800000
	v_and_b32_e32 v120, 3, v0
	v_lshl_add_u64 v[122:123], s[8:9], 0, v[98:99]
	v_bfe_u32 v124, v109, 1, 2
	v_mad_u64_u32 v[126:127], s[8:9], v95, s61, v[94:95]
	v_lshl_add_u64 v[128:129], s[22:23], 0, v[96:97]
	v_lshl_add_u64 v[130:131], v[110:111], 2, s[20:21]
	v_lshl_add_u64 v[132:133], v[112:113], 2, s[20:21]
	v_lshl_add_u64 v[134:135], v[114:115], 2, s[20:21]
	v_lshl_add_u64 v[136:137], v[116:117], 2, s[20:21]
	v_lshl_add_u64 v[138:139], v[100:101], 2, s[18:19]
	v_lshl_add_u64 v[140:141], v[102:103], 2, s[18:19]
	v_lshl_add_u64 v[142:143], v[104:105], 2, s[18:19]
	v_lshl_add_u64 v[144:145], v[106:107], 2, s[18:19]
	s_branch .LBB30_10
.LBB30_8:                               ;   in Loop: Header=BB30_10 Depth=1
	s_or_b64 exec, exec, s[12:13]
	s_barrier
.LBB30_9:                               ;   in Loop: Header=BB30_10 Depth=1
	s_add_i32 s8, s56, s83
	s_abs_i32 s12, s8
	s_mul_hi_u32 s13, s12, s52
	s_mul_i32 s13, s13, s84
	s_sub_i32 s12, s12, s13
	s_ashr_i32 s9, s8, 31
	s_sub_i32 s13, s12, s84
	s_cmp_ge_u32 s12, s84
	s_cselect_b32 s12, s13, s12
	s_sub_i32 s13, s12, s84
	s_cmp_ge_u32 s12, s84
	s_cselect_b32 s12, s13, s12
	s_xor_b32 s12, s12, s9
	s_sub_i32 s9, s9, s12
	s_add_i32 s56, s8, s9
	s_sub_i32 s12, s60, s56
	s_min_i32 s98, s83, s12
	s_cmp_gt_i32 s60, s56
	s_cselect_b64 s[8:9], -1, 0
	s_cmp_le_i32 s83, s12
	s_cselect_b64 s[12:13], -1, 0
	s_and_b64 s[12:13], s[12:13], s[8:9]
	s_mov_b32 s74, 0
	s_and_b64 vcc, exec, s[12:13]
	s_cbranch_vccz .LBB30_556
.LBB30_10:                              ; =>This Loop Header: Depth=1
                                        ;     Child Loop BB30_322 Depth 2
                                        ;     Child Loop BB30_49 Depth 2
	s_abs_i32 s9, s56
	v_mul_hi_u32 v2, s9, v194
	v_mul_lo_u32 v3, v2, s59
	v_sub_u32_e32 v3, s9, v3
	v_add_u32_e32 v4, 1, v2
	v_subrev_u32_e32 v5, s59, v3
	v_cmp_le_u32_e32 vcc, s59, v3
	s_ashr_i32 s8, s56, 31
	s_xor_b32 s8, s8, s88
	v_cndmask_b32_e32 v2, v2, v4, vcc
	v_cndmask_b32_e32 v3, v3, v5, vcc
	v_add_u32_e32 v4, 1, v2
	v_cmp_le_u32_e32 vcc, s59, v3
	s_nop 1
	v_cndmask_b32_e32 v2, v2, v4, vcc
	v_xor_b32_e32 v2, s8, v2
	v_subrev_u32_e32 v2, s8, v2
	v_mul_lo_u32 v3, v2, s82
	v_sub_u32_e32 v4, s56, v3
	v_sub_u32_e32 v5, 0, v4
	v_max_i32_e32 v5, v4, v5
	v_mul_hi_u32 v6, v5, v195
	v_mul_lo_u32 v7, v6, s85
	v_sub_u32_e32 v5, v5, v7
	v_add_u32_e32 v7, 1, v6
	v_subrev_u32_e32 v8, s85, v5
	v_cmp_le_u32_e32 vcc, s85, v5
	v_ashrrev_i32_e32 v3, 31, v4
	v_xor_b32_e32 v3, s89, v3
	v_cndmask_b32_e32 v6, v6, v7, vcc
	v_cndmask_b32_e32 v5, v5, v8, vcc
	v_add_u32_e32 v7, 1, v6
	v_cmp_le_u32_e32 vcc, s85, v5
	s_nop 1
	v_cndmask_b32_e32 v5, v6, v7, vcc
	v_xor_b32_e32 v5, v5, v3
	v_sub_u32_e32 v3, v5, v3
	v_mul_lo_u32 v5, v3, s81
	v_sub_u32_e32 v4, v4, v5
	v_sub_u32_e32 v6, 0, v4
	v_max_i32_e32 v6, v4, v6
	v_mul_hi_u32 v7, v6, v196
	v_mul_lo_u32 v8, v7, s86
	v_sub_u32_e32 v6, v6, v8
	v_add_u32_e32 v8, 1, v7
	v_subrev_u32_e32 v9, s86, v6
	v_cmp_le_u32_e32 vcc, s86, v6
	v_ashrrev_i32_e32 v5, 31, v4
	v_xor_b32_e32 v5, s90, v5
	v_cndmask_b32_e32 v7, v7, v8, vcc
	v_cndmask_b32_e32 v6, v6, v9, vcc
	v_add_u32_e32 v8, 1, v7
	v_cmp_le_u32_e32 vcc, s86, v6
	s_nop 1
	v_cndmask_b32_e32 v6, v7, v8, vcc
	v_xor_b32_e32 v6, v6, v5
	v_sub_u32_e32 v5, v6, v5
	v_mul_lo_u32 v6, v5, s80
	v_sub_u32_e32 v4, v4, v6
	v_sub_u32_e32 v7, 0, v4
	v_ashrrev_i32_e32 v6, 31, v4
	v_max_i32_e32 v4, v4, v7
	v_mul_hi_u32 v7, v4, s52
	v_mul_lo_u32 v8, v7, s84
	v_sub_u32_e32 v4, v4, v8
	v_add_u32_e32 v8, 1, v7
	v_subrev_u32_e32 v9, s84, v4
	v_cmp_le_u32_e32 vcc, s84, v4
	v_xor_b32_e32 v6, s42, v6
	s_nop 0
	v_cndmask_b32_e32 v7, v7, v8, vcc
	v_cndmask_b32_e32 v4, v4, v9, vcc
	v_add_u32_e32 v8, 1, v7
	v_cmp_le_u32_e32 vcc, s84, v4
	s_nop 1
	v_cndmask_b32_e32 v4, v7, v8, vcc
	v_xor_b32_e32 v4, v4, v6
	s_andn2_b64 vcc, exec, s[66:67]
	v_sub_u32_e32 v4, v4, v6
	s_cbranch_vccnz .LBB30_12
; %bb.11:                               ;   in Loop: Header=BB30_10 Depth=1
	v_mul_lo_u32 v6, v2, s79
	v_add_u32_e32 v6, v4, v6
	v_ashrrev_i32_e32 v7, 31, v6
	v_lshlrev_b64 v[6:7], 2, v[6:7]
	v_lshl_add_u64 v[6:7], s[26:27], 0, v[6:7]
	global_load_dword v6, v[6:7], off
	s_waitcnt vmcnt(0)
	v_readfirstlane_b32 s8, v6
	s_ashr_i32 s9, s8, 31
	s_lshr_b32 s9, s9, 26
	s_add_i32 s8, s8, s9
	s_ashr_i32 s8, s8, 6
	s_min_i32 s98, s98, s8
.LBB30_12:                              ;   in Loop: Header=BB30_10 Depth=1
	v_mul_lo_u32 v6, v3, s78
	v_lshlrev_b32_e32 v127, 2, v5
	v_add_u32_e32 v6, v127, v6
	v_mul_lo_u32 v8, v2, s55
	v_ashrrev_i32_e32 v9, 31, v8
	v_mul_lo_u32 v10, v6, s54
	v_lshl_add_u64 v[8:9], s[16:17], 0, v[8:9]
	v_ashrrev_i32_e32 v11, 31, v10
	v_ashrrev_i32_e32 v5, 31, v2
	v_lshl_add_u64 v[166:167], v[8:9], 0, v[10:11]
	v_mul_hi_u32 v7, s40, v2
	v_mul_lo_u32 v8, s40, v5
	v_add_u32_e32 v7, v7, v8
	v_mul_lo_u32 v8, s41, v2
	v_add_u32_e32 v157, v7, v8
	v_mul_lo_u32 v156, s40, v2
	v_mul_lo_u32 v158, v3, s53
	v_sub_u32_e32 v7, 0, v2
	v_lshl_add_u64 v[8:9], s[18:19], 0, v[156:157]
	v_ashrrev_i32_e32 v159, 31, v158
	v_max_i32_e32 v7, v2, v7
	v_lshl_add_u64 v[152:153], v[8:9], 0, v[158:159]
	v_mul_hi_u32 v8, v7, s91
	v_mul_lo_u32 v8, v8, s87
	v_sub_u32_e32 v7, v7, v8
	v_subrev_u32_e32 v8, s87, v7
	v_cmp_le_u32_e32 vcc, s87, v7
	s_mul_i32 s8, s36, s37
	v_mul_lo_u32 v162, s48, v2
	v_cndmask_b32_e32 v7, v7, v8, vcc
	v_subrev_u32_e32 v8, s87, v7
	v_cmp_le_u32_e32 vcc, s87, v7
	v_mul_lo_u32 v164, v3, s43
	v_ashrrev_i32_e32 v165, 31, v164
	v_cndmask_b32_e32 v7, v7, v8, vcc
	v_xor_b32_e32 v7, v7, v5
	v_sub_u32_e32 v7, v7, v5
	v_ashrrev_i32_e32 v8, 31, v7
	v_mul_lo_u32 v8, s50, v8
	v_mul_hi_u32 v9, s50, v7
	v_add_u32_e32 v8, v9, v8
	v_mul_lo_u32 v9, s51, v7
	v_mul_lo_u32 v160, s50, v7
	;; [unrolled: 1-line block ×3, first 2 shown]
	v_add_u32_e32 v7, v6, v7
	v_lshlrev_b32_e32 v98, 7, v7
	v_mul_hi_u32 v7, s48, v2
	v_mul_lo_u32 v5, s48, v5
	v_add_u32_e32 v5, v7, v5
	v_mul_lo_u32 v7, s49, v2
	v_add_u32_e32 v163, v5, v7
	v_ashrrev_i32_e32 v7, 31, v6
	v_lshlrev_b64 v[2:3], 2, v[6:7]
	v_add_u32_e32 v161, v8, v9
	v_lshlrev_b64 v[8:9], 3, v[98:99]
	v_lshl_add_u64 v[2:3], s[24:25], 0, v[2:3]
	v_lshl_add_u64 v[146:147], s[28:29], 0, v[8:9]
	;; [unrolled: 1-line block ×3, first 2 shown]
	v_cndmask_b32_e64 v148, v2, 0, s[64:65]
	v_lshlrev_b32_e32 v97, 4, v4
	v_bfe_u32 v2, v184, 2, 8
	v_lshl_add_u64 v[154:155], s[22:23], 0, v[160:161]
	v_lshl_add_u64 v[150:151], v[8:9], 0, v[164:165]
	v_cndmask_b32_e64 v149, v3, 0, s[64:65]
	s_cmp_lg_u32 s74, 0
	v_add_u32_e32 v176, v2, v97
	v_or_b32_e32 v177, v95, v127
	s_cbranch_scc0 .LBB30_83
; %bb.13:                               ;   in Loop: Header=BB30_10 Depth=1
	v_cmp_le_i32_e64 s[8:9], s36, v176
	v_cmp_le_i32_e64 s[12:13], s78, v177
	v_cmp_gt_i32_e32 vcc, s78, v177
	s_or_b64 s[8:9], s[8:9], s[12:13]
	s_and_saveexec_b64 s[12:13], s[8:9]
	s_xor_b64 s[8:9], exec, s[12:13]
; %bb.14:                               ;   in Loop: Header=BB30_10 Depth=1
	v_add_u32_e32 v2, v185, v240
	ds_write2st64_b32 v2, v99, v99 offset1:1
; %bb.15:                               ;   in Loop: Header=BB30_10 Depth=1
	s_andn2_saveexec_b64 s[8:9], s[8:9]
	s_cbranch_execz .LBB30_17
; %bb.16:                               ;   in Loop: Header=BB30_10 Depth=1
	v_mad_u64_u32 v[2:3], s[12:13], v176, s57, v[126:127]
	v_ashrrev_i32_e32 v3, 31, v2
	v_lshl_add_u64 v[2:3], v[2:3], 3, v[166:167]
	global_load_dwordx2 v[4:5], v[2:3], off
	s_nop 0
	global_load_dwordx2 v[2:3], v[2:3], off offset:512
	s_waitcnt vmcnt(1)
	v_cvt_pk_f16_f32 v4, v4, v5
	s_waitcnt vmcnt(0)
	v_cvt_pk_f16_f32 v2, v2, v3
	v_pk_mul_f16 v3, v4, v235
	v_pk_mul_f16 v2, v2, v235
	ds_write2st64_b32 v241, v3, v2 offset1:1
.LBB30_17:                              ;   in Loop: Header=BB30_10 Depth=1
	s_or_b64 exec, exec, s[8:9]
	v_add_u32_e32 v2, v242, v97
	v_cmp_le_i32_e64 s[8:9], s36, v2
	s_xor_b64 s[12:13], vcc, -1
	s_or_b64 s[8:9], s[8:9], s[12:13]
	s_and_saveexec_b64 s[76:77], s[8:9]
	s_xor_b64 s[8:9], exec, s[76:77]
; %bb.18:                               ;   in Loop: Header=BB30_10 Depth=1
	v_add_u32_e32 v2, v185, v240
	v_add_u32_e32 v2, 0x80, v2
	ds_write2st64_b32 v2, v99, v99 offset0:16 offset1:17
                                        ; implicit-def: $vgpr2
; %bb.19:                               ;   in Loop: Header=BB30_10 Depth=1
	s_andn2_saveexec_b64 s[8:9], s[8:9]
	s_cbranch_execz .LBB30_21
; %bb.20:                               ;   in Loop: Header=BB30_10 Depth=1
	v_mad_u64_u32 v[2:3], s[76:77], v2, s57, v[126:127]
	v_ashrrev_i32_e32 v3, 31, v2
	v_lshl_add_u64 v[2:3], v[2:3], 3, v[166:167]
	global_load_dwordx2 v[4:5], v[2:3], off
	s_nop 0
	global_load_dwordx2 v[2:3], v[2:3], off offset:512
	s_waitcnt vmcnt(1)
	v_cvt_pk_f16_f32 v4, v4, v5
	s_waitcnt vmcnt(0)
	v_cvt_pk_f16_f32 v2, v2, v3
	v_pk_mul_f16 v3, v4, v235
	v_pk_mul_f16 v2, v2, v235
	ds_write2st64_b32 v243, v3, v2 offset1:1
.LBB30_21:                              ;   in Loop: Header=BB30_10 Depth=1
	s_or_b64 exec, exec, s[8:9]
	v_add_u32_e32 v2, v244, v97
	v_cmp_le_i32_e32 vcc, s36, v2
	s_or_b64 s[8:9], vcc, s[12:13]
	s_and_saveexec_b64 s[76:77], s[8:9]
	s_xor_b64 s[8:9], exec, s[76:77]
; %bb.22:                               ;   in Loop: Header=BB30_10 Depth=1
	v_add_u32_e32 v2, v185, v240
	ds_write2st64_b32 v2, v99, v99 offset0:33 offset1:34
                                        ; implicit-def: $vgpr2
; %bb.23:                               ;   in Loop: Header=BB30_10 Depth=1
	s_andn2_saveexec_b64 s[8:9], s[8:9]
	s_cbranch_execz .LBB30_25
; %bb.24:                               ;   in Loop: Header=BB30_10 Depth=1
	v_mad_u64_u32 v[2:3], s[76:77], v2, s57, v[126:127]
	v_ashrrev_i32_e32 v3, 31, v2
	v_lshl_add_u64 v[2:3], v[2:3], 3, v[166:167]
	global_load_dwordx2 v[4:5], v[2:3], off
	s_nop 0
	global_load_dwordx2 v[2:3], v[2:3], off offset:512
	s_waitcnt vmcnt(1)
	v_cvt_pk_f16_f32 v4, v4, v5
	s_waitcnt vmcnt(0)
	v_cvt_pk_f16_f32 v2, v2, v3
	v_pk_mul_f16 v3, v4, v235
	v_pk_mul_f16 v2, v2, v235
	ds_write2st64_b32 v245, v3, v2 offset1:1
.LBB30_25:                              ;   in Loop: Header=BB30_10 Depth=1
	s_or_b64 exec, exec, s[8:9]
	v_add_u32_e32 v2, v246, v97
	v_cmp_le_i32_e32 vcc, s36, v2
	s_or_b64 s[8:9], vcc, s[12:13]
	s_and_saveexec_b64 s[76:77], s[8:9]
	s_xor_b64 s[8:9], exec, s[76:77]
; %bb.26:                               ;   in Loop: Header=BB30_10 Depth=1
	v_add_u32_e32 v2, v185, v240
	v_add_u32_e32 v2, 0x80, v2
	ds_write2st64_b32 v2, v99, v99 offset0:49 offset1:50
                                        ; implicit-def: $vgpr2
; %bb.27:                               ;   in Loop: Header=BB30_10 Depth=1
	s_andn2_saveexec_b64 s[8:9], s[8:9]
	s_cbranch_execz .LBB30_29
; %bb.28:                               ;   in Loop: Header=BB30_10 Depth=1
	v_mad_u64_u32 v[2:3], s[76:77], v2, s57, v[126:127]
	v_ashrrev_i32_e32 v3, 31, v2
	v_lshl_add_u64 v[2:3], v[2:3], 3, v[166:167]
	global_load_dwordx2 v[4:5], v[2:3], off
	s_nop 0
	global_load_dwordx2 v[2:3], v[2:3], off offset:512
	s_waitcnt vmcnt(1)
	v_cvt_pk_f16_f32 v4, v4, v5
	s_waitcnt vmcnt(0)
	v_cvt_pk_f16_f32 v2, v2, v3
	v_pk_mul_f16 v3, v4, v235
	v_pk_mul_f16 v2, v2, v235
	ds_write2st64_b32 v247, v3, v2 offset1:1
.LBB30_29:                              ;   in Loop: Header=BB30_10 Depth=1
	s_or_b64 exec, exec, s[8:9]
	v_add_u32_e32 v2, v248, v97
	v_cmp_le_i32_e32 vcc, s36, v2
	s_or_b64 s[8:9], vcc, s[12:13]
	s_and_saveexec_b64 s[76:77], s[8:9]
	s_xor_b64 s[8:9], exec, s[76:77]
; %bb.30:                               ;   in Loop: Header=BB30_10 Depth=1
	v_add_u32_e32 v2, v185, v240
	ds_write2st64_b32 v2, v99, v99 offset0:66 offset1:67
                                        ; implicit-def: $vgpr2
; %bb.31:                               ;   in Loop: Header=BB30_10 Depth=1
	s_andn2_saveexec_b64 s[8:9], s[8:9]
	s_cbranch_execz .LBB30_33
; %bb.32:                               ;   in Loop: Header=BB30_10 Depth=1
	v_mad_u64_u32 v[2:3], s[76:77], v2, s57, v[126:127]
	v_ashrrev_i32_e32 v3, 31, v2
	v_lshl_add_u64 v[2:3], v[2:3], 3, v[166:167]
	global_load_dwordx2 v[4:5], v[2:3], off
	s_nop 0
	global_load_dwordx2 v[2:3], v[2:3], off offset:512
	s_waitcnt vmcnt(1)
	v_cvt_pk_f16_f32 v4, v4, v5
	s_waitcnt vmcnt(0)
	v_cvt_pk_f16_f32 v2, v2, v3
	v_pk_mul_f16 v3, v4, v235
	v_pk_mul_f16 v2, v2, v235
	ds_write2st64_b32 v249, v3, v2 offset1:1
.LBB30_33:                              ;   in Loop: Header=BB30_10 Depth=1
	s_or_b64 exec, exec, s[8:9]
	v_add_u32_e32 v2, v250, v97
	v_cmp_le_i32_e32 vcc, s36, v2
	s_or_b64 s[8:9], vcc, s[12:13]
	;; [unrolled: 57-line block ×3, first 2 shown]
	s_and_saveexec_b64 s[12:13], s[8:9]
	s_xor_b64 s[8:9], exec, s[12:13]
; %bb.42:                               ;   in Loop: Header=BB30_10 Depth=1
	v_add_u32_e32 v2, v185, v240
	v_add_u32_e32 v2, 0x80, v2
	ds_write2st64_b32 v2, v99, v99 offset0:115 offset1:116
                                        ; implicit-def: $vgpr2
; %bb.43:                               ;   in Loop: Header=BB30_10 Depth=1
	s_andn2_saveexec_b64 s[8:9], s[8:9]
	s_cbranch_execz .LBB30_45
; %bb.44:                               ;   in Loop: Header=BB30_10 Depth=1
	v_mad_u64_u32 v[2:3], s[12:13], v2, s57, v[126:127]
	v_ashrrev_i32_e32 v3, 31, v2
	v_lshl_add_u64 v[2:3], v[2:3], 3, v[166:167]
	global_load_dwordx2 v[4:5], v[2:3], off
	s_nop 0
	global_load_dwordx2 v[2:3], v[2:3], off offset:512
	s_waitcnt vmcnt(1)
	v_cvt_pk_f16_f32 v4, v4, v5
	s_waitcnt vmcnt(0)
	v_cvt_pk_f16_f32 v2, v2, v3
	v_pk_mul_f16 v3, v4, v235
	v_pk_mul_f16 v2, v2, v235
	ds_write2st64_b32 v255, v3, v2 offset1:1
.LBB30_45:                              ;   in Loop: Header=BB30_10 Depth=1
	s_or_b64 exec, exec, s[8:9]
	s_waitcnt lgkmcnt(0)
	s_barrier
	ds_read2_b64 v[30:33], v186 offset1:4
	ds_read2_b64 v[26:29], v186 offset0:8 offset1:12
	ds_read2_b64 v[22:25], v186 offset0:16 offset1:20
	;; [unrolled: 1-line block ×7, first 2 shown]
	s_add_i32 s62, s98, -1
	s_cmp_lt_i32 s74, s62
	s_mov_b64 s[8:9], -1
	s_waitcnt lgkmcnt(0)
	s_barrier
	s_cbranch_scc1 .LBB30_47
; %bb.46:                               ;   in Loop: Header=BB30_10 Depth=1
	s_mov_b64 s[8:9], 0
.LBB30_47:                              ;   in Loop: Header=BB30_10 Depth=1
	v_add_u32_e32 v34, v97, v187
	v_mul_hi_u32 v35, s46, v34
	v_add_u32_e32 v35, v34, v35
	v_lshrrev_b32_e32 v35, s47, v35
	v_mul_lo_u32 v35, v35, s36
	v_sub_u32_e32 v34, v34, v35
	s_andn2_b64 vcc, exec, s[8:9]
	v_mad_i64_i32 v[168:169], s[8:9], v34, s44, 0
	s_cbranch_vccnz .LBB30_84
; %bb.48:                               ;   in Loop: Header=BB30_10 Depth=1
	v_lshl_add_u64 v[34:35], v[168:169], 1, v[154:155]
	v_lshlrev_b32_e32 v98, 1, v108
	v_lshl_add_u64 v[170:171], v[34:35], 0, v[98:99]
	v_and_b32_e32 v34, 64, v234
	v_add_u32_e32 v34, 64, v34
	v_xor_b32_e32 v35, 32, v234
	v_cmp_lt_i32_e32 vcc, v35, v34
	s_lshl_b32 s8, s74, 6
	v_mov_b32_e32 v172, 0
	v_cndmask_b32_e32 v35, v234, v35, vcc
	v_lshlrev_b32_e32 v226, 2, v35
	v_xor_b32_e32 v35, 16, v234
	v_cmp_lt_i32_e32 vcc, v35, v34
	v_mov_b32_e32 v53, 0xfeffffff
	v_mov_b32_e32 v52, 0
	v_cndmask_b32_e32 v34, v234, v35, vcc
	v_lshlrev_b32_e32 v229, 2, v34
	v_mov_b32_e32 v173, 0
	v_mov_b32_e32 v91, 0
	;; [unrolled: 1-line block ×31, first 2 shown]
.LBB30_49:                              ;   Parent Loop BB30_10 Depth=1
                                        ; =>  This Inner Loop Header: Depth=2
	s_ashr_i32 s9, s8, 31
	s_mul_hi_i32 s13, s8, s38
	s_mul_i32 s12, s8, s38
	v_lshl_add_u64 v[34:35], s[8:9], 1, v[170:171]
	s_lshl_b64 s[12:13], s[12:13], 2
	global_load_dword v61, v[34:35], off
	v_lshl_add_u64 v[34:35], v[152:153], 0, s[12:13]
	v_lshl_add_u64 v[36:37], v[100:101], 2, v[34:35]
	v_lshlrev_b32_e32 v98, 2, v96
	v_lshl_add_u64 v[38:39], v[102:103], 2, v[34:35]
	v_lshl_add_u64 v[40:41], v[104:105], 2, v[34:35]
	;; [unrolled: 1-line block ×7, first 2 shown]
	global_load_dwordx4 v[34:37], v[36:37], off
	s_nop 0
	global_load_dwordx4 v[38:41], v[38:39], off
	s_nop 0
	;; [unrolled: 2-line block ×3, first 2 shown]
	global_load_dwordx4 v[218:221], v[62:63], off
	s_waitcnt vmcnt(4)
	ds_write_b32 v197, v61 offset:33792
	s_waitcnt vmcnt(3)
	ds_write_b128 v188, v[34:37]
	s_waitcnt vmcnt(2)
	ds_write_b128 v236, v[38:41]
	;; [unrolled: 2-line block ×4, first 2 shown]
	v_add_u32_e32 v61, 0x4000, v190
	s_waitcnt lgkmcnt(0)
	s_barrier
	ds_read2_b64 v[34:37], v190 offset1:4
	ds_read2_b64 v[56:59], v61 offset0:64 offset1:68
	s_waitcnt lgkmcnt(1)
	v_mfma_f32_16x16x16_f16 v[38:41], v[34:35], v[30:31], 0
	s_waitcnt lgkmcnt(0)
	v_mfma_f32_16x16x16_f16 v[218:221], v[56:57], v[30:31], 0
	v_mfma_f32_16x16x16_f16 v[34:37], v[36:37], v[32:33], v[38:41]
	;; [unrolled: 1-line block ×3, first 2 shown]
	ds_read2_b64 v[56:59], v190 offset0:8 offset1:12
	s_nop 4
	ds_read2_b64 v[218:221], v61 offset0:72 offset1:76
	s_waitcnt lgkmcnt(1)
	v_mfma_f32_16x16x16_f16 v[34:37], v[56:57], v[26:27], v[34:37]
	s_waitcnt lgkmcnt(0)
	v_mfma_f32_16x16x16_f16 v[38:41], v[218:219], v[26:27], v[38:41]
	v_mfma_f32_16x16x16_f16 v[34:37], v[58:59], v[28:29], v[34:37]
	ds_read2_b64 v[56:59], v190 offset0:16 offset1:20
	v_mfma_f32_16x16x16_f16 v[38:41], v[220:221], v[28:29], v[38:41]
	ds_read2_b64 v[218:221], v61 offset0:80 offset1:84
	s_waitcnt lgkmcnt(1)
	v_mfma_f32_16x16x16_f16 v[34:37], v[56:57], v[22:23], v[34:37]
	s_waitcnt lgkmcnt(0)
	v_mfma_f32_16x16x16_f16 v[38:41], v[218:219], v[22:23], v[38:41]
	v_mfma_f32_16x16x16_f16 v[34:37], v[58:59], v[24:25], v[34:37]
	ds_read2_b64 v[56:59], v190 offset0:24 offset1:28
	v_mfma_f32_16x16x16_f16 v[38:41], v[220:221], v[24:25], v[38:41]
	;; [unrolled: 8-line block ×6, first 2 shown]
	ds_read2_b64 v[218:221], v61 offset0:120 offset1:124
	s_waitcnt lgkmcnt(0)
	s_barrier
	v_mfma_f32_16x16x16_f16 v[34:37], v[56:57], v[2:3], v[34:37]
                                        ; implicit-def: $vgpr56
	v_mfma_f32_16x16x16_f16 v[38:41], v[218:219], v[2:3], v[38:41]
	v_mfma_f32_16x16x16_f16 v[34:37], v[58:59], v[4:5], v[34:37]
	;; [unrolled: 1-line block ×3, first 2 shown]
	s_nop 6
	v_cmp_nlt_f32_e64 s[12:13], |v34|, s45
	s_and_saveexec_b64 s[76:77], s[12:13]
	s_xor_b64 s[12:13], exec, s[76:77]
	s_cbranch_execz .LBB30_51
; %bb.50:                               ;   in Loop: Header=BB30_49 Depth=2
	v_add_f32_e64 v56, |v34|, |v34|
	v_mul_f32_e32 v57, 0x3fb8aa3b, v56
	v_rndne_f32_e32 v58, v57
	v_sub_f32_e32 v59, v57, v58
	v_fma_f32 v57, v56, s69, -v57
	v_fmac_f32_e32 v57, 0x32a5705f, v56
	v_add_f32_e32 v57, v59, v57
	v_cvt_i32_f32_e32 v58, v58
	v_exp_f32_e32 v57, v57
	v_cmp_ngt_f32_e32 vcc, s92, v56
	v_ldexp_f32 v57, v57, v58
	s_nop 0
	v_cndmask_b32_e32 v57, 0, v57, vcc
	v_cmp_nlt_f32_e32 vcc, s93, v56
	s_nop 1
	v_cndmask_b32_e32 v56, v230, v57, vcc
	v_add_f32_e32 v56, 1.0, v56
	v_rcp_f32_e32 v56, v56
	s_nop 0
	v_fma_f32 v56, v56, -2.0, 1.0
.LBB30_51:                              ;   in Loop: Header=BB30_49 Depth=2
	s_andn2_saveexec_b64 s[12:13], s[12:13]
; %bb.52:                               ;   in Loop: Header=BB30_49 Depth=2
	v_mul_f32_e32 v56, v34, v34
	v_fmamk_f32 v57, v56, 0xbbbac73d, v233
	v_fmaak_f32 v57, v56, v57, 0xbd5c1c4e
	v_fmaak_f32 v57, v56, v57, 0x3e088382
	;; [unrolled: 1-line block ×3, first 2 shown]
	v_mul_f32_e64 v57, |v34|, v57
	v_fma_f32 v56, v56, v57, |v34|
; %bb.53:                               ;   in Loop: Header=BB30_49 Depth=2
	s_or_b64 exec, exec, s[12:13]
	v_cmp_nlt_f32_e64 s[12:13], |v35|, s45
                                        ; implicit-def: $vgpr57
	s_and_saveexec_b64 s[76:77], s[12:13]
	s_xor_b64 s[12:13], exec, s[76:77]
	s_cbranch_execz .LBB30_55
; %bb.54:                               ;   in Loop: Header=BB30_49 Depth=2
	v_add_f32_e64 v57, |v35|, |v35|
	v_mul_f32_e32 v58, 0x3fb8aa3b, v57
	v_rndne_f32_e32 v59, v58
	v_sub_f32_e32 v61, v58, v59
	v_fma_f32 v58, v57, s69, -v58
	v_fmac_f32_e32 v58, 0x32a5705f, v57
	v_add_f32_e32 v58, v61, v58
	v_cvt_i32_f32_e32 v59, v59
	v_exp_f32_e32 v58, v58
	v_cmp_ngt_f32_e32 vcc, s92, v57
	v_ldexp_f32 v58, v58, v59
	s_nop 0
	v_cndmask_b32_e32 v58, 0, v58, vcc
	v_cmp_nlt_f32_e32 vcc, s93, v57
	s_nop 1
	v_cndmask_b32_e32 v57, v230, v58, vcc
	v_add_f32_e32 v57, 1.0, v57
	v_rcp_f32_e32 v57, v57
	s_nop 0
	v_fma_f32 v57, v57, -2.0, 1.0
.LBB30_55:                              ;   in Loop: Header=BB30_49 Depth=2
	s_andn2_saveexec_b64 s[12:13], s[12:13]
; %bb.56:                               ;   in Loop: Header=BB30_49 Depth=2
	v_mul_f32_e32 v57, v35, v35
	v_fmamk_f32 v58, v57, 0xbbbac73d, v233
	v_fmaak_f32 v58, v57, v58, 0xbd5c1c4e
	v_fmaak_f32 v58, v57, v58, 0x3e088382
	;; [unrolled: 1-line block ×3, first 2 shown]
	v_mul_f32_e64 v58, |v35|, v58
	v_fma_f32 v57, v57, v58, |v35|
; %bb.57:                               ;   in Loop: Header=BB30_49 Depth=2
	s_or_b64 exec, exec, s[12:13]
	v_cmp_nlt_f32_e64 s[12:13], |v36|, s45
                                        ; implicit-def: $vgpr58
	s_and_saveexec_b64 s[76:77], s[12:13]
	s_xor_b64 s[12:13], exec, s[76:77]
	s_cbranch_execz .LBB30_59
; %bb.58:                               ;   in Loop: Header=BB30_49 Depth=2
	v_add_f32_e64 v58, |v36|, |v36|
	v_mul_f32_e32 v59, 0x3fb8aa3b, v58
	v_rndne_f32_e32 v61, v59
	v_sub_f32_e32 v62, v59, v61
	v_fma_f32 v59, v58, s69, -v59
	v_fmac_f32_e32 v59, 0x32a5705f, v58
	v_add_f32_e32 v59, v62, v59
	v_cvt_i32_f32_e32 v61, v61
	v_exp_f32_e32 v59, v59
	v_cmp_ngt_f32_e32 vcc, s92, v58
	v_ldexp_f32 v59, v59, v61
	s_nop 0
	v_cndmask_b32_e32 v59, 0, v59, vcc
	v_cmp_nlt_f32_e32 vcc, s93, v58
	s_nop 1
	v_cndmask_b32_e32 v58, v230, v59, vcc
	v_add_f32_e32 v58, 1.0, v58
	v_rcp_f32_e32 v58, v58
	s_nop 0
	v_fma_f32 v58, v58, -2.0, 1.0
.LBB30_59:                              ;   in Loop: Header=BB30_49 Depth=2
	s_andn2_saveexec_b64 s[12:13], s[12:13]
; %bb.60:                               ;   in Loop: Header=BB30_49 Depth=2
	v_mul_f32_e32 v58, v36, v36
	v_fmamk_f32 v59, v58, 0xbbbac73d, v233
	v_fmaak_f32 v59, v58, v59, 0xbd5c1c4e
	v_fmaak_f32 v59, v58, v59, 0x3e088382
	;; [unrolled: 1-line block ×3, first 2 shown]
	v_mul_f32_e64 v59, |v36|, v59
	v_fma_f32 v58, v58, v59, |v36|
; %bb.61:                               ;   in Loop: Header=BB30_49 Depth=2
	s_or_b64 exec, exec, s[12:13]
	v_cmp_nlt_f32_e64 s[12:13], |v37|, s45
                                        ; implicit-def: $vgpr59
	s_and_saveexec_b64 s[76:77], s[12:13]
	s_xor_b64 s[12:13], exec, s[76:77]
	s_cbranch_execz .LBB30_63
; %bb.62:                               ;   in Loop: Header=BB30_49 Depth=2
	v_add_f32_e64 v59, |v37|, |v37|
	v_mul_f32_e32 v61, 0x3fb8aa3b, v59
	v_rndne_f32_e32 v62, v61
	v_sub_f32_e32 v63, v61, v62
	v_fma_f32 v61, v59, s69, -v61
	v_fmac_f32_e32 v61, 0x32a5705f, v59
	v_add_f32_e32 v61, v63, v61
	v_cvt_i32_f32_e32 v62, v62
	v_exp_f32_e32 v61, v61
	v_cmp_ngt_f32_e32 vcc, s92, v59
	v_ldexp_f32 v61, v61, v62
	s_nop 0
	v_cndmask_b32_e32 v61, 0, v61, vcc
	v_cmp_nlt_f32_e32 vcc, s93, v59
	s_nop 1
	v_cndmask_b32_e32 v59, v230, v61, vcc
	v_add_f32_e32 v59, 1.0, v59
	v_rcp_f32_e32 v59, v59
	s_nop 0
	v_fma_f32 v59, v59, -2.0, 1.0
.LBB30_63:                              ;   in Loop: Header=BB30_49 Depth=2
	s_andn2_saveexec_b64 s[12:13], s[12:13]
; %bb.64:                               ;   in Loop: Header=BB30_49 Depth=2
	v_mul_f32_e32 v59, v37, v37
	v_fmamk_f32 v61, v59, 0xbbbac73d, v233
	v_fmaak_f32 v61, v59, v61, 0xbd5c1c4e
	v_fmaak_f32 v61, v59, v61, 0x3e088382
	;; [unrolled: 1-line block ×3, first 2 shown]
	v_mul_f32_e64 v61, |v37|, v61
	v_fma_f32 v59, v59, v61, |v37|
; %bb.65:                               ;   in Loop: Header=BB30_49 Depth=2
	s_or_b64 exec, exec, s[12:13]
	v_cmp_nlt_f32_e64 s[12:13], |v38|, s45
                                        ; implicit-def: $vgpr61
	s_and_saveexec_b64 s[76:77], s[12:13]
	s_xor_b64 s[12:13], exec, s[76:77]
	s_cbranch_execz .LBB30_67
; %bb.66:                               ;   in Loop: Header=BB30_49 Depth=2
	v_add_f32_e64 v61, |v38|, |v38|
	v_mul_f32_e32 v62, 0x3fb8aa3b, v61
	v_rndne_f32_e32 v63, v62
	v_sub_f32_e32 v69, v62, v63
	v_fma_f32 v62, v61, s69, -v62
	v_fmac_f32_e32 v62, 0x32a5705f, v61
	v_add_f32_e32 v62, v69, v62
	v_cvt_i32_f32_e32 v63, v63
	v_exp_f32_e32 v62, v62
	v_cmp_ngt_f32_e32 vcc, s92, v61
	v_ldexp_f32 v62, v62, v63
	s_nop 0
	v_cndmask_b32_e32 v62, 0, v62, vcc
	v_cmp_nlt_f32_e32 vcc, s93, v61
	s_nop 1
	v_cndmask_b32_e32 v61, v230, v62, vcc
	v_add_f32_e32 v61, 1.0, v61
	v_rcp_f32_e32 v61, v61
	s_nop 0
	v_fma_f32 v61, v61, -2.0, 1.0
.LBB30_67:                              ;   in Loop: Header=BB30_49 Depth=2
	s_andn2_saveexec_b64 s[12:13], s[12:13]
; %bb.68:                               ;   in Loop: Header=BB30_49 Depth=2
	v_mul_f32_e32 v61, v38, v38
	v_fmamk_f32 v62, v61, 0xbbbac73d, v233
	v_fmaak_f32 v62, v61, v62, 0xbd5c1c4e
	v_fmaak_f32 v62, v61, v62, 0x3e088382
	;; [unrolled: 1-line block ×3, first 2 shown]
	v_mul_f32_e64 v62, |v38|, v62
	v_fma_f32 v61, v61, v62, |v38|
; %bb.69:                               ;   in Loop: Header=BB30_49 Depth=2
	s_or_b64 exec, exec, s[12:13]
	v_cmp_nlt_f32_e64 s[12:13], |v39|, s45
                                        ; implicit-def: $vgpr62
	s_and_saveexec_b64 s[76:77], s[12:13]
	s_xor_b64 s[12:13], exec, s[76:77]
	s_cbranch_execz .LBB30_71
; %bb.70:                               ;   in Loop: Header=BB30_49 Depth=2
	v_add_f32_e64 v62, |v39|, |v39|
	v_mul_f32_e32 v63, 0x3fb8aa3b, v62
	v_rndne_f32_e32 v69, v63
	v_sub_f32_e32 v72, v63, v69
	v_fma_f32 v63, v62, s69, -v63
	v_fmac_f32_e32 v63, 0x32a5705f, v62
	v_add_f32_e32 v63, v72, v63
	v_cvt_i32_f32_e32 v69, v69
	v_exp_f32_e32 v63, v63
	v_cmp_ngt_f32_e32 vcc, s92, v62
	v_ldexp_f32 v63, v63, v69
	s_nop 0
	v_cndmask_b32_e32 v63, 0, v63, vcc
	v_cmp_nlt_f32_e32 vcc, s93, v62
	s_nop 1
	v_cndmask_b32_e32 v62, v230, v63, vcc
	v_add_f32_e32 v62, 1.0, v62
	v_rcp_f32_e32 v62, v62
	s_nop 0
	v_fma_f32 v62, v62, -2.0, 1.0
.LBB30_71:                              ;   in Loop: Header=BB30_49 Depth=2
	s_andn2_saveexec_b64 s[12:13], s[12:13]
; %bb.72:                               ;   in Loop: Header=BB30_49 Depth=2
	v_mul_f32_e32 v62, v39, v39
	v_fmamk_f32 v63, v62, 0xbbbac73d, v233
	v_fmaak_f32 v63, v62, v63, 0xbd5c1c4e
	v_fmaak_f32 v63, v62, v63, 0x3e088382
	;; [unrolled: 1-line block ×3, first 2 shown]
	v_mul_f32_e64 v63, |v39|, v63
	v_fma_f32 v62, v62, v63, |v39|
; %bb.73:                               ;   in Loop: Header=BB30_49 Depth=2
	s_or_b64 exec, exec, s[12:13]
	v_cmp_nlt_f32_e64 s[12:13], |v40|, s45
                                        ; implicit-def: $vgpr63
	s_and_saveexec_b64 s[76:77], s[12:13]
	s_xor_b64 s[12:13], exec, s[76:77]
	s_cbranch_execz .LBB30_75
; %bb.74:                               ;   in Loop: Header=BB30_49 Depth=2
	v_add_f32_e64 v63, |v40|, |v40|
	v_mul_f32_e32 v69, 0x3fb8aa3b, v63
	v_rndne_f32_e32 v72, v69
	v_sub_f32_e32 v73, v69, v72
	v_fma_f32 v69, v63, s69, -v69
	v_fmac_f32_e32 v69, 0x32a5705f, v63
	v_add_f32_e32 v69, v73, v69
	v_cvt_i32_f32_e32 v72, v72
	v_exp_f32_e32 v69, v69
	v_cmp_ngt_f32_e32 vcc, s92, v63
	v_ldexp_f32 v69, v69, v72
	s_nop 0
	v_cndmask_b32_e32 v69, 0, v69, vcc
	v_cmp_nlt_f32_e32 vcc, s93, v63
	s_nop 1
	v_cndmask_b32_e32 v63, v230, v69, vcc
	v_add_f32_e32 v63, 1.0, v63
	v_rcp_f32_e32 v63, v63
	s_nop 0
	v_fma_f32 v63, v63, -2.0, 1.0
.LBB30_75:                              ;   in Loop: Header=BB30_49 Depth=2
	s_andn2_saveexec_b64 s[12:13], s[12:13]
; %bb.76:                               ;   in Loop: Header=BB30_49 Depth=2
	v_mul_f32_e32 v63, v40, v40
	v_fmamk_f32 v69, v63, 0xbbbac73d, v233
	v_fmaak_f32 v69, v63, v69, 0xbd5c1c4e
	v_fmaak_f32 v69, v63, v69, 0x3e088382
	;; [unrolled: 1-line block ×3, first 2 shown]
	v_mul_f32_e64 v69, |v40|, v69
	v_fma_f32 v63, v63, v69, |v40|
; %bb.77:                               ;   in Loop: Header=BB30_49 Depth=2
	s_or_b64 exec, exec, s[12:13]
	v_cmp_nlt_f32_e64 s[12:13], |v41|, s45
                                        ; implicit-def: $vgpr69
	s_and_saveexec_b64 s[76:77], s[12:13]
	s_xor_b64 s[12:13], exec, s[76:77]
	s_cbranch_execz .LBB30_79
; %bb.78:                               ;   in Loop: Header=BB30_49 Depth=2
	v_add_f32_e64 v69, |v41|, |v41|
	v_mul_f32_e32 v72, 0x3fb8aa3b, v69
	v_rndne_f32_e32 v73, v72
	v_sub_f32_e32 v76, v72, v73
	v_fma_f32 v72, v69, s69, -v72
	v_fmac_f32_e32 v72, 0x32a5705f, v69
	v_add_f32_e32 v72, v76, v72
	v_cvt_i32_f32_e32 v73, v73
	v_exp_f32_e32 v72, v72
	v_cmp_ngt_f32_e32 vcc, s92, v69
	v_ldexp_f32 v72, v72, v73
	s_nop 0
	v_cndmask_b32_e32 v72, 0, v72, vcc
	v_cmp_nlt_f32_e32 vcc, s93, v69
	s_nop 1
	v_cndmask_b32_e32 v69, v230, v72, vcc
	v_add_f32_e32 v69, 1.0, v69
	v_rcp_f32_e32 v69, v69
	s_nop 0
	v_fma_f32 v69, v69, -2.0, 1.0
.LBB30_79:                              ;   in Loop: Header=BB30_49 Depth=2
	s_andn2_saveexec_b64 s[12:13], s[12:13]
; %bb.80:                               ;   in Loop: Header=BB30_49 Depth=2
	v_mul_f32_e32 v69, v41, v41
	v_fmamk_f32 v72, v69, 0xbbbac73d, v233
	v_fmaak_f32 v72, v69, v72, 0xbd5c1c4e
	v_fmaak_f32 v72, v69, v72, 0x3e088382
	;; [unrolled: 1-line block ×3, first 2 shown]
	v_mul_f32_e64 v72, |v41|, v72
	v_fma_f32 v69, v69, v72, |v41|
; %bb.81:                               ;   in Loop: Header=BB30_49 Depth=2
	s_or_b64 exec, exec, s[12:13]
	v_bfi_b32 v56, s94, v56, v34
	v_add_u32_e32 v34, 0x8400, v191
	v_bfi_b32 v57, s94, v57, v35
	ds_read2_b32 v[34:35], v34 offset1:1
	v_bfi_b32 v37, s94, v59, v37
	v_bfi_b32 v36, s94, v58, v36
	;; [unrolled: 1-line block ×4, first 2 shown]
	s_waitcnt lgkmcnt(0)
	v_fma_mix_f32 v36, s3, v36, v35 op_sel_hi:[0,0,1]
	v_fma_mix_f32 v35, s3, v37, v35 op_sel:[0,0,1] op_sel_hi:[0,0,1]
	ds_read_b32 v37, v198 offset:33792
	v_fma_mix_f32 v56, s3, v56, v34 op_sel_hi:[0,0,1]
	v_fma_mix_f32 v34, s3, v57, v34 op_sel:[0,0,1] op_sel_hi:[0,0,1]
	v_bfi_b32 v40, s94, v63, v40
	v_bfi_b32 v41, s94, v69, v41
	s_waitcnt lgkmcnt(0)
	v_fma_mix_f32 v57, s3, v38, v37 op_sel_hi:[0,0,1]
	ds_read_b32 v38, v199 offset:33792
	v_fma_mix_f32 v37, s3, v39, v37 op_sel:[0,0,1] op_sel_hi:[0,0,1]
	v_add_f32_e32 v39, 0x40051340, v34
	s_mul_hi_i32 s13, s8, s34
	s_mul_i32 s12, s8, s34
	s_waitcnt lgkmcnt(0)
	v_fma_mix_f32 v58, s3, v40, v38 op_sel_hi:[0,0,1]
	v_fma_mix_f32 v41, s3, v41, v38 op_sel:[0,0,1] op_sel_hi:[0,0,1]
	v_add_f32_e32 v38, 0x40051340, v56
	v_max3_f32 v38, v53, v38, v39
	v_add_f32_e32 v39, 0x40051340, v36
	v_add_f32_e32 v40, 0x40051340, v35
	v_max3_f32 v38, v38, v39, v40
	v_add_f32_e32 v39, 0x40051340, v57
	;; [unrolled: 3-line block ×3, first 2 shown]
	v_add_f32_e32 v40, 0x40051340, v41
	v_max3_f32 v38, v38, v39, v40
	ds_bpermute_b32 v39, v226, v38
	s_lshl_b64 s[12:13], s[12:13], 2
	s_add_i32 s74, s74, 1
	s_add_i32 s8, s8, 64
	s_cmp_lt_i32 s74, s62
	s_waitcnt lgkmcnt(0)
	v_max_f32_e32 v39, v39, v39
	v_max_f32_e32 v38, v38, v39
	ds_bpermute_b32 v39, v229, v38
	s_waitcnt lgkmcnt(0)
	v_max_f32_e32 v39, v39, v39
	v_max_f32_e32 v231, v38, v39
	v_sub_f32_e32 v38, v56, v231
	v_mul_f32_e32 v39, 0x3fb8aa3b, v38
	v_fma_f32 v40, v38, s69, -v39
	v_rndne_f32_e32 v56, v39
	v_fmac_f32_e32 v40, 0x32a5705f, v38
	v_sub_f32_e32 v39, v39, v56
	v_add_f32_e32 v39, v39, v40
	v_exp_f32_e32 v39, v39
	v_cvt_i32_f32_e32 v40, v56
	v_cmp_ngt_f32_e32 vcc, s92, v38
	v_sub_f32_e32 v34, v34, v231
	v_sub_f32_e32 v36, v36, v231
	v_ldexp_f32 v39, v39, v40
	v_cndmask_b32_e32 v39, 0, v39, vcc
	v_cmp_nlt_f32_e32 vcc, s93, v38
	v_sub_f32_e32 v35, v35, v231
	s_nop 0
	v_cndmask_b32_e32 v38, v230, v39, vcc
	v_mul_f32_e32 v39, 0x3fb8aa3b, v34
	v_fma_f32 v40, v34, s69, -v39
	v_rndne_f32_e32 v56, v39
	v_fmac_f32_e32 v40, 0x32a5705f, v34
	v_sub_f32_e32 v39, v39, v56
	v_add_f32_e32 v39, v39, v40
	v_exp_f32_e32 v39, v39
	v_cvt_i32_f32_e32 v40, v56
	v_cmp_ngt_f32_e32 vcc, s92, v34
	v_ldexp_f32 v39, v39, v40
	v_mul_f32_e32 v40, 0x3fb8aa3b, v36
	v_fma_f32 v56, v36, s69, -v40
	v_rndne_f32_e32 v59, v40
	v_fmac_f32_e32 v56, 0x32a5705f, v36
	v_sub_f32_e32 v40, v40, v59
	v_add_f32_e32 v40, v40, v56
	v_exp_f32_e32 v40, v40
	v_cvt_i32_f32_e32 v56, v59
	v_cndmask_b32_e32 v39, 0, v39, vcc
	v_cmp_nlt_f32_e32 vcc, s93, v34
	v_ldexp_f32 v40, v40, v56
	s_nop 0
	v_cndmask_b32_e32 v39, v230, v39, vcc
	v_cmp_ngt_f32_e32 vcc, s92, v36
	v_add_f32_e32 v34, v38, v39
	v_cvt_pk_f16_f32 v174, v38, v39
	v_cndmask_b32_e32 v40, 0, v40, vcc
	v_cmp_nlt_f32_e32 vcc, s93, v36
	v_mul_f32_e32 v36, 0x3fb8aa3b, v35
	v_fma_f32 v56, v35, s69, -v36
	v_rndne_f32_e32 v59, v36
	v_fmac_f32_e32 v56, 0x32a5705f, v35
	v_sub_f32_e32 v36, v36, v59
	v_add_f32_e32 v36, v36, v56
	v_exp_f32_e32 v36, v36
	v_cvt_i32_f32_e32 v56, v59
	v_cndmask_b32_e32 v40, v230, v40, vcc
	v_cmp_ngt_f32_e32 vcc, s92, v35
	v_add_f32_e32 v34, v40, v34
	v_ldexp_f32 v36, v36, v56
	v_cndmask_b32_e32 v36, 0, v36, vcc
	v_cmp_nlt_f32_e32 vcc, s93, v35
	v_sub_f32_e32 v35, v57, v231
	s_nop 0
	v_cndmask_b32_e32 v56, v230, v36, vcc
	v_mul_f32_e32 v36, 0x3fb8aa3b, v35
	v_fma_f32 v57, v35, s69, -v36
	v_rndne_f32_e32 v59, v36
	v_fmac_f32_e32 v57, 0x32a5705f, v35
	v_sub_f32_e32 v36, v36, v59
	v_add_f32_e32 v36, v36, v57
	v_exp_f32_e32 v36, v36
	v_cvt_i32_f32_e32 v57, v59
	v_cmp_ngt_f32_e32 vcc, s92, v35
	v_add_f32_e32 v34, v56, v34
	v_cvt_pk_f16_f32 v175, v40, v56
	v_ldexp_f32 v36, v36, v57
	v_cndmask_b32_e32 v36, 0, v36, vcc
	v_cmp_nlt_f32_e32 vcc, s93, v35
	v_sub_f32_e32 v35, v37, v231
	s_nop 0
	v_cndmask_b32_e32 v57, v230, v36, vcc
	v_mul_f32_e32 v36, 0x3fb8aa3b, v35
	v_fma_f32 v37, v35, s69, -v36
	v_rndne_f32_e32 v59, v36
	v_fmac_f32_e32 v37, 0x32a5705f, v35
	v_sub_f32_e32 v36, v36, v59
	v_add_f32_e32 v36, v36, v37
	v_exp_f32_e32 v36, v36
	v_cvt_i32_f32_e32 v37, v59
	v_cmp_ngt_f32_e32 vcc, s92, v35
	v_add_f32_e32 v34, v57, v34
	v_ldexp_f32 v36, v36, v37
	v_cndmask_b32_e32 v36, 0, v36, vcc
	v_cmp_nlt_f32_e32 vcc, s93, v35
	v_sub_f32_e32 v35, v58, v231
	s_nop 0
	v_cndmask_b32_e32 v61, v230, v36, vcc
	v_mul_f32_e32 v36, 0x3fb8aa3b, v35
	v_fma_f32 v37, v35, s69, -v36
	v_rndne_f32_e32 v58, v36
	v_fmac_f32_e32 v37, 0x32a5705f, v35
	v_sub_f32_e32 v36, v36, v58
	v_add_f32_e32 v36, v36, v37
	v_exp_f32_e32 v36, v36
	v_cvt_i32_f32_e32 v37, v58
	v_cmp_ngt_f32_e32 vcc, s92, v35
	v_add_f32_e32 v34, v61, v34
	;; [unrolled: 16-line block ×3, first 2 shown]
	v_ldexp_f32 v36, v36, v37
	v_cndmask_b32_e32 v36, 0, v36, vcc
	v_cmp_nlt_f32_e32 vcc, s93, v35
	s_nop 1
	v_cndmask_b32_e32 v72, v230, v36, vcc
	v_add_f32_e32 v228, v72, v34
	v_sub_f32_e32 v34, v53, v231
	v_mul_f32_e32 v35, 0x3fb8aa3b, v34
	v_fma_f32 v36, v34, s69, -v35
	v_rndne_f32_e32 v37, v35
	v_fmac_f32_e32 v36, 0x32a5705f, v34
	v_sub_f32_e32 v35, v35, v37
	v_add_f32_e32 v35, v35, v36
	v_exp_f32_e32 v35, v35
	v_cvt_i32_f32_e32 v36, v37
	v_cmp_ngt_f32_e32 vcc, s92, v34
	v_ldexp_f32 v35, v35, v36
	s_nop 0
	v_cndmask_b32_e32 v35, 0, v35, vcc
	v_cmp_nlt_f32_e32 vcc, s93, v34
	s_nop 1
	v_cndmask_b32_e32 v35, v230, v35, vcc
	v_cmp_le_f32_e32 vcc, s95, v34
	s_nop 1
	v_cndmask_b32_e32 v34, 0, v35, vcc
	v_fmac_f32_e32 v228, v52, v34
	v_cvt_f16_f32_e32 v34, v34
	v_mul_u32_u24_e32 v34, 0x10001, v34
	v_pk_mul_f16 v49, v49, v34
	v_pk_mul_f16 v48, v48, v34
	;; [unrolled: 1-line block ×32, first 2 shown]
	v_lshl_add_u64 v[34:35], v[150:151], 0, s[12:13]
	v_lshl_add_u64 v[36:37], v[110:111], 2, v[34:35]
	;; [unrolled: 1-line block ×7, first 2 shown]
	global_load_dwordx4 v[34:37], v[36:37], off
	v_lshl_add_u64 v[52:53], v[52:53], 0, v[98:99]
	v_lshl_add_u64 v[64:65], v[64:65], 0, v[98:99]
	v_cvt_pk_f16_f32 v173, v69, v72
	v_cvt_pk_f16_f32 v172, v57, v61
	v_cvt_f32_f16_e32 v218, v43
	v_cvt_f32_f16_sdwa v219, v43 dst_sel:DWORD dst_unused:UNUSED_PAD src0_sel:WORD_1
	v_cvt_f32_f16_e32 v220, v42
	v_cvt_f32_f16_sdwa v221, v42 dst_sel:DWORD dst_unused:UNUSED_PAD src0_sel:WORD_1
	s_waitcnt vmcnt(0)
	ds_write_b128 v188, v[34:37]
	global_load_dwordx4 v[34:37], v[52:53], off
	s_waitcnt vmcnt(0)
	ds_write_b128 v236, v[34:37]
	global_load_dwordx4 v[34:37], v[64:65], off
	;; [unrolled: 3-line block ×3, first 2 shown]
	s_waitcnt vmcnt(0)
	ds_write_b128 v238, v[34:37]
	s_waitcnt lgkmcnt(0)
	s_barrier
	ds_read_u16 v44, v192 offset:528
	ds_read_u16 v52, v192 offset:1056
	v_cvt_f32_f16_e32 v36, v48
	v_cvt_f32_f16_sdwa v37, v48 dst_sel:DWORD dst_unused:UNUSED_PAD src0_sel:WORD_1
	ds_read_u16 v48, v193
	ds_read_u16 v53, v193 offset:32
	v_cvt_f32_f16_e32 v34, v49
	v_cvt_f32_f16_sdwa v35, v49 dst_sel:DWORD dst_unused:UNUSED_PAD src0_sel:WORD_1
	s_waitcnt lgkmcnt(1)
	v_perm_b32 v49, v48, v52, s96
	ds_read_u16 v48, v192
	ds_read_u16 v52, v192 offset:32
	s_waitcnt lgkmcnt(1)
	v_perm_b32 v48, v44, v48, s96
	s_nop 1
	v_mfma_f32_16x16x16_f16 v[34:37], v[48:49], v[174:175], v[34:37]
	ds_read_u16 v38, v192 offset:16896
	ds_read_u16 v40, v192 offset:17424
	;; [unrolled: 1-line block ×4, first 2 shown]
	s_nop 3
	v_cvt_f16_f32_e32 v34, v34
	v_cvt_f16_f32_e32 v35, v35
	;; [unrolled: 1-line block ×4, first 2 shown]
	s_waitcnt lgkmcnt(0)
	v_perm_b32 v39, v44, v39, s96
	v_perm_b32 v38, v40, v38, s96
	ds_read_u16 v44, v192 offset:560
	ds_read_u16 v48, v192 offset:1088
	v_cvt_f32_f16_e32 v34, v34
	v_cvt_f32_f16_e32 v35, v35
	;; [unrolled: 1-line block ×4, first 2 shown]
	s_waitcnt lgkmcnt(1)
	v_perm_b32 v44, v44, v52, s96
	v_cvt_f32_f16_e32 v40, v41
	v_mfma_f32_16x16x16_f16 v[34:37], v[38:39], v[172:173], v[34:37]
	v_cvt_f32_f16_e32 v38, v45
	v_cvt_f32_f16_sdwa v39, v45 dst_sel:DWORD dst_unused:UNUSED_PAD src0_sel:WORD_1
	s_waitcnt lgkmcnt(0)
	v_perm_b32 v45, v53, v48, s96
	v_cvt_f32_f16_sdwa v41, v41 dst_sel:DWORD dst_unused:UNUSED_PAD src0_sel:WORD_1
	s_nop 1
	v_mfma_f32_16x16x16_f16 v[38:41], v[44:45], v[174:175], v[38:41]
	ds_read_u16 v44, v192 offset:16928
	ds_read_u16 v48, v192 offset:17456
	ds_read_u16 v45, v192 offset:17984
	ds_read_u16 v49, v193 offset:16928
	s_nop 3
	v_cvt_f16_f32_e32 v38, v38
	v_cvt_f16_f32_e32 v39, v39
	;; [unrolled: 1-line block ×4, first 2 shown]
	s_waitcnt lgkmcnt(0)
	v_perm_b32 v45, v49, v45, s96
	v_perm_b32 v44, v48, v44, s96
	v_cvt_f32_f16_e32 v38, v38
	v_cvt_f32_f16_e32 v39, v39
	;; [unrolled: 1-line block ×4, first 2 shown]
	s_nop 1
	v_mfma_f32_16x16x16_f16 v[38:41], v[44:45], v[172:173], v[38:41]
	ds_read_u16 v44, v192 offset:64
	ds_read_u16 v45, v192 offset:592
	ds_read_u16 v48, v192 offset:1120
	ds_read_u16 v49, v193 offset:64
	s_waitcnt lgkmcnt(2)
	v_perm_b32 v42, v45, v44, s96
	s_waitcnt lgkmcnt(0)
	v_perm_b32 v43, v49, v48, s96
	ds_read_u16 v48, v192 offset:16960
	ds_read_u16 v52, v192 offset:17488
	;; [unrolled: 1-line block ×4, first 2 shown]
	v_mfma_f32_16x16x16_f16 v[42:45], v[42:43], v[174:175], v[218:221]
	s_waitcnt lgkmcnt(0)
	v_perm_b32 v49, v53, v49, s96
	v_perm_b32 v48, v52, v48, s96
	v_cvt_f32_f16_e32 v218, v47
	s_nop 3
	v_cvt_f16_f32_e32 v42, v42
	v_cvt_f16_f32_e32 v43, v43
	;; [unrolled: 1-line block ×4, first 2 shown]
	v_cvt_f32_f16_e32 v42, v42
	v_cvt_f32_f16_e32 v43, v43
	;; [unrolled: 1-line block ×4, first 2 shown]
	v_cvt_f32_f16_sdwa v219, v47 dst_sel:DWORD dst_unused:UNUSED_PAD src0_sel:WORD_1
	v_cvt_f32_f16_e32 v220, v46
	v_mfma_f32_16x16x16_f16 v[42:45], v[48:49], v[172:173], v[42:45]
	ds_read_u16 v48, v192 offset:96
	ds_read_u16 v49, v192 offset:624
	;; [unrolled: 1-line block ×4, first 2 shown]
	v_cvt_f32_f16_sdwa v221, v46 dst_sel:DWORD dst_unused:UNUSED_PAD src0_sel:WORD_1
	s_waitcnt lgkmcnt(2)
	v_perm_b32 v46, v49, v48, s96
	s_nop 0
	v_cvt_pk_f16_f32 v43, v42, v43
	s_waitcnt lgkmcnt(0)
	v_perm_b32 v47, v53, v52, s96
	ds_read_u16 v52, v192 offset:16992
	ds_read_u16 v56, v192 offset:17520
	ds_read_u16 v53, v192 offset:18048
	ds_read_u16 v57, v193 offset:16992
	v_mfma_f32_16x16x16_f16 v[46:49], v[46:47], v[174:175], v[218:221]
	s_waitcnt lgkmcnt(0)
	v_perm_b32 v53, v57, v53, s96
	v_perm_b32 v52, v56, v52, s96
	v_cvt_f32_f16_e32 v218, v51
	s_nop 3
	v_cvt_f16_f32_e32 v46, v46
	v_cvt_f16_f32_e32 v47, v47
	v_cvt_f16_f32_e32 v48, v48
	v_cvt_f16_f32_e32 v49, v49
	v_cvt_f32_f16_e32 v46, v46
	v_cvt_f32_f16_e32 v47, v47
	v_cvt_f32_f16_e32 v48, v48
	v_cvt_f32_f16_e32 v49, v49
	v_cvt_f32_f16_sdwa v219, v51 dst_sel:DWORD dst_unused:UNUSED_PAD src0_sel:WORD_1
	v_cvt_f32_f16_e32 v220, v50
	v_mfma_f32_16x16x16_f16 v[46:49], v[52:53], v[172:173], v[46:49]
	ds_read_u16 v52, v192 offset:128
	ds_read_u16 v53, v192 offset:656
	ds_read_u16 v56, v192 offset:1184
	ds_read_u16 v57, v193 offset:128
	v_cvt_f32_f16_sdwa v221, v50 dst_sel:DWORD dst_unused:UNUSED_PAD src0_sel:WORD_1
	v_cvt_pk_f16_f32 v42, v44, v45
	s_waitcnt lgkmcnt(2)
	v_perm_b32 v50, v53, v52, s96
	v_cvt_pk_f16_f32 v47, v46, v47
	s_waitcnt lgkmcnt(0)
	v_perm_b32 v51, v57, v56, s96
	ds_read_u16 v56, v192 offset:17024
	ds_read_u16 v60, v192 offset:17552
	ds_read_u16 v57, v192 offset:18080
	ds_read_u16 v61, v193 offset:17024
	v_mfma_f32_16x16x16_f16 v[50:53], v[50:51], v[174:175], v[218:221]
	s_waitcnt lgkmcnt(0)
	v_perm_b32 v57, v61, v57, s96
	v_perm_b32 v56, v60, v56, s96
	v_cvt_f32_f16_e32 v218, v55
	s_nop 3
	v_cvt_f16_f32_e32 v50, v50
	v_cvt_f16_f32_e32 v51, v51
	v_cvt_f16_f32_e32 v52, v52
	v_cvt_f16_f32_e32 v53, v53
	v_cvt_f32_f16_e32 v50, v50
	v_cvt_f32_f16_e32 v51, v51
	v_cvt_f32_f16_e32 v52, v52
	v_cvt_f32_f16_e32 v53, v53
	v_cvt_f32_f16_sdwa v219, v55 dst_sel:DWORD dst_unused:UNUSED_PAD src0_sel:WORD_1
	v_cvt_f32_f16_e32 v220, v54
	v_mfma_f32_16x16x16_f16 v[50:53], v[56:57], v[172:173], v[50:53]
	ds_read_u16 v56, v192 offset:160
	ds_read_u16 v57, v192 offset:688
	ds_read_u16 v60, v192 offset:1216
	ds_read_u16 v61, v193 offset:160
	v_cvt_f32_f16_sdwa v221, v54 dst_sel:DWORD dst_unused:UNUSED_PAD src0_sel:WORD_1
	v_cvt_pk_f16_f32 v46, v48, v49
	s_waitcnt lgkmcnt(2)
	v_perm_b32 v54, v57, v56, s96
	;; [unrolled: 32-line block ×4, first 2 shown]
	v_cvt_pk_f16_f32 v60, v60, v61
	s_waitcnt lgkmcnt(0)
	v_perm_b32 v63, v69, v68, s96
	v_cvt_pk_f16_f32 v45, v38, v39
	v_cvt_pk_f16_f32 v44, v40, v41
	v_mfma_f32_16x16x16_f16 v[218:221], v[62:63], v[174:175], v[218:221]
	ds_read_u16 v62, v192 offset:17120
	ds_read_u16 v63, v192 offset:17648
	ds_read_u16 v72, v192 offset:18176
	ds_read_u16 v73, v193 offset:17120
	v_cvt_pk_f16_f32 v49, v34, v35
	v_cvt_pk_f16_f32 v48, v36, v37
	s_nop 1
	v_cvt_f16_f32_e32 v64, v218
	v_cvt_f16_f32_e32 v65, v219
	v_cvt_f16_f32_e32 v68, v220
	v_cvt_f16_f32_e32 v69, v221
	v_cvt_f32_f16_e32 v218, v64
	v_cvt_f32_f16_e32 v219, v65
	;; [unrolled: 1-line block ×4, first 2 shown]
	s_waitcnt lgkmcnt(0)
	v_perm_b32 v65, v73, v72, s96
	v_perm_b32 v64, v63, v62, s96
	ds_read_u16 v68, v192 offset:256
	ds_read_u16 v69, v192 offset:784
	;; [unrolled: 1-line block ×4, first 2 shown]
	v_mfma_f32_16x16x16_f16 v[62:65], v[64:65], v[172:173], v[218:221]
	s_nop 2
	v_cvt_f32_f16_e32 v218, v67
	v_cvt_f32_f16_sdwa v219, v67 dst_sel:DWORD dst_unused:UNUSED_PAD src0_sel:WORD_1
	v_cvt_f32_f16_e32 v220, v66
	v_cvt_f32_f16_sdwa v221, v66 dst_sel:DWORD dst_unused:UNUSED_PAD src0_sel:WORD_1
	s_waitcnt lgkmcnt(0)
	v_perm_b32 v67, v73, v72, s96
	v_perm_b32 v66, v69, v68, s96
	ds_read_u16 v72, v192 offset:17152
	ds_read_u16 v76, v192 offset:17680
	ds_read_u16 v73, v192 offset:18208
	ds_read_u16 v77, v193 offset:17152
	v_mfma_f32_16x16x16_f16 v[66:69], v[66:67], v[174:175], v[218:221]
	s_waitcnt lgkmcnt(0)
	v_perm_b32 v73, v77, v73, s96
	v_perm_b32 v72, v76, v72, s96
	v_cvt_f32_f16_e32 v218, v71
	s_nop 3
	v_cvt_f16_f32_e32 v66, v66
	v_cvt_f16_f32_e32 v67, v67
	v_cvt_f16_f32_e32 v68, v68
	v_cvt_f16_f32_e32 v69, v69
	v_cvt_f32_f16_e32 v66, v66
	v_cvt_f32_f16_e32 v67, v67
	v_cvt_f32_f16_e32 v68, v68
	v_cvt_f32_f16_e32 v69, v69
	v_cvt_f32_f16_sdwa v219, v71 dst_sel:DWORD dst_unused:UNUSED_PAD src0_sel:WORD_1
	v_cvt_f32_f16_e32 v220, v70
	v_mfma_f32_16x16x16_f16 v[66:69], v[72:73], v[172:173], v[66:69]
	ds_read_u16 v72, v192 offset:288
	ds_read_u16 v73, v192 offset:816
	ds_read_u16 v76, v192 offset:1344
	ds_read_u16 v77, v193 offset:288
	v_cvt_f32_f16_sdwa v221, v70 dst_sel:DWORD dst_unused:UNUSED_PAD src0_sel:WORD_1
	v_cvt_pk_f16_f32 v64, v64, v65
	s_waitcnt lgkmcnt(2)
	v_perm_b32 v70, v73, v72, s96
	v_cvt_pk_f16_f32 v67, v66, v67
	s_waitcnt lgkmcnt(0)
	v_perm_b32 v71, v77, v76, s96
	ds_read_u16 v76, v192 offset:17184
	ds_read_u16 v80, v192 offset:17712
	ds_read_u16 v77, v192 offset:18240
	ds_read_u16 v81, v193 offset:17184
	v_mfma_f32_16x16x16_f16 v[70:73], v[70:71], v[174:175], v[218:221]
	s_waitcnt lgkmcnt(0)
	v_perm_b32 v77, v81, v77, s96
	v_perm_b32 v76, v80, v76, s96
	v_cvt_f32_f16_e32 v218, v75
	s_nop 3
	v_cvt_f16_f32_e32 v70, v70
	v_cvt_f16_f32_e32 v71, v71
	v_cvt_f16_f32_e32 v72, v72
	v_cvt_f16_f32_e32 v73, v73
	v_cvt_f32_f16_e32 v70, v70
	v_cvt_f32_f16_e32 v71, v71
	v_cvt_f32_f16_e32 v72, v72
	v_cvt_f32_f16_e32 v73, v73
	v_cvt_f32_f16_sdwa v219, v75 dst_sel:DWORD dst_unused:UNUSED_PAD src0_sel:WORD_1
	v_cvt_f32_f16_e32 v220, v74
	v_mfma_f32_16x16x16_f16 v[70:73], v[76:77], v[172:173], v[70:73]
	ds_read_u16 v76, v192 offset:320
	ds_read_u16 v77, v192 offset:848
	ds_read_u16 v80, v192 offset:1376
	ds_read_u16 v81, v193 offset:320
	v_cvt_f32_f16_sdwa v221, v74 dst_sel:DWORD dst_unused:UNUSED_PAD src0_sel:WORD_1
	v_cvt_pk_f16_f32 v66, v68, v69
	s_waitcnt lgkmcnt(2)
	v_perm_b32 v74, v77, v76, s96
	v_cvt_pk_f16_f32 v71, v70, v71
	s_waitcnt lgkmcnt(0)
	;; [unrolled: 32-line block ×6, first 2 shown]
	v_perm_b32 v91, v216, v98, s96
	v_cvt_pk_f16_f32 v86, v88, v89
	v_cvt_pk_f16_f32 v68, v62, v63
	v_mfma_f32_16x16x16_f16 v[90:93], v[90:91], v[174:175], v[218:221]
	ds_read_u16 v98, v192 offset:17344
	ds_read_u16 v216, v192 offset:17872
	s_nop 0
	ds_read_u16 v218, v192 offset:18400
	ds_read_u16 v219, v193 offset:17344
	v_cvt_f32_f16_e32 v220, v227
	v_cvt_f32_f16_sdwa v221, v227 dst_sel:DWORD dst_unused:UNUSED_PAD src0_sel:WORD_1
	s_nop 0
	v_cvt_f16_f32_e32 v90, v90
	v_cvt_f16_f32_e32 v91, v91
	v_cvt_f16_f32_e32 v92, v92
	v_cvt_f16_f32_e32 v93, v93
	s_waitcnt lgkmcnt(0)
	v_perm_b32 v219, v219, v218, s96
	v_perm_b32 v218, v216, v98, s96
	ds_read_u16 v98, v192 offset:480
	ds_read_u16 v216, v192 offset:1008
	;; [unrolled: 1-line block ×4, first 2 shown]
	v_cvt_f32_f16_e32 v90, v90
	v_cvt_f32_f16_e32 v91, v91
	;; [unrolled: 1-line block ×4, first 2 shown]
	s_waitcnt lgkmcnt(0)
	v_perm_b32 v223, v223, v222, s96
	v_perm_b32 v222, v216, v98, s96
	v_mfma_f32_16x16x16_f16 v[90:93], v[218:219], v[172:173], v[90:93]
	v_cvt_f32_f16_e32 v218, v224
	v_cvt_f32_f16_sdwa v219, v224 dst_sel:DWORD dst_unused:UNUSED_PAD src0_sel:WORD_1
	v_cvt_pk_f16_f32 v65, v58, v59
	s_nop 0
	v_mfma_f32_16x16x16_f16 v[218:221], v[222:223], v[174:175], v[218:221]
	ds_read_u16 v98, v192 offset:17376
	ds_read_u16 v174, v192 offset:17904
	;; [unrolled: 1-line block ×4, first 2 shown]
	v_cvt_pk_f16_f32 v91, v90, v91
	v_cvt_pk_f16_f32 v90, v92, v93
	s_nop 1
	v_cvt_f16_f32_e32 v175, v218
	v_cvt_f16_f32_e32 v224, v219
	;; [unrolled: 1-line block ×4, first 2 shown]
	v_cvt_f32_f16_e32 v218, v175
	s_waitcnt lgkmcnt(0)
	v_perm_b32 v175, v222, v216, s96
	v_perm_b32 v174, v174, v98, s96
	v_cvt_f32_f16_e32 v219, v224
	v_cvt_f32_f16_e32 v220, v227
	v_cvt_f32_f16_e32 v221, v225
	s_barrier
	s_nop 0
	v_mfma_f32_16x16x16_f16 v[172:175], v[174:175], v[172:173], v[218:221]
	s_nop 7
	v_cvt_pk_f16_f32 v172, v172, v173
	v_cvt_pk_f16_f32 v173, v174, v175
	s_cbranch_scc0 .LBB30_85
; %bb.82:                               ;   in Loop: Header=BB30_49 Depth=2
	v_mov_b32_e32 v52, v228
	v_mov_b32_e32 v53, v231
	s_branch .LBB30_49
.LBB30_83:                              ;   in Loop: Header=BB30_10 Depth=1
	s_cbranch_execz .LBB30_9
	s_branch .LBB30_286
.LBB30_84:                              ;   in Loop: Header=BB30_10 Depth=1
	v_mov_b32_e32 v231, 0xfeffffff
	v_mov_b32_e32 v228, 0
	v_mov_b32_e32 v48, 0
	v_mov_b32_e32 v49, 0
	v_mov_b32_e32 v44, 0
	v_mov_b32_e32 v45, 0
	v_mov_b32_e32 v42, 0
	v_mov_b32_e32 v43, 0
	v_mov_b32_e32 v46, 0
	v_mov_b32_e32 v47, 0
	v_mov_b32_e32 v50, 0
	v_mov_b32_e32 v51, 0
	v_mov_b32_e32 v54, 0
	v_mov_b32_e32 v55, 0
	v_mov_b32_e32 v60, 0
	v_mov_b32_e32 v65, 0
	v_mov_b32_e32 v64, 0
	v_mov_b32_e32 v68, 0
	v_mov_b32_e32 v66, 0
	v_mov_b32_e32 v67, 0
	v_mov_b32_e32 v70, 0
	v_mov_b32_e32 v71, 0
	v_mov_b32_e32 v74, 0
	v_mov_b32_e32 v75, 0
	v_mov_b32_e32 v78, 0
	v_mov_b32_e32 v79, 0
	v_mov_b32_e32 v82, 0
	v_mov_b32_e32 v83, 0
	v_mov_b32_e32 v86, 0
	v_mov_b32_e32 v87, 0
	v_mov_b32_e32 v90, 0
	v_mov_b32_e32 v91, 0
	v_mov_b32_e32 v173, 0
	v_mov_b32_e32 v172, 0
.LBB30_85:                              ;   in Loop: Header=BB30_10 Depth=1
	s_lshl_b32 s8, s74, 6
	s_ashr_i32 s9, s8, 31
	s_lshl_b64 s[12:13], s[8:9], 1
	v_lshl_add_u64 v[34:35], v[154:155], 0, s[12:13]
	v_lshl_add_u64 v[34:35], v[168:169], 1, v[34:35]
	v_lshlrev_b32_e32 v98, 1, v108
	s_mul_hi_i32 s13, s38, s8
	s_mul_i32 s12, s38, s8
	v_lshl_add_u64 v[34:35], v[34:35], 0, v[98:99]
	s_lshl_b64 s[12:13], s[12:13], 2
	global_load_dword v61, v[34:35], off
	v_lshl_add_u64 v[34:35], v[152:153], 0, s[12:13]
	v_lshl_add_u64 v[36:37], v[100:101], 2, v[34:35]
	v_lshlrev_b32_e32 v98, 2, v96
	v_lshl_add_u64 v[38:39], v[102:103], 2, v[34:35]
	v_lshl_add_u64 v[36:37], v[36:37], 0, v[98:99]
	;; [unrolled: 1-line block ×7, first 2 shown]
	global_load_dwordx4 v[34:37], v[36:37], off
	s_nop 0
	global_load_dwordx4 v[38:41], v[38:39], off
	s_nop 0
	global_load_dwordx4 v[56:59], v[52:53], off
	global_load_dwordx4 v[168:171], v[62:63], off
	v_add_u32_e32 v52, 0x4000, v190
	s_waitcnt vmcnt(4)
	ds_write_b32 v197, v61 offset:33792
	s_waitcnt vmcnt(3)
	ds_write_b128 v188, v[34:37]
	s_waitcnt vmcnt(2)
	ds_write_b128 v236, v[38:41]
	;; [unrolled: 2-line block ×4, first 2 shown]
	s_waitcnt lgkmcnt(0)
	s_barrier
	ds_read2_b64 v[34:37], v190 offset1:4
	ds_read2_b64 v[56:59], v52 offset0:64 offset1:68
	s_waitcnt lgkmcnt(1)
	v_mfma_f32_16x16x16_f16 v[38:41], v[34:35], v[30:31], 0
	s_waitcnt lgkmcnt(0)
	v_mfma_f32_16x16x16_f16 v[168:171], v[56:57], v[30:31], 0
	v_mfma_f32_16x16x16_f16 v[34:37], v[36:37], v[32:33], v[38:41]
	;; [unrolled: 1-line block ×3, first 2 shown]
	s_nop 3
	ds_read2_b64 v[38:41], v190 offset0:8 offset1:12
	ds_read2_b64 v[56:59], v52 offset0:72 offset1:76
	s_waitcnt lgkmcnt(1)
	v_mfma_f32_16x16x16_f16 v[34:37], v[38:39], v[26:27], v[34:37]
	s_waitcnt lgkmcnt(0)
	v_mfma_f32_16x16x16_f16 v[30:33], v[56:57], v[26:27], v[30:33]
	v_mfma_f32_16x16x16_f16 v[34:37], v[40:41], v[28:29], v[34:37]
	ds_read2_b64 v[38:41], v52 offset0:80 offset1:84
	v_mfma_f32_16x16x16_f16 v[26:29], v[58:59], v[28:29], v[30:33]
	s_nop 4
	ds_read2_b64 v[30:33], v190 offset0:16 offset1:20
	s_waitcnt lgkmcnt(0)
	v_mfma_f32_16x16x16_f16 v[34:37], v[30:31], v[22:23], v[34:37]
	v_mfma_f32_16x16x16_f16 v[26:29], v[38:39], v[22:23], v[26:29]
	v_mfma_f32_16x16x16_f16 v[30:33], v[32:33], v[24:25], v[34:37]
	v_mfma_f32_16x16x16_f16 v[22:25], v[40:41], v[24:25], v[26:29]
	s_nop 4
	ds_read2_b64 v[34:37], v52 offset0:88 offset1:92
	ds_read2_b64 v[26:29], v190 offset0:24 offset1:28
	s_waitcnt lgkmcnt(0)
	v_mfma_f32_16x16x16_f16 v[30:33], v[26:27], v[18:19], v[30:33]
	v_mfma_f32_16x16x16_f16 v[22:25], v[34:35], v[18:19], v[22:25]
	v_mfma_f32_16x16x16_f16 v[26:29], v[28:29], v[20:21], v[30:33]
	v_mfma_f32_16x16x16_f16 v[18:21], v[36:37], v[20:21], v[22:25]
	s_nop 4
	ds_read2_b64 v[30:33], v52 offset0:96 offset1:100
	;; [unrolled: 8-line block ×5, first 2 shown]
	ds_read2_b64 v[10:13], v190 offset0:56 offset1:60
	s_waitcnt lgkmcnt(0)
	v_mfma_f32_16x16x16_f16 v[14:17], v[10:11], v[2:3], v[14:17]
	s_barrier
	v_mfma_f32_16x16x16_f16 v[22:25], v[18:19], v[2:3], v[6:9]
                                        ; implicit-def: $vgpr10
	v_mfma_f32_16x16x16_f16 v[6:9], v[12:13], v[4:5], v[14:17]
	v_mfma_f32_16x16x16_f16 v[2:5], v[20:21], v[4:5], v[22:25]
	s_nop 6
	v_cmp_nlt_f32_e64 s[12:13], |v6|, s45
	s_and_saveexec_b64 s[74:75], s[12:13]
	s_xor_b64 s[12:13], exec, s[74:75]
	s_cbranch_execz .LBB30_87
; %bb.86:                               ;   in Loop: Header=BB30_10 Depth=1
	v_add_f32_e64 v10, |v6|, |v6|
	v_mul_f32_e32 v11, 0x3fb8aa3b, v10
	v_rndne_f32_e32 v12, v11
	v_sub_f32_e32 v13, v11, v12
	v_fma_f32 v11, v10, s69, -v11
	v_fmac_f32_e32 v11, 0x32a5705f, v10
	v_add_f32_e32 v11, v13, v11
	v_cvt_i32_f32_e32 v12, v12
	v_exp_f32_e32 v11, v11
	v_cmp_ngt_f32_e32 vcc, s92, v10
	v_ldexp_f32 v11, v11, v12
	s_nop 0
	v_cndmask_b32_e32 v11, 0, v11, vcc
	v_cmp_nlt_f32_e32 vcc, s93, v10
	s_nop 1
	v_cndmask_b32_e32 v10, v230, v11, vcc
	v_add_f32_e32 v10, 1.0, v10
	v_rcp_f32_e32 v10, v10
	s_nop 0
	v_fma_f32 v10, v10, -2.0, 1.0
.LBB30_87:                              ;   in Loop: Header=BB30_10 Depth=1
	s_andn2_saveexec_b64 s[12:13], s[12:13]
; %bb.88:                               ;   in Loop: Header=BB30_10 Depth=1
	v_mul_f32_e32 v10, v6, v6
	v_fmamk_f32 v11, v10, 0xbbbac73d, v233
	v_fmaak_f32 v11, v10, v11, 0xbd5c1c4e
	v_fmaak_f32 v11, v10, v11, 0x3e088382
	;; [unrolled: 1-line block ×3, first 2 shown]
	v_mul_f32_e64 v11, |v6|, v11
	v_fma_f32 v10, v10, v11, |v6|
; %bb.89:                               ;   in Loop: Header=BB30_10 Depth=1
	s_or_b64 exec, exec, s[12:13]
	v_cmp_nlt_f32_e64 s[12:13], |v7|, s45
                                        ; implicit-def: $vgpr11
	s_and_saveexec_b64 s[74:75], s[12:13]
	s_xor_b64 s[12:13], exec, s[74:75]
	s_cbranch_execz .LBB30_91
; %bb.90:                               ;   in Loop: Header=BB30_10 Depth=1
	v_add_f32_e64 v11, |v7|, |v7|
	v_mul_f32_e32 v12, 0x3fb8aa3b, v11
	v_rndne_f32_e32 v13, v12
	v_sub_f32_e32 v14, v12, v13
	v_fma_f32 v12, v11, s69, -v12
	v_fmac_f32_e32 v12, 0x32a5705f, v11
	v_add_f32_e32 v12, v14, v12
	v_cvt_i32_f32_e32 v13, v13
	v_exp_f32_e32 v12, v12
	v_cmp_ngt_f32_e32 vcc, s92, v11
	v_ldexp_f32 v12, v12, v13
	s_nop 0
	v_cndmask_b32_e32 v12, 0, v12, vcc
	v_cmp_nlt_f32_e32 vcc, s93, v11
	s_nop 1
	v_cndmask_b32_e32 v11, v230, v12, vcc
	v_add_f32_e32 v11, 1.0, v11
	v_rcp_f32_e32 v11, v11
	s_nop 0
	v_fma_f32 v11, v11, -2.0, 1.0
.LBB30_91:                              ;   in Loop: Header=BB30_10 Depth=1
	s_andn2_saveexec_b64 s[12:13], s[12:13]
; %bb.92:                               ;   in Loop: Header=BB30_10 Depth=1
	v_mul_f32_e32 v11, v7, v7
	v_fmamk_f32 v12, v11, 0xbbbac73d, v233
	v_fmaak_f32 v12, v11, v12, 0xbd5c1c4e
	v_fmaak_f32 v12, v11, v12, 0x3e088382
	;; [unrolled: 1-line block ×3, first 2 shown]
	v_mul_f32_e64 v12, |v7|, v12
	v_fma_f32 v11, v11, v12, |v7|
; %bb.93:                               ;   in Loop: Header=BB30_10 Depth=1
	s_or_b64 exec, exec, s[12:13]
	v_cmp_nlt_f32_e64 s[12:13], |v8|, s45
                                        ; implicit-def: $vgpr12
	s_and_saveexec_b64 s[74:75], s[12:13]
	s_xor_b64 s[12:13], exec, s[74:75]
	s_cbranch_execz .LBB30_95
; %bb.94:                               ;   in Loop: Header=BB30_10 Depth=1
	v_add_f32_e64 v12, |v8|, |v8|
	v_mul_f32_e32 v13, 0x3fb8aa3b, v12
	v_rndne_f32_e32 v14, v13
	v_sub_f32_e32 v15, v13, v14
	v_fma_f32 v13, v12, s69, -v13
	v_fmac_f32_e32 v13, 0x32a5705f, v12
	v_add_f32_e32 v13, v15, v13
	v_cvt_i32_f32_e32 v14, v14
	v_exp_f32_e32 v13, v13
	v_cmp_ngt_f32_e32 vcc, s92, v12
	v_ldexp_f32 v13, v13, v14
	s_nop 0
	v_cndmask_b32_e32 v13, 0, v13, vcc
	v_cmp_nlt_f32_e32 vcc, s93, v12
	s_nop 1
	v_cndmask_b32_e32 v12, v230, v13, vcc
	v_add_f32_e32 v12, 1.0, v12
	v_rcp_f32_e32 v12, v12
	s_nop 0
	v_fma_f32 v12, v12, -2.0, 1.0
.LBB30_95:                              ;   in Loop: Header=BB30_10 Depth=1
	s_andn2_saveexec_b64 s[12:13], s[12:13]
; %bb.96:                               ;   in Loop: Header=BB30_10 Depth=1
	v_mul_f32_e32 v12, v8, v8
	v_fmamk_f32 v13, v12, 0xbbbac73d, v233
	v_fmaak_f32 v13, v12, v13, 0xbd5c1c4e
	v_fmaak_f32 v13, v12, v13, 0x3e088382
	;; [unrolled: 1-line block ×3, first 2 shown]
	v_mul_f32_e64 v13, |v8|, v13
	v_fma_f32 v12, v12, v13, |v8|
; %bb.97:                               ;   in Loop: Header=BB30_10 Depth=1
	s_or_b64 exec, exec, s[12:13]
	v_cmp_nlt_f32_e64 s[12:13], |v9|, s45
                                        ; implicit-def: $vgpr13
	s_and_saveexec_b64 s[74:75], s[12:13]
	s_xor_b64 s[12:13], exec, s[74:75]
	s_cbranch_execz .LBB30_99
; %bb.98:                               ;   in Loop: Header=BB30_10 Depth=1
	v_add_f32_e64 v13, |v9|, |v9|
	v_mul_f32_e32 v14, 0x3fb8aa3b, v13
	v_rndne_f32_e32 v15, v14
	v_sub_f32_e32 v16, v14, v15
	v_fma_f32 v14, v13, s69, -v14
	v_fmac_f32_e32 v14, 0x32a5705f, v13
	v_add_f32_e32 v14, v16, v14
	v_cvt_i32_f32_e32 v15, v15
	v_exp_f32_e32 v14, v14
	v_cmp_ngt_f32_e32 vcc, s92, v13
	v_ldexp_f32 v14, v14, v15
	s_nop 0
	v_cndmask_b32_e32 v14, 0, v14, vcc
	v_cmp_nlt_f32_e32 vcc, s93, v13
	s_nop 1
	v_cndmask_b32_e32 v13, v230, v14, vcc
	v_add_f32_e32 v13, 1.0, v13
	v_rcp_f32_e32 v13, v13
	s_nop 0
	v_fma_f32 v13, v13, -2.0, 1.0
.LBB30_99:                              ;   in Loop: Header=BB30_10 Depth=1
	s_andn2_saveexec_b64 s[12:13], s[12:13]
; %bb.100:                              ;   in Loop: Header=BB30_10 Depth=1
	v_mul_f32_e32 v13, v9, v9
	v_fmamk_f32 v14, v13, 0xbbbac73d, v233
	v_fmaak_f32 v14, v13, v14, 0xbd5c1c4e
	v_fmaak_f32 v14, v13, v14, 0x3e088382
	;; [unrolled: 1-line block ×3, first 2 shown]
	v_mul_f32_e64 v14, |v9|, v14
	v_fma_f32 v13, v13, v14, |v9|
; %bb.101:                              ;   in Loop: Header=BB30_10 Depth=1
	s_or_b64 exec, exec, s[12:13]
	v_cmp_nlt_f32_e64 s[12:13], |v2|, s45
                                        ; implicit-def: $vgpr14
	s_and_saveexec_b64 s[74:75], s[12:13]
	s_xor_b64 s[12:13], exec, s[74:75]
	s_cbranch_execz .LBB30_103
; %bb.102:                              ;   in Loop: Header=BB30_10 Depth=1
	v_add_f32_e64 v14, |v2|, |v2|
	v_mul_f32_e32 v15, 0x3fb8aa3b, v14
	v_rndne_f32_e32 v16, v15
	v_sub_f32_e32 v17, v15, v16
	v_fma_f32 v15, v14, s69, -v15
	v_fmac_f32_e32 v15, 0x32a5705f, v14
	v_add_f32_e32 v15, v17, v15
	v_cvt_i32_f32_e32 v16, v16
	v_exp_f32_e32 v15, v15
	v_cmp_ngt_f32_e32 vcc, s92, v14
	v_ldexp_f32 v15, v15, v16
	s_nop 0
	v_cndmask_b32_e32 v15, 0, v15, vcc
	v_cmp_nlt_f32_e32 vcc, s93, v14
	s_nop 1
	v_cndmask_b32_e32 v14, v230, v15, vcc
	v_add_f32_e32 v14, 1.0, v14
	v_rcp_f32_e32 v14, v14
	s_nop 0
	v_fma_f32 v14, v14, -2.0, 1.0
.LBB30_103:                             ;   in Loop: Header=BB30_10 Depth=1
	s_andn2_saveexec_b64 s[12:13], s[12:13]
; %bb.104:                              ;   in Loop: Header=BB30_10 Depth=1
	v_mul_f32_e32 v14, v2, v2
	v_fmamk_f32 v15, v14, 0xbbbac73d, v233
	v_fmaak_f32 v15, v14, v15, 0xbd5c1c4e
	v_fmaak_f32 v15, v14, v15, 0x3e088382
	;; [unrolled: 1-line block ×3, first 2 shown]
	v_mul_f32_e64 v15, |v2|, v15
	v_fma_f32 v14, v14, v15, |v2|
; %bb.105:                              ;   in Loop: Header=BB30_10 Depth=1
	s_or_b64 exec, exec, s[12:13]
	v_cmp_nlt_f32_e64 s[12:13], |v3|, s45
                                        ; implicit-def: $vgpr15
	s_and_saveexec_b64 s[74:75], s[12:13]
	s_xor_b64 s[12:13], exec, s[74:75]
	s_cbranch_execz .LBB30_107
; %bb.106:                              ;   in Loop: Header=BB30_10 Depth=1
	v_add_f32_e64 v15, |v3|, |v3|
	v_mul_f32_e32 v16, 0x3fb8aa3b, v15
	v_rndne_f32_e32 v17, v16
	v_sub_f32_e32 v18, v16, v17
	v_fma_f32 v16, v15, s69, -v16
	v_fmac_f32_e32 v16, 0x32a5705f, v15
	v_add_f32_e32 v16, v18, v16
	v_cvt_i32_f32_e32 v17, v17
	v_exp_f32_e32 v16, v16
	v_cmp_ngt_f32_e32 vcc, s92, v15
	v_ldexp_f32 v16, v16, v17
	s_nop 0
	v_cndmask_b32_e32 v16, 0, v16, vcc
	v_cmp_nlt_f32_e32 vcc, s93, v15
	s_nop 1
	v_cndmask_b32_e32 v15, v230, v16, vcc
	v_add_f32_e32 v15, 1.0, v15
	v_rcp_f32_e32 v15, v15
	s_nop 0
	v_fma_f32 v15, v15, -2.0, 1.0
.LBB30_107:                             ;   in Loop: Header=BB30_10 Depth=1
	s_andn2_saveexec_b64 s[12:13], s[12:13]
; %bb.108:                              ;   in Loop: Header=BB30_10 Depth=1
	v_mul_f32_e32 v15, v3, v3
	v_fmamk_f32 v16, v15, 0xbbbac73d, v233
	v_fmaak_f32 v16, v15, v16, 0xbd5c1c4e
	v_fmaak_f32 v16, v15, v16, 0x3e088382
	;; [unrolled: 1-line block ×3, first 2 shown]
	v_mul_f32_e64 v16, |v3|, v16
	v_fma_f32 v15, v15, v16, |v3|
; %bb.109:                              ;   in Loop: Header=BB30_10 Depth=1
	s_or_b64 exec, exec, s[12:13]
	v_cmp_nlt_f32_e64 s[12:13], |v4|, s45
                                        ; implicit-def: $vgpr16
	s_and_saveexec_b64 s[74:75], s[12:13]
	s_xor_b64 s[12:13], exec, s[74:75]
	s_cbranch_execz .LBB30_111
; %bb.110:                              ;   in Loop: Header=BB30_10 Depth=1
	v_add_f32_e64 v16, |v4|, |v4|
	v_mul_f32_e32 v17, 0x3fb8aa3b, v16
	v_rndne_f32_e32 v18, v17
	v_sub_f32_e32 v19, v17, v18
	v_fma_f32 v17, v16, s69, -v17
	v_fmac_f32_e32 v17, 0x32a5705f, v16
	v_add_f32_e32 v17, v19, v17
	v_cvt_i32_f32_e32 v18, v18
	v_exp_f32_e32 v17, v17
	v_cmp_ngt_f32_e32 vcc, s92, v16
	v_ldexp_f32 v17, v17, v18
	s_nop 0
	v_cndmask_b32_e32 v17, 0, v17, vcc
	v_cmp_nlt_f32_e32 vcc, s93, v16
	s_nop 1
	v_cndmask_b32_e32 v16, v230, v17, vcc
	v_add_f32_e32 v16, 1.0, v16
	v_rcp_f32_e32 v16, v16
	s_nop 0
	v_fma_f32 v16, v16, -2.0, 1.0
.LBB30_111:                             ;   in Loop: Header=BB30_10 Depth=1
	s_andn2_saveexec_b64 s[12:13], s[12:13]
; %bb.112:                              ;   in Loop: Header=BB30_10 Depth=1
	v_mul_f32_e32 v16, v4, v4
	v_fmamk_f32 v17, v16, 0xbbbac73d, v233
	v_fmaak_f32 v17, v16, v17, 0xbd5c1c4e
	v_fmaak_f32 v17, v16, v17, 0x3e088382
	v_fmaak_f32 v17, v16, v17, 0xbeaaaa99
	v_mul_f32_e64 v17, |v4|, v17
	v_fma_f32 v16, v16, v17, |v4|
; %bb.113:                              ;   in Loop: Header=BB30_10 Depth=1
	s_or_b64 exec, exec, s[12:13]
	v_cmp_nlt_f32_e64 s[12:13], |v5|, s45
                                        ; implicit-def: $vgpr17
	s_and_saveexec_b64 s[74:75], s[12:13]
	s_xor_b64 s[12:13], exec, s[74:75]
	s_cbranch_execz .LBB30_115
; %bb.114:                              ;   in Loop: Header=BB30_10 Depth=1
	v_add_f32_e64 v17, |v5|, |v5|
	v_mul_f32_e32 v18, 0x3fb8aa3b, v17
	v_rndne_f32_e32 v19, v18
	v_sub_f32_e32 v20, v18, v19
	v_fma_f32 v18, v17, s69, -v18
	v_fmac_f32_e32 v18, 0x32a5705f, v17
	v_add_f32_e32 v18, v20, v18
	v_cvt_i32_f32_e32 v19, v19
	v_exp_f32_e32 v18, v18
	v_cmp_ngt_f32_e32 vcc, s92, v17
	v_ldexp_f32 v18, v18, v19
	s_nop 0
	v_cndmask_b32_e32 v18, 0, v18, vcc
	v_cmp_nlt_f32_e32 vcc, s93, v17
	s_nop 1
	v_cndmask_b32_e32 v17, v230, v18, vcc
	v_add_f32_e32 v17, 1.0, v17
	v_rcp_f32_e32 v17, v17
	s_nop 0
	v_fma_f32 v17, v17, -2.0, 1.0
.LBB30_115:                             ;   in Loop: Header=BB30_10 Depth=1
	s_andn2_saveexec_b64 s[12:13], s[12:13]
; %bb.116:                              ;   in Loop: Header=BB30_10 Depth=1
	v_mul_f32_e32 v17, v5, v5
	v_fmamk_f32 v18, v17, 0xbbbac73d, v233
	v_fmaak_f32 v18, v17, v18, 0xbd5c1c4e
	v_fmaak_f32 v18, v17, v18, 0x3e088382
	;; [unrolled: 1-line block ×3, first 2 shown]
	v_mul_f32_e64 v18, |v5|, v18
	v_fma_f32 v17, v17, v18, |v5|
; %bb.117:                              ;   in Loop: Header=BB30_10 Depth=1
	s_or_b64 exec, exec, s[12:13]
	v_bfi_b32 v14, s94, v14, v2
	v_add_u32_e32 v2, 0x8400, v191
	v_bfi_b32 v15, s94, v15, v3
	ds_read2_b32 v[2:3], v2 offset1:1
	v_bfi_b32 v6, s94, v10, v6
	v_bfi_b32 v7, s94, v11, v7
	ds_read_b32 v10, v198 offset:33792
	v_bfi_b32 v4, s94, v16, v4
	s_waitcnt lgkmcnt(1)
	v_fma_mix_f32 v6, s3, v6, v2 op_sel_hi:[0,0,1]
	v_fma_mix_f32 v2, s3, v7, v2 op_sel:[0,0,1] op_sel_hi:[0,0,1]
	ds_read_b32 v7, v199 offset:33792
	v_bfi_b32 v9, s94, v13, v9
	v_bfi_b32 v8, s94, v12, v8
	;; [unrolled: 1-line block ×3, first 2 shown]
	v_fma_mix_f32 v8, s3, v8, v3 op_sel_hi:[0,0,1]
	v_fma_mix_f32 v3, s3, v9, v3 op_sel:[0,0,1] op_sel_hi:[0,0,1]
	s_waitcnt lgkmcnt(0)
	v_fma_mix_f32 v16, s3, v4, v7 op_sel_hi:[0,0,1]
	v_fma_mix_f32 v17, s3, v5, v7 op_sel:[0,0,1] op_sel_hi:[0,0,1]
	v_add_f32_e32 v4, 0x40051340, v6
	v_add_f32_e32 v5, 0x40051340, v2
	v_fma_mix_f32 v9, s3, v14, v10 op_sel_hi:[0,0,1]
	v_fma_mix_f32 v10, s3, v15, v10 op_sel:[0,0,1] op_sel_hi:[0,0,1]
	v_max3_f32 v4, v231, v4, v5
	v_add_f32_e32 v5, 0x40051340, v8
	v_add_f32_e32 v7, 0x40051340, v3
	v_max3_f32 v4, v4, v5, v7
	v_add_f32_e32 v5, 0x40051340, v9
	v_add_f32_e32 v7, 0x40051340, v10
	;; [unrolled: 3-line block ×3, first 2 shown]
	v_max3_f32 v4, v4, v5, v7
	v_and_b32_e32 v5, 64, v234
	v_add_u32_e32 v5, 64, v5
	v_xor_b32_e32 v7, 32, v234
	v_cmp_lt_i32_e32 vcc, v7, v5
	s_mul_hi_i32 s9, s8, s34
	s_mul_i32 s8, s8, s34
	v_cndmask_b32_e32 v7, v234, v7, vcc
	v_lshlrev_b32_e32 v59, 2, v7
	ds_bpermute_b32 v7, v59, v4
	s_lshl_b64 s[8:9], s[8:9], 2
	s_waitcnt lgkmcnt(0)
	v_max_f32_e32 v7, v7, v7
	v_max_f32_e32 v4, v4, v7
	v_xor_b32_e32 v7, 16, v234
	v_cmp_lt_i32_e32 vcc, v7, v5
	s_nop 1
	v_cndmask_b32_e32 v5, v234, v7, vcc
	v_lshlrev_b32_e32 v62, 2, v5
	ds_bpermute_b32 v5, v62, v4
	s_waitcnt lgkmcnt(0)
	v_max_f32_e32 v5, v5, v5
	v_max_f32_e32 v58, v4, v5
	v_sub_f32_e32 v4, v6, v58
	v_mul_f32_e32 v5, 0x3fb8aa3b, v4
	v_fma_f32 v6, v4, s69, -v5
	v_rndne_f32_e32 v7, v5
	v_fmac_f32_e32 v6, 0x32a5705f, v4
	v_sub_f32_e32 v5, v5, v7
	v_add_f32_e32 v5, v5, v6
	v_exp_f32_e32 v5, v5
	v_cvt_i32_f32_e32 v6, v7
	v_cmp_ngt_f32_e32 vcc, s92, v4
	v_sub_f32_e32 v3, v3, v58
	v_sub_f32_e32 v18, v9, v58
	v_ldexp_f32 v5, v5, v6
	v_sub_f32_e32 v6, v2, v58
	v_mul_f32_e32 v2, 0x3fb8aa3b, v6
	v_fma_f32 v7, v6, s69, -v2
	v_rndne_f32_e32 v11, v2
	v_fmac_f32_e32 v7, 0x32a5705f, v6
	v_sub_f32_e32 v2, v2, v11
	v_add_f32_e32 v2, v2, v7
	v_exp_f32_e32 v7, v2
	v_cvt_i32_f32_e32 v11, v11
	v_cndmask_b32_e32 v2, 0, v5, vcc
	v_sub_f32_e32 v5, v8, v58
	v_cmp_nlt_f32_e32 vcc, s93, v4
	v_ldexp_f32 v4, v7, v11
	v_mul_f32_e32 v7, 0x3fb8aa3b, v5
	v_fma_f32 v8, v5, s69, -v7
	v_rndne_f32_e32 v11, v7
	v_fmac_f32_e32 v8, 0x32a5705f, v5
	v_sub_f32_e32 v7, v7, v11
	v_add_f32_e32 v7, v7, v8
	v_exp_f32_e32 v7, v7
	v_cvt_i32_f32_e32 v8, v11
	v_cndmask_b32_e32 v2, v230, v2, vcc
	v_cmp_ngt_f32_e32 vcc, s92, v6
	v_sub_f32_e32 v23, v10, v58
	v_sub_f32_e32 v17, v17, v58
	v_cndmask_b32_e32 v4, 0, v4, vcc
	v_cmp_nlt_f32_e32 vcc, s93, v6
	v_ldexp_f32 v6, v7, v8
	v_mul_f32_e32 v7, 0x3fb8aa3b, v3
	v_fma_f32 v8, v3, s69, -v7
	v_rndne_f32_e32 v11, v7
	v_fmac_f32_e32 v8, 0x32a5705f, v3
	v_sub_f32_e32 v7, v7, v11
	v_add_f32_e32 v7, v7, v8
	v_exp_f32_e32 v7, v7
	v_cvt_i32_f32_e32 v8, v11
	v_cndmask_b32_e32 v20, v230, v4, vcc
	v_cmp_ngt_f32_e32 vcc, s92, v5
	v_add_f32_e32 v4, v2, v20
	s_nop 0
	v_cndmask_b32_e32 v6, 0, v6, vcc
	v_cmp_nlt_f32_e32 vcc, s93, v5
	v_ldexp_f32 v5, v7, v8
	s_nop 0
	v_cndmask_b32_e32 v21, v230, v6, vcc
	v_mul_f32_e32 v6, 0x3fb8aa3b, v18
	v_fma_f32 v7, v18, s69, -v6
	v_rndne_f32_e32 v8, v6
	v_fmac_f32_e32 v7, 0x32a5705f, v18
	v_sub_f32_e32 v6, v6, v8
	v_add_f32_e32 v6, v6, v7
	v_exp_f32_e32 v6, v6
	v_cvt_i32_f32_e32 v7, v8
	v_cmp_ngt_f32_e32 vcc, s92, v3
	v_add_f32_e32 v4, v21, v4
	s_nop 0
	v_cndmask_b32_e32 v5, 0, v5, vcc
	v_cmp_nlt_f32_e32 vcc, s93, v3
	s_nop 1
	v_cndmask_b32_e32 v3, v230, v5, vcc
	v_add_f32_e32 v19, v3, v4
	v_ldexp_f32 v4, v6, v7
	v_cmp_ngt_f32_e32 vcc, s92, v18
	v_cvt_pk_f16_f32 v61, v21, v3
	s_nop 0
	v_cndmask_b32_e32 v22, 0, v4, vcc
	v_mul_f32_e32 v4, 0x3fb8aa3b, v23
	v_fma_f32 v5, v23, s69, -v4
	v_rndne_f32_e32 v24, v4
	v_fmac_f32_e32 v5, 0x32a5705f, v23
	v_sub_f32_e32 v4, v4, v24
	v_add_f32_e32 v4, v4, v5
	v_exp_f32_e32 v25, v4
	v_lshl_add_u64 v[4:5], v[150:151], 0, s[8:9]
	v_lshl_add_u64 v[6:7], v[110:111], 2, v[4:5]
	;; [unrolled: 1-line block ×9, first 2 shown]
	global_load_dwordx4 v[4:7], v[6:7], off
	s_nop 0
	global_load_dwordx4 v[8:11], v[8:9], off
	s_nop 0
	global_load_dwordx4 v[36:39], v[12:13], off
	global_load_dwordx4 v[168:171], v[14:15], off
	v_cmp_nlt_f32_e32 vcc, s93, v18
	v_sub_f32_e32 v15, v16, v58
	v_mul_f32_e32 v16, 0x3fb8aa3b, v15
	v_cndmask_b32_e32 v13, v230, v22, vcc
	v_add_f32_e32 v14, v13, v19
	v_fma_f32 v18, v15, s69, -v16
	v_rndne_f32_e32 v19, v16
	v_fmac_f32_e32 v18, 0x32a5705f, v15
	v_sub_f32_e32 v16, v16, v19
	v_add_f32_e32 v16, v16, v18
	v_exp_f32_e32 v16, v16
	v_cvt_i32_f32_e32 v18, v19
	v_cvt_i32_f32_e32 v12, v24
	v_cmp_ngt_f32_e32 vcc, s92, v23
	s_waitcnt vmcnt(3)
	ds_write_b128 v188, v[4:7]
	s_waitcnt vmcnt(2)
	ds_write_b128 v236, v[8:11]
	;; [unrolled: 2-line block ×4, first 2 shown]
	v_ldexp_f32 v16, v16, v18
	v_mul_f32_e32 v18, 0x3fb8aa3b, v17
	v_fma_f32 v19, v17, s69, -v18
	v_rndne_f32_e32 v22, v18
	v_fmac_f32_e32 v19, 0x32a5705f, v17
	v_sub_f32_e32 v18, v18, v22
	v_ldexp_f32 v12, v25, v12
	v_add_f32_e32 v18, v18, v19
	v_cndmask_b32_e32 v12, 0, v12, vcc
	v_cmp_nlt_f32_e32 vcc, s93, v23
	v_exp_f32_e32 v18, v18
	v_cvt_i32_f32_e32 v19, v22
	v_cndmask_b32_e32 v12, v230, v12, vcc
	v_cmp_ngt_f32_e32 vcc, s92, v15
	s_waitcnt lgkmcnt(0)
	s_barrier
	v_cndmask_b32_e32 v16, 0, v16, vcc
	v_cmp_nlt_f32_e32 vcc, s93, v15
	v_ldexp_f32 v15, v18, v19
	s_nop 0
	v_cndmask_b32_e32 v24, v230, v16, vcc
	v_sub_f32_e32 v16, v231, v58
	v_mul_f32_e32 v18, 0x3fb8aa3b, v16
	v_fma_f32 v19, v16, s69, -v18
	v_rndne_f32_e32 v22, v18
	v_fmac_f32_e32 v19, 0x32a5705f, v16
	v_sub_f32_e32 v18, v18, v22
	v_add_f32_e32 v18, v18, v19
	v_exp_f32_e32 v18, v18
	v_cvt_i32_f32_e32 v19, v22
	v_cmp_ngt_f32_e32 vcc, s92, v17
	v_cmp_ngt_f32_e64 s[8:9], s92, v16
	ds_read_u16 v7, v192 offset:528
	ds_read_u16 v8, v192 offset:1056
	ds_read_u16 v9, v193
	ds_read_u16 v10, v192
	v_cndmask_b32_e32 v15, 0, v15, vcc
	v_cmp_nlt_f32_e32 vcc, s93, v17
	v_ldexp_f32 v17, v18, v19
	v_cndmask_b32_e64 v17, 0, v17, s[8:9]
	v_cmp_nlt_f32_e64 s[8:9], s93, v16
	v_add_f32_e32 v14, v12, v14
	v_add_f32_e32 v14, v24, v14
	v_cndmask_b32_e64 v17, v230, v17, s[8:9]
	v_cmp_le_f32_e64 s[8:9], s95, v16
	v_cndmask_b32_e32 v25, v230, v15, vcc
	v_add_f32_e32 v63, v25, v14
	v_cndmask_b32_e64 v16, 0, v17, s[8:9]
	v_cvt_f16_f32_e32 v17, v16
	s_waitcnt lgkmcnt(1)
	v_perm_b32 v9, v9, v8, s96
	s_waitcnt lgkmcnt(0)
	v_perm_b32 v8, v7, v10, s96
	ds_read_u16 v10, v193 offset:32
	v_mul_u32_u24_e32 v14, 0x10001, v17
	v_pk_mul_f16 v17, v49, v14
	v_pk_mul_f16 v28, v48, v14
	v_cvt_f32_f16_e32 v4, v17
	v_cvt_f32_f16_sdwa v5, v17 dst_sel:DWORD dst_unused:UNUSED_PAD src0_sel:WORD_1
	v_cvt_f32_f16_e32 v6, v28
	v_cvt_f32_f16_sdwa v7, v28 dst_sel:DWORD dst_unused:UNUSED_PAD src0_sel:WORD_1
	v_pk_mul_f16 v26, v60, v14
	v_cvt_pk_f16_f32 v60, v2, v20
	v_cvt_pk_f16_f32 v56, v13, v12
	v_pk_mul_f16 v29, v45, v14
	v_mfma_f32_16x16x16_f16 v[2:5], v[8:9], v[60:61], v[4:7]
	s_nop 2
	ds_read_u16 v6, v192 offset:16896
	ds_read_u16 v7, v192 offset:17952
	;; [unrolled: 1-line block ×4, first 2 shown]
	v_pk_mul_f16 v32, v44, v14
	v_cvt_pk_f16_f32 v57, v24, v25
	v_cvt_f16_f32_e32 v2, v2
	v_cvt_f16_f32_e32 v3, v3
	;; [unrolled: 1-line block ×4, first 2 shown]
	s_waitcnt lgkmcnt(0)
	v_perm_b32 v6, v9, v6, s96
	ds_read_u16 v9, v192 offset:32
	ds_read_u16 v11, v192 offset:1088
	;; [unrolled: 1-line block ×3, first 2 shown]
	v_perm_b32 v7, v8, v7, s96
	v_cvt_f32_f16_e32 v2, v2
	v_cvt_f32_f16_e32 v3, v3
	;; [unrolled: 1-line block ×4, first 2 shown]
	s_waitcnt lgkmcnt(1)
	v_perm_b32 v11, v10, v11, s96
	s_waitcnt lgkmcnt(0)
	v_perm_b32 v10, v12, v9, s96
	v_mfma_f32_16x16x16_f16 v[2:5], v[6:7], v[56:57], v[2:5]
	v_cvt_f32_f16_e32 v6, v29
	v_cvt_f32_f16_sdwa v7, v29 dst_sel:DWORD dst_unused:UNUSED_PAD src0_sel:WORD_1
	v_cvt_f32_f16_e32 v8, v32
	v_cvt_f32_f16_sdwa v9, v32 dst_sel:DWORD dst_unused:UNUSED_PAD src0_sel:WORD_1
	v_pk_mul_f16 v33, v43, v14
	v_pk_mul_f16 v40, v42, v14
	v_mfma_f32_16x16x16_f16 v[6:9], v[10:11], v[60:61], v[6:9]
	ds_read_u16 v10, v192 offset:16928
	ds_read_u16 v11, v192 offset:17984
	;; [unrolled: 1-line block ×4, first 2 shown]
	v_fmac_f32_e32 v63, v228, v16
	v_pk_mul_f16 v16, v47, v14
	s_nop 1
	v_cvt_f16_f32_e32 v6, v6
	v_cvt_f16_f32_e32 v7, v7
	;; [unrolled: 1-line block ×4, first 2 shown]
	s_waitcnt lgkmcnt(0)
	v_perm_b32 v10, v13, v10, s96
	ds_read_u16 v13, v192 offset:64
	ds_read_u16 v17, v192 offset:1120
	ds_read_u16 v20, v193 offset:64
	ds_read_u16 v24, v192 offset:592
	v_perm_b32 v11, v12, v11, s96
	v_cvt_f32_f16_e32 v6, v6
	v_cvt_f32_f16_e32 v7, v7
	;; [unrolled: 1-line block ×4, first 2 shown]
	s_waitcnt lgkmcnt(1)
	v_perm_b32 v21, v20, v17, s96
	s_waitcnt lgkmcnt(0)
	v_perm_b32 v20, v24, v13, s96
	v_mfma_f32_16x16x16_f16 v[6:9], v[10:11], v[56:57], v[6:9]
	v_cvt_f32_f16_e32 v10, v33
	v_cvt_f32_f16_sdwa v11, v33 dst_sel:DWORD dst_unused:UNUSED_PAD src0_sel:WORD_1
	v_cvt_f32_f16_e32 v12, v40
	v_cvt_f32_f16_sdwa v13, v40 dst_sel:DWORD dst_unused:UNUSED_PAD src0_sel:WORD_1
	v_pk_mul_f16 v15, v46, v14
	v_pk_mul_f16 v27, v65, v14
	v_mfma_f32_16x16x16_f16 v[10:13], v[20:21], v[60:61], v[10:13]
	ds_read_u16 v17, v192 offset:16960
	ds_read_u16 v20, v192 offset:18016
	;; [unrolled: 1-line block ×4, first 2 shown]
	v_pk_mul_f16 v30, v64, v14
	v_cvt_f32_f16_e32 v64, v16
	s_nop 1
	v_cvt_f16_f32_e32 v10, v10
	v_cvt_f16_f32_e32 v11, v11
	;; [unrolled: 1-line block ×4, first 2 shown]
	s_waitcnt lgkmcnt(1)
	v_perm_b32 v21, v21, v20, s96
	s_waitcnt lgkmcnt(0)
	v_perm_b32 v20, v24, v17, s96
	v_cvt_f32_f16_e32 v10, v10
	v_cvt_f32_f16_e32 v11, v11
	;; [unrolled: 1-line block ×4, first 2 shown]
	v_cvt_f32_f16_sdwa v65, v16 dst_sel:DWORD dst_unused:UNUSED_PAD src0_sel:WORD_1
	v_pk_mul_f16 v34, v67, v14
	v_mfma_f32_16x16x16_f16 v[10:13], v[20:21], v[56:57], v[10:13]
	ds_read_u16 v20, v192 offset:96
	ds_read_u16 v17, v192 offset:1152
	;; [unrolled: 1-line block ×4, first 2 shown]
	v_pk_mul_f16 v35, v66, v14
	v_cvt_f32_f16_e32 v66, v15
	v_cvt_f32_f16_sdwa v67, v15 dst_sel:DWORD dst_unused:UNUSED_PAD src0_sel:WORD_1
	s_waitcnt lgkmcnt(1)
	v_perm_b32 v17, v21, v17, s96
	s_waitcnt lgkmcnt(0)
	v_perm_b32 v16, v24, v20, s96
	v_pk_mul_f16 v19, v51, v14
	v_pk_mul_f16 v18, v50, v14
	;; [unrolled: 1-line block ×19, first 2 shown]
	v_mfma_f32_16x16x16_f16 v[14:17], v[16:17], v[60:61], v[64:67]
	ds_read_u16 v20, v192 offset:16992
	ds_read_u16 v21, v192 offset:18048
	;; [unrolled: 1-line block ×4, first 2 shown]
	v_cvt_f32_f16_e32 v66, v19
	v_cvt_f32_f16_sdwa v67, v19 dst_sel:DWORD dst_unused:UNUSED_PAD src0_sel:WORD_1
	s_nop 1
	v_cvt_f16_f32_e32 v14, v14
	v_cvt_f16_f32_e32 v15, v15
	;; [unrolled: 1-line block ×4, first 2 shown]
	s_waitcnt lgkmcnt(1)
	v_perm_b32 v21, v24, v21, s96
	s_waitcnt lgkmcnt(0)
	v_perm_b32 v20, v25, v20, s96
	v_cvt_f32_f16_e32 v14, v14
	v_cvt_f32_f16_e32 v15, v15
	;; [unrolled: 1-line block ×4, first 2 shown]
	v_cvt_f16_f32_e32 v24, v4
	v_cvt_f32_f16_e32 v68, v18
	v_mfma_f32_16x16x16_f16 v[14:17], v[20:21], v[56:57], v[14:17]
	ds_read_u16 v4, v192 offset:128
	ds_read_u16 v20, v192 offset:1184
	ds_read_u16 v21, v193 offset:128
	ds_read_u16 v25, v192 offset:656
	v_cvt_f32_f16_sdwa v69, v18 dst_sel:DWORD dst_unused:UNUSED_PAD src0_sel:WORD_1
	v_cvt_f16_f32_e32 v5, v5
	v_cvt_f32_f16_e32 v70, v22
	s_waitcnt lgkmcnt(1)
	v_perm_b32 v21, v21, v20, s96
	s_waitcnt lgkmcnt(0)
	v_perm_b32 v20, v25, v4, s96
	v_perm_b32 v64, v5, v24, s96
	ds_read_u16 v24, v192 offset:17024
	ds_read_u16 v25, v192 offset:18080
	;; [unrolled: 1-line block ×4, first 2 shown]
	v_mfma_f32_16x16x16_f16 v[18:21], v[20:21], v[60:61], v[66:69]
	s_waitcnt lgkmcnt(1)
	v_perm_b32 v25, v28, v25, s96
	s_waitcnt lgkmcnt(0)
	v_perm_b32 v24, v29, v24, s96
	v_cvt_f32_f16_e32 v68, v23
	s_nop 2
	v_cvt_f16_f32_e32 v18, v18
	v_cvt_f16_f32_e32 v19, v19
	;; [unrolled: 1-line block ×4, first 2 shown]
	v_cvt_f32_f16_e32 v18, v18
	v_cvt_f32_f16_e32 v19, v19
	;; [unrolled: 1-line block ×4, first 2 shown]
	v_cvt_f32_f16_sdwa v69, v23 dst_sel:DWORD dst_unused:UNUSED_PAD src0_sel:WORD_1
	v_cvt_f32_f16_sdwa v71, v22 dst_sel:DWORD dst_unused:UNUSED_PAD src0_sel:WORD_1
	v_mfma_f32_16x16x16_f16 v[18:21], v[24:25], v[56:57], v[18:21]
	ds_read_u16 v24, v192 offset:160
	ds_read_u16 v25, v192 offset:1216
	;; [unrolled: 1-line block ×4, first 2 shown]
	v_cvt_f16_f32_e32 v8, v8
	v_cvt_f16_f32_e32 v9, v9
	v_cvt_f32_f16_e32 v74, v27
	s_waitcnt lgkmcnt(1)
	v_perm_b32 v25, v28, v25, s96
	s_waitcnt lgkmcnt(0)
	v_perm_b32 v24, v29, v24, s96
	ds_read_u16 v29, v192 offset:17056
	ds_read_u16 v32, v192 offset:18112
	;; [unrolled: 1-line block ×4, first 2 shown]
	v_mfma_f32_16x16x16_f16 v[22:25], v[24:25], v[60:61], v[68:71]
	v_perm_b32 v8, v9, v8, s96
	v_cvt_f16_f32_e32 v9, v12
	v_cvt_f16_f32_e32 v28, v13
	s_nop 4
	v_cvt_f16_f32_e32 v12, v22
	v_cvt_f16_f32_e32 v13, v23
	;; [unrolled: 1-line block ×4, first 2 shown]
	v_cvt_f32_f16_e32 v22, v12
	v_cvt_f32_f16_e32 v23, v13
	s_waitcnt lgkmcnt(1)
	v_perm_b32 v13, v33, v32, s96
	s_waitcnt lgkmcnt(0)
	v_perm_b32 v12, v36, v29, s96
	v_cvt_f32_f16_e32 v24, v24
	v_cvt_f32_f16_e32 v25, v25
	v_perm_b32 v9, v28, v9, s96
	v_cvt_f32_f16_sdwa v75, v27 dst_sel:DWORD dst_unused:UNUSED_PAD src0_sel:WORD_1
	v_mfma_f32_16x16x16_f16 v[22:25], v[12:13], v[56:57], v[22:25]
	ds_read_u16 v12, v192 offset:192
	ds_read_u16 v13, v192 offset:1248
	;; [unrolled: 1-line block ×4, first 2 shown]
	v_cvt_f32_f16_e32 v76, v26
	v_cvt_f32_f16_sdwa v77, v26 dst_sel:DWORD dst_unused:UNUSED_PAD src0_sel:WORD_1
	ds_read_u16 v32, v192 offset:17088
	ds_read_u16 v33, v192 offset:18144
	;; [unrolled: 1-line block ×4, first 2 shown]
	s_waitcnt lgkmcnt(5)
	v_perm_b32 v13, v28, v13, s96
	s_waitcnt lgkmcnt(4)
	v_perm_b32 v12, v29, v12, s96
	v_cvt_f16_f32_e32 v36, v17
	s_waitcnt lgkmcnt(1)
	v_perm_b32 v33, v37, v33, s96
	v_mfma_f32_16x16x16_f16 v[26:29], v[12:13], v[60:61], v[74:77]
	s_waitcnt lgkmcnt(0)
	v_perm_b32 v32, v40, v32, s96
	v_cvt_f16_f32_e32 v16, v16
	v_cvt_f32_f16_e32 v74, v31
	s_nop 3
	v_cvt_f16_f32_e32 v12, v26
	v_cvt_f16_f32_e32 v13, v27
	;; [unrolled: 1-line block ×4, first 2 shown]
	v_cvt_f32_f16_e32 v26, v12
	v_cvt_f32_f16_e32 v27, v13
	;; [unrolled: 1-line block ×4, first 2 shown]
	v_perm_b32 v12, v36, v16, s96
	v_cvt_f32_f16_sdwa v75, v31 dst_sel:DWORD dst_unused:UNUSED_PAD src0_sel:WORD_1
	v_mfma_f32_16x16x16_f16 v[26:29], v[32:33], v[56:57], v[26:29]
	ds_read_u16 v13, v192 offset:224
	ds_read_u16 v16, v192 offset:1280
	;; [unrolled: 1-line block ×4, first 2 shown]
	v_cvt_f32_f16_e32 v76, v30
	v_cvt_f32_f16_sdwa v77, v30 dst_sel:DWORD dst_unused:UNUSED_PAD src0_sel:WORD_1
	v_cvt_f32_f16_e32 v78, v34
	s_waitcnt lgkmcnt(1)
	v_perm_b32 v33, v32, v16, s96
	s_waitcnt lgkmcnt(0)
	v_perm_b32 v32, v36, v13, s96
	v_cvt_f16_f32_e32 v13, v20
	v_cvt_f16_f32_e32 v16, v21
	v_mfma_f32_16x16x16_f16 v[30:33], v[32:33], v[60:61], v[74:77]
	v_cvt_f32_f16_sdwa v79, v34 dst_sel:DWORD dst_unused:UNUSED_PAD src0_sel:WORD_1
	s_nop 1
	v_perm_b32 v74, v16, v13, s96
	v_cvt_f16_f32_e32 v13, v24
	s_nop 2
	v_cvt_f16_f32_e32 v20, v33
	ds_read_u16 v21, v192 offset:17120
	ds_read_u16 v33, v192 offset:18176
	;; [unrolled: 1-line block ×4, first 2 shown]
	v_cvt_f16_f32_e32 v16, v25
	v_cvt_f16_f32_e32 v30, v30
	;; [unrolled: 1-line block ×3, first 2 shown]
	s_waitcnt lgkmcnt(1)
	v_perm_b32 v41, v36, v33, s96
	s_waitcnt lgkmcnt(0)
	v_perm_b32 v40, v37, v21, s96
	v_cvt_f32_f16_e32 v33, v20
	ds_read_u16 v20, v192 offset:256
	ds_read_u16 v21, v192 offset:1312
	;; [unrolled: 1-line block ×4, first 2 shown]
	v_cvt_f16_f32_e32 v32, v32
	v_cvt_f32_f16_e32 v80, v35
	v_cvt_f32_f16_sdwa v81, v35 dst_sel:DWORD dst_unused:UNUSED_PAD src0_sel:WORD_1
	s_waitcnt lgkmcnt(1)
	v_perm_b32 v21, v24, v21, s96
	s_waitcnt lgkmcnt(0)
	v_perm_b32 v20, v25, v20, s96
	v_cvt_f32_f16_e32 v30, v30
	v_cvt_f32_f16_e32 v31, v31
	;; [unrolled: 1-line block ×3, first 2 shown]
	v_mfma_f32_16x16x16_f16 v[34:37], v[20:21], v[60:61], v[78:81]
	v_perm_b32 v75, v16, v13, s96
	v_cvt_f32_f16_e32 v82, v39
	v_cvt_f32_f16_sdwa v83, v39 dst_sel:DWORD dst_unused:UNUSED_PAD src0_sel:WORD_1
	v_mfma_f32_16x16x16_f16 v[30:33], v[40:41], v[56:57], v[30:33]
	s_nop 3
	v_cvt_f16_f32_e32 v24, v37
	ds_read_u16 v25, v192 offset:17152
	ds_read_u16 v21, v192 offset:18208
	;; [unrolled: 1-line block ×4, first 2 shown]
	v_cvt_f16_f32_e32 v20, v36
	v_cvt_f16_f32_e32 v13, v34
	;; [unrolled: 1-line block ×3, first 2 shown]
	s_waitcnt lgkmcnt(1)
	v_perm_b32 v21, v37, v21, s96
	v_cvt_f32_f16_e32 v36, v20
	s_waitcnt lgkmcnt(0)
	v_perm_b32 v20, v40, v25, s96
	v_cvt_f32_f16_e32 v34, v13
	v_cvt_f32_f16_e32 v35, v16
	;; [unrolled: 1-line block ×4, first 2 shown]
	v_cvt_f32_f16_sdwa v85, v38 dst_sel:DWORD dst_unused:UNUSED_PAD src0_sel:WORD_1
	v_mfma_f32_16x16x16_f16 v[34:37], v[20:21], v[56:57], v[34:37]
	ds_read_u16 v20, v192 offset:288
	ds_read_u16 v21, v192 offset:1344
	;; [unrolled: 1-line block ×4, first 2 shown]
	v_cvt_f16_f32_e32 v13, v28
	v_cvt_f16_f32_e32 v16, v29
	v_cvt_f32_f16_e32 v86, v47
	s_waitcnt lgkmcnt(1)
	v_perm_b32 v21, v24, v21, s96
	s_waitcnt lgkmcnt(0)
	v_perm_b32 v20, v25, v20, s96
	v_perm_b32 v28, v16, v13, s96
	v_cvt_f32_f16_sdwa v87, v47 dst_sel:DWORD dst_unused:UNUSED_PAD src0_sel:WORD_1
	v_mfma_f32_16x16x16_f16 v[38:41], v[20:21], v[60:61], v[82:85]
	v_cvt_f32_f16_e32 v88, v52
	s_nop 1
	v_cvt_f32_f16_e32 v82, v43
	v_cvt_f32_f16_sdwa v83, v43 dst_sel:DWORD dst_unused:UNUSED_PAD src0_sel:WORD_1
	s_nop 2
	v_cvt_f16_f32_e32 v24, v41
	ds_read_u16 v25, v192 offset:17184
	ds_read_u16 v21, v192 offset:18240
	;; [unrolled: 1-line block ×4, first 2 shown]
	v_cvt_f16_f32_e32 v20, v40
	v_cvt_f16_f32_e32 v13, v38
	;; [unrolled: 1-line block ×3, first 2 shown]
	s_waitcnt lgkmcnt(1)
	v_perm_b32 v21, v29, v21, s96
	v_cvt_f32_f16_e32 v40, v20
	s_waitcnt lgkmcnt(0)
	v_perm_b32 v20, v41, v25, s96
	v_cvt_f32_f16_e32 v38, v13
	v_cvt_f32_f16_e32 v39, v16
	;; [unrolled: 1-line block ×4, first 2 shown]
	v_cvt_f32_f16_sdwa v85, v42 dst_sel:DWORD dst_unused:UNUSED_PAD src0_sel:WORD_1
	v_mfma_f32_16x16x16_f16 v[38:41], v[20:21], v[56:57], v[38:41]
	ds_read_u16 v20, v192 offset:320
	ds_read_u16 v21, v192 offset:1376
	;; [unrolled: 1-line block ×4, first 2 shown]
	v_cvt_f16_f32_e32 v13, v32
	v_cvt_f16_f32_e32 v16, v33
	v_cvt_f32_f16_sdwa v89, v52 dst_sel:DWORD dst_unused:UNUSED_PAD src0_sel:WORD_1
	s_waitcnt lgkmcnt(1)
	v_perm_b32 v21, v24, v21, s96
	s_waitcnt lgkmcnt(0)
	v_perm_b32 v20, v25, v20, s96
	v_perm_b32 v29, v16, v13, s96
	v_cvt_f16_f32_e32 v13, v36
	v_mfma_f32_16x16x16_f16 v[42:45], v[20:21], v[60:61], v[82:85]
	v_cvt_f16_f32_e32 v16, v37
	ds_read_u16 v32, v192 offset:17216
	ds_read_u16 v33, v192 offset:18272
	;; [unrolled: 1-line block ×4, first 2 shown]
	v_cvt_f32_f16_e32 v84, v46
	s_nop 1
	v_cvt_f16_f32_e32 v20, v42
	v_cvt_f16_f32_e32 v21, v43
	;; [unrolled: 1-line block ×4, first 2 shown]
	v_cvt_f32_f16_e32 v42, v20
	v_cvt_f32_f16_e32 v43, v21
	s_waitcnt lgkmcnt(1)
	v_perm_b32 v21, v36, v33, s96
	s_waitcnt lgkmcnt(0)
	v_perm_b32 v20, v37, v32, s96
	v_cvt_f32_f16_e32 v44, v24
	v_cvt_f32_f16_e32 v45, v25
	v_perm_b32 v13, v16, v13, s96
	v_cvt_f32_f16_sdwa v85, v46 dst_sel:DWORD dst_unused:UNUSED_PAD src0_sel:WORD_1
	v_mfma_f32_16x16x16_f16 v[42:45], v[20:21], v[56:57], v[42:45]
	ds_read_u16 v16, v192 offset:352
	ds_read_u16 v20, v192 offset:1408
	;; [unrolled: 1-line block ×4, first 2 shown]
	v_cvt_f32_f16_e32 v92, v55
	v_cvt_f32_f16_sdwa v93, v55 dst_sel:DWORD dst_unused:UNUSED_PAD src0_sel:WORD_1
	v_cvt_f16_f32_e32 v65, v2
	s_waitcnt lgkmcnt(1)
	v_perm_b32 v21, v21, v20, s96
	s_waitcnt lgkmcnt(0)
	v_perm_b32 v20, v24, v16, s96
	v_cvt_f16_f32_e32 v16, v40
	v_cvt_f16_f32_e32 v24, v41
	v_mfma_f32_16x16x16_f16 v[46:49], v[20:21], v[60:61], v[84:87]
	v_perm_b32 v16, v24, v16, s96
	s_nop 1
	v_cvt_f32_f16_e32 v84, v51
	v_cvt_f32_f16_sdwa v85, v51 dst_sel:DWORD dst_unused:UNUSED_PAD src0_sel:WORD_1
	s_nop 2
	v_cvt_f16_f32_e32 v32, v49
	ds_read_u16 v33, v192 offset:17248
	ds_read_u16 v40, v192 offset:18304
	;; [unrolled: 1-line block ×4, first 2 shown]
	v_cvt_f16_f32_e32 v20, v46
	v_cvt_f16_f32_e32 v21, v47
	;; [unrolled: 1-line block ×3, first 2 shown]
	v_cvt_f32_f16_e32 v86, v50
	v_cvt_f32_f16_e32 v46, v20
	;; [unrolled: 1-line block ×3, first 2 shown]
	s_waitcnt lgkmcnt(1)
	v_perm_b32 v21, v41, v40, s96
	s_waitcnt lgkmcnt(0)
	v_perm_b32 v20, v49, v33, s96
	v_cvt_f32_f16_e32 v48, v25
	v_cvt_f32_f16_e32 v49, v32
	v_cvt_f32_f16_sdwa v87, v50 dst_sel:DWORD dst_unused:UNUSED_PAD src0_sel:WORD_1
	v_cvt_f16_f32_e32 v33, v45
	v_mfma_f32_16x16x16_f16 v[46:49], v[20:21], v[56:57], v[46:49]
	ds_read_u16 v20, v192 offset:384
	ds_read_u16 v21, v192 offset:1440
	;; [unrolled: 1-line block ×4, first 2 shown]
	v_cvt_f16_f32_e32 v32, v44
	v_cvt_f16_f32_e32 v4, v3
	;; [unrolled: 1-line block ×3, first 2 shown]
	s_waitcnt lgkmcnt(1)
	v_perm_b32 v21, v24, v21, s96
	s_waitcnt lgkmcnt(0)
	v_perm_b32 v20, v25, v20, s96
	ds_read_u16 v45, v192 offset:17280
	ds_read_u16 v25, v192 offset:18336
	;; [unrolled: 1-line block ×4, first 2 shown]
	v_mfma_f32_16x16x16_f16 v[84:87], v[20:21], v[60:61], v[84:87]
	s_waitcnt lgkmcnt(1)
	v_perm_b32 v25, v50, v25, s96
	v_cvt_f16_f32_e32 v66, v7
	v_cvt_f16_f32_e32 v67, v10
	s_nop 3
	v_cvt_f16_f32_e32 v24, v86
	v_cvt_f16_f32_e32 v20, v84
	;; [unrolled: 1-line block ×4, first 2 shown]
	v_cvt_f32_f16_e32 v86, v24
	s_waitcnt lgkmcnt(0)
	v_perm_b32 v24, v51, v45, s96
	v_cvt_f32_f16_e32 v84, v20
	v_cvt_f32_f16_e32 v85, v21
	;; [unrolled: 1-line block ×3, first 2 shown]
	v_perm_b32 v20, v33, v32, s96
	v_cvt_f16_f32_e32 v21, v48
	v_cvt_f16_f32_e32 v32, v49
	v_mfma_f32_16x16x16_f16 v[48:51], v[24:25], v[56:57], v[84:87]
	ds_read_u16 v24, v192 offset:416
	ds_read_u16 v25, v192 offset:1472
	;; [unrolled: 1-line block ×4, first 2 shown]
	v_cvt_f32_f16_e32 v86, v53
	v_cvt_f32_f16_sdwa v87, v53 dst_sel:DWORD dst_unused:UNUSED_PAD src0_sel:WORD_1
	v_perm_b32 v21, v32, v21, s96
	s_waitcnt lgkmcnt(1)
	v_perm_b32 v25, v33, v25, s96
	s_waitcnt lgkmcnt(0)
	v_perm_b32 v24, v44, v24, s96
	ds_read_u16 v44, v192 offset:17312
	ds_read_u16 v45, v192 offset:18368
	ds_read_u16 v52, v193 offset:17312
	ds_read_u16 v53, v192 offset:17840
	v_mfma_f32_16x16x16_f16 v[86:89], v[24:25], v[60:61], v[86:89]
	v_cvt_f16_f32_e32 v68, v11
	v_cvt_f16_f32_e32 v69, v14
	;; [unrolled: 1-line block ×3, first 2 shown]
	s_nop 4
	v_cvt_f16_f32_e32 v24, v86
	v_cvt_f16_f32_e32 v25, v87
	;; [unrolled: 1-line block ×4, first 2 shown]
	v_cvt_f32_f16_e32 v88, v24
	v_cvt_f32_f16_e32 v89, v25
	s_waitcnt lgkmcnt(1)
	v_perm_b32 v25, v52, v45, s96
	s_waitcnt lgkmcnt(0)
	v_perm_b32 v24, v53, v44, s96
	v_cvt_f32_f16_e32 v90, v32
	v_cvt_f32_f16_e32 v91, v33
	v_cvt_f16_f32_e32 v44, v50
	v_cvt_f16_f32_e32 v45, v51
	v_mfma_f32_16x16x16_f16 v[50:53], v[24:25], v[56:57], v[88:91]
	ds_read_u16 v24, v192 offset:448
	ds_read_u16 v25, v192 offset:1504
	;; [unrolled: 1-line block ×4, first 2 shown]
	v_cvt_f32_f16_e32 v90, v54
	v_cvt_f32_f16_sdwa v91, v54 dst_sel:DWORD dst_unused:UNUSED_PAD src0_sel:WORD_1
	s_nop 1
	v_cvt_f16_f32_e32 v98, v53
	s_waitcnt lgkmcnt(1)
	v_perm_b32 v33, v32, v25, s96
	s_waitcnt lgkmcnt(0)
	v_perm_b32 v32, v87, v24, s96
	v_perm_b32 v24, v45, v44, s96
	ds_read_u16 v45, v192 offset:17344
	ds_read_u16 v54, v192 offset:18400
	;; [unrolled: 1-line block ×4, first 2 shown]
	v_mfma_f32_16x16x16_f16 v[90:93], v[32:33], v[60:61], v[90:93]
	v_cvt_f16_f32_e32 v70, v18
	v_cvt_f16_f32_e32 v71, v19
	;; [unrolled: 1-line block ×3, first 2 shown]
	s_nop 4
	v_cvt_f16_f32_e32 v32, v91
	v_cvt_f16_f32_e32 v33, v92
	;; [unrolled: 1-line block ×4, first 2 shown]
	v_cvt_f32_f16_e32 v91, v32
	v_cvt_f32_f16_e32 v92, v33
	s_waitcnt lgkmcnt(1)
	v_perm_b32 v33, v55, v54, s96
	s_waitcnt lgkmcnt(0)
	v_perm_b32 v32, v89, v45, s96
	v_cvt_f32_f16_e32 v90, v25
	v_cvt_f32_f16_e32 v93, v44
	v_cvt_f16_f32_e32 v25, v52
	v_cvt_f16_f32_e32 v77, v23
	v_mfma_f32_16x16x16_f16 v[52:55], v[32:33], v[56:57], v[90:93]
	ds_read_u16 v32, v192 offset:480
	ds_read_u16 v33, v192 offset:1536
	;; [unrolled: 1-line block ×4, first 2 shown]
	v_cvt_f32_f16_e32 v90, v73
	v_cvt_f32_f16_sdwa v91, v73 dst_sel:DWORD dst_unused:UNUSED_PAD src0_sel:WORD_1
	v_cvt_f32_f16_e32 v92, v72
	s_waitcnt lgkmcnt(1)
	v_perm_b32 v45, v44, v33, s96
	s_waitcnt lgkmcnt(0)
	v_perm_b32 v44, v93, v32, s96
	v_cvt_f32_f16_sdwa v93, v72 dst_sel:DWORD dst_unused:UNUSED_PAD src0_sel:WORD_1
	v_cvt_f16_f32_e32 v32, v54
	v_cvt_f16_f32_e32 v33, v55
	v_mfma_f32_16x16x16_f16 v[90:93], v[44:45], v[60:61], v[90:93]
	ds_read_u16 v45, v192 offset:17376
	ds_read_u16 v61, v192 offset:18432
	;; [unrolled: 1-line block ×4, first 2 shown]
	v_perm_b32 v32, v33, v32, s96
	ds_bpermute_b32 v33, v59, v63
	s_nop 1
	v_cvt_f16_f32_e32 v54, v90
	v_cvt_f16_f32_e32 v55, v91
	;; [unrolled: 1-line block ×4, first 2 shown]
	v_cvt_f32_f16_e32 v90, v54
	v_cvt_f32_f16_e32 v91, v55
	s_waitcnt lgkmcnt(2)
	v_perm_b32 v55, v72, v61, s96
	s_waitcnt lgkmcnt(1)
	v_perm_b32 v54, v73, v45, s96
	v_cvt_f32_f16_e32 v92, v60
	v_cvt_f32_f16_e32 v93, v44
	s_waitcnt lgkmcnt(0)
	v_add_f32_e32 v59, v63, v33
	ds_bpermute_b32 v63, v62, v59
	v_mfma_f32_16x16x16_f16 v[54:57], v[54:55], v[56:57], v[90:93]
	v_cvt_f16_f32_e32 v78, v26
	v_cvt_f16_f32_e32 v79, v27
	;; [unrolled: 1-line block ×22, first 2 shown]
	v_cmp_ne_u64_e32 vcc, 0, v[148:149]
	v_perm_b32 v25, v98, v25, s96
	v_perm_b32 v33, v57, v56, s96
	s_waitcnt lgkmcnt(0)
	v_add_f32_e32 v59, v59, v63
	s_and_b64 s[12:13], s[0:1], vcc
	v_perm_b32 v44, v61, v44, s96
	v_perm_b32 v45, v60, v45, s96
	;; [unrolled: 1-line block ×16, first 2 shown]
	s_barrier
	s_and_saveexec_b64 s[8:9], s[12:13]
	s_cbranch_execz .LBB30_119
; %bb.118:                              ;   in Loop: Header=BB30_10 Depth=1
	v_lshlrev_b32_e32 v4, 2, v120
	v_readfirstlane_b32 s12, v148
	v_readfirstlane_b32 s13, v149
	v_cvt_pk_f16_f32 v5, v2, v3
	v_max_f32_e32 v2, v58, v58
	v_cvt_pk_f16_f32 v6, v6, v7
	v_cvt_pk_f16_f32 v7, v10, v11
	v_cvt_pk_f16_f32 v11, v18, v19
	global_load_dword v4, v4, s[12:13]
	v_cvt_pk_f16_f32 v18, v30, v31
	v_cvt_pk_f16_f32 v19, v34, v35
	;; [unrolled: 1-line block ×11, first 2 shown]
	s_waitcnt vmcnt(0)
	v_max_f32_e32 v3, v4, v4
	v_max_f32_e32 v2, v2, v3
	v_sub_f32_e32 v3, v58, v2
	v_sub_f32_e32 v4, v4, v2
	v_mul_f32_e32 v17, 0x3fb8aa3b, v3
	v_mul_f32_e32 v31, 0x3fb8aa3b, v4
	v_fma_f32 v34, v3, s69, -v17
	v_rndne_f32_e32 v35, v17
	v_fma_f32 v36, v4, s69, -v31
	v_rndne_f32_e32 v37, v31
	v_fmac_f32_e32 v34, 0x32a5705f, v3
	v_sub_f32_e32 v17, v17, v35
	v_fmac_f32_e32 v36, 0x32a5705f, v4
	v_sub_f32_e32 v31, v31, v37
	v_add_f32_e32 v17, v17, v34
	v_cvt_i32_f32_e32 v35, v35
	v_add_f32_e32 v31, v31, v36
	v_exp_f32_e32 v17, v17
	v_cvt_i32_f32_e32 v37, v37
	v_exp_f32_e32 v31, v31
	v_cmp_ngt_f32_e32 vcc, s92, v3
	v_ldexp_f32 v17, v17, v35
	v_cvt_pk_f16_f32 v34, v52, v53
	v_ldexp_f32 v31, v31, v37
	v_cndmask_b32_e32 v17, 0, v17, vcc
	v_cmp_ngt_f32_e32 vcc, s92, v4
	s_nop 1
	v_cndmask_b32_e32 v31, 0, v31, vcc
	v_cmp_nlt_f32_e32 vcc, s93, v3
	s_nop 1
	v_cndmask_b32_e32 v17, v230, v17, vcc
	v_cmp_le_f32_e32 vcc, s95, v3
	s_nop 1
	v_cndmask_b32_e32 v17, 0, v17, vcc
	v_cvt_f16_f32_e32 v35, v17
	v_cmp_nlt_f32_e32 vcc, s93, v4
	v_mul_u32_u24_e32 v4, 0x10001, v35
	s_nop 0
	v_cndmask_b32_e32 v3, v230, v31, vcc
	v_fmac_f32_e32 v3, v59, v17
	v_pk_mul_f16 v65, v5, v4
	v_pk_mul_f16 v64, v64, v4
	;; [unrolled: 1-line block ×32, first 2 shown]
	v_mov_b64_e32 v[58:59], v[2:3]
.LBB30_119:                             ;   in Loop: Header=BB30_10 Depth=1
	s_or_b64 exec, exec, s[8:9]
	s_and_saveexec_b64 s[8:9], s[4:5]
; %bb.120:                              ;   in Loop: Header=BB30_10 Depth=1
	v_add_u32_e32 v2, 0, v200
	ds_write2_b32 v2, v58, v59 offset0:64 offset1:65
; %bb.121:                              ;   in Loop: Header=BB30_10 Depth=1
	s_or_b64 exec, exec, s[8:9]
	s_waitcnt lgkmcnt(0)
	s_barrier
	s_and_saveexec_b64 s[8:9], s[10:11]
	s_xor_b64 s[8:9], exec, s[8:9]
	s_cbranch_execz .LBB30_123
; %bb.122:                              ;   in Loop: Header=BB30_10 Depth=1
	s_barrier
                                        ; implicit-def: $vgpr62
.LBB30_123:                             ;   in Loop: Header=BB30_10 Depth=1
	s_andn2_saveexec_b64 s[8:9], s[8:9]
	s_cbranch_execz .LBB30_129
; %bb.124:                              ;   in Loop: Header=BB30_10 Depth=1
	v_add_u32_e32 v3, 0, v201
	ds_read_b64 v[6:7], v3 offset:256
	s_waitcnt lgkmcnt(0)
	s_barrier
	ds_bpermute_b32 v2, v62, v6
	v_max_f32_e32 v4, v6, v6
	s_waitcnt lgkmcnt(0)
	v_max_f32_e32 v2, v2, v2
	v_max_f32_e32 v2, v4, v2
	v_sub_f32_e32 v4, v6, v2
	v_mul_f32_e32 v5, 0x3fb8aa3b, v4
	v_fma_f32 v6, v4, s69, -v5
	v_rndne_f32_e32 v10, v5
	v_fmac_f32_e32 v6, 0x32a5705f, v4
	v_sub_f32_e32 v5, v5, v10
	v_add_f32_e32 v5, v5, v6
	v_cvt_i32_f32_e32 v10, v10
	v_exp_f32_e32 v5, v5
	v_cmp_ngt_f32_e32 vcc, s92, v4
	v_ldexp_f32 v5, v5, v10
	s_nop 0
	v_cndmask_b32_e32 v5, 0, v5, vcc
	v_cmp_nlt_f32_e32 vcc, s93, v4
	s_nop 1
	v_cndmask_b32_e32 v4, v230, v5, vcc
	v_mul_f32_e32 v5, v7, v4
	ds_bpermute_b32 v5, v62, v5
	s_waitcnt lgkmcnt(0)
	v_fmac_f32_e32 v5, v7, v4
	s_and_saveexec_b64 s[12:13], s[6:7]
; %bb.125:                              ;   in Loop: Header=BB30_10 Depth=1
	ds_write_b64 v3, v[4:5] offset:256
; %bb.126:                              ;   in Loop: Header=BB30_10 Depth=1
	s_or_b64 exec, exec, s[12:13]
	s_and_saveexec_b64 s[12:13], s[4:5]
	s_cbranch_execz .LBB30_128
; %bb.127:                              ;   in Loop: Header=BB30_10 Depth=1
	v_mov_b32_e32 v3, v5
	global_store_dwordx2 v[122:123], v[2:3], off
.LBB30_128:                             ;   in Loop: Header=BB30_10 Depth=1
	s_or_b64 exec, exec, s[12:13]
.LBB30_129:                             ;   in Loop: Header=BB30_10 Depth=1
	s_or_b64 exec, exec, s[8:9]
	v_add_u32_e32 v3, v189, v202
	v_add_u32_e32 v2, v232, v97
	ds_write2_b32 v3, v65, v64 offset1:1
	ds_write2_b32 v3, v66, v8 offset0:8 offset1:9
	ds_write2_b32 v3, v67, v9 offset0:16 offset1:17
	;; [unrolled: 1-line block ×7, first 2 shown]
	s_waitcnt lgkmcnt(0)
	s_barrier
	s_and_saveexec_b64 s[12:13], s[0:1]
	s_cbranch_execz .LBB30_207
; %bb.130:                              ;   in Loop: Header=BB30_10 Depth=1
	v_or_b32_e32 v4, v124, v127
	v_cmp_gt_i32_e64 s[8:9], s36, v2
	v_cmp_gt_i32_e32 vcc, s78, v4
	s_and_b64 s[74:75], s[8:9], vcc
	v_mov_b32_e32 v4, 0x47
	s_and_saveexec_b64 s[8:9], s[74:75]
	s_cbranch_execz .LBB30_132
; %bb.131:                              ;   in Loop: Header=BB30_10 Depth=1
	v_mad_u64_u32 v[4:5], s[74:75], v2, s37, v[124:125]
	v_add_u32_e32 v5, v185, v203
	ds_read2st64_b32 v[6:7], v5 offset1:17
	v_add_u32_e32 v5, 0, v203
	ds_read2st64_b32 v[8:9], v5 offset0:1 offset1:18
	v_lshl_add_u32 v4, v4, 7, v94
	v_ashrrev_i32_e32 v5, 31, v4
	s_waitcnt lgkmcnt(1)
	v_cvt_f32_f16_e32 v10, v6
	v_cvt_f32_f16_sdwa v11, v6 dst_sel:DWORD dst_unused:UNUSED_PAD src0_sel:WORD_1
	v_cvt_f32_f16_e32 v6, v7
	v_cvt_f32_f16_sdwa v7, v7 dst_sel:DWORD dst_unused:UNUSED_PAD src0_sel:WORD_1
	v_lshl_add_u64 v[4:5], v[4:5], 3, v[146:147]
	s_waitcnt lgkmcnt(0)
	v_pk_fma_f32 v[10:11], v[8:9], v[10:11], 0 op_sel_hi:[0,1,0]
	v_mov_b32_e32 v8, v9
	v_pk_fma_f32 v[6:7], v[8:9], v[6:7], v[10:11] op_sel_hi:[0,1,1]
	global_store_dwordx2 v[4:5], v[6:7], off
	v_mov_b32_e32 v4, 0
.LBB30_132:                             ;   in Loop: Header=BB30_10 Depth=1
	s_or_b64 exec, exec, s[8:9]
	v_cmp_gt_i32_e64 s[8:9], s97, v4
	s_mov_b64 s[74:75], -1
	s_and_saveexec_b64 s[76:77], s[8:9]
; %bb.133:                              ;   in Loop: Header=BB30_10 Depth=1
	v_cmp_eq_u32_e64 s[8:9], 0, v4
	s_orn2_b64 s[74:75], s[8:9], exec
; %bb.134:                              ;   in Loop: Header=BB30_10 Depth=1
	s_or_b64 exec, exec, s[76:77]
	s_and_b64 exec, exec, s[74:75]
	s_cbranch_execz .LBB30_207
; %bb.135:                              ;   in Loop: Header=BB30_10 Depth=1
	v_add_u32_e32 v5, v204, v97
	v_cmp_gt_i32_e64 s[8:9], s36, v5
	s_and_b64 s[74:75], s[8:9], vcc
	v_mov_b32_e32 v4, 0x47
	s_and_saveexec_b64 s[8:9], s[74:75]
	s_cbranch_execz .LBB30_137
; %bb.136:                              ;   in Loop: Header=BB30_10 Depth=1
	v_mad_u64_u32 v[4:5], s[74:75], v5, s37, v[124:125]
	v_add_u32_e32 v5, v185, v205
	ds_read2st64_b32 v[6:7], v5 offset1:17
	v_add_u32_e32 v5, 0, v205
	ds_read2st64_b32 v[8:9], v5 offset0:1 offset1:18
	v_lshl_add_u32 v4, v4, 7, v94
	v_ashrrev_i32_e32 v5, 31, v4
	s_waitcnt lgkmcnt(1)
	v_cvt_f32_f16_e32 v10, v6
	v_cvt_f32_f16_sdwa v11, v6 dst_sel:DWORD dst_unused:UNUSED_PAD src0_sel:WORD_1
	v_cvt_f32_f16_e32 v6, v7
	v_cvt_f32_f16_sdwa v7, v7 dst_sel:DWORD dst_unused:UNUSED_PAD src0_sel:WORD_1
	v_lshl_add_u64 v[4:5], v[4:5], 3, v[146:147]
	s_waitcnt lgkmcnt(0)
	v_pk_fma_f32 v[10:11], v[8:9], v[10:11], 0 op_sel_hi:[0,1,0]
	v_mov_b32_e32 v8, v9
	v_pk_fma_f32 v[6:7], v[8:9], v[6:7], v[10:11] op_sel_hi:[0,1,1]
	global_store_dwordx2 v[4:5], v[6:7], off
	v_mov_b32_e32 v4, 0
.LBB30_137:                             ;   in Loop: Header=BB30_10 Depth=1
	s_or_b64 exec, exec, s[8:9]
	v_cmp_gt_i32_e64 s[8:9], s97, v4
	s_mov_b64 s[74:75], -1
	s_and_saveexec_b64 s[76:77], s[8:9]
; %bb.138:                              ;   in Loop: Header=BB30_10 Depth=1
	v_cmp_eq_u32_e64 s[8:9], 0, v4
	s_orn2_b64 s[74:75], s[8:9], exec
; %bb.139:                              ;   in Loop: Header=BB30_10 Depth=1
	s_or_b64 exec, exec, s[76:77]
	s_and_b64 exec, exec, s[74:75]
	s_cbranch_execz .LBB30_207
; %bb.140:                              ;   in Loop: Header=BB30_10 Depth=1
	v_add_u32_e32 v5, v206, v97
	v_cmp_gt_i32_e64 s[8:9], s36, v5
	;; [unrolled: 39-line block ×6, first 2 shown]
	s_and_b64 s[74:75], s[8:9], vcc
	v_mov_b32_e32 v4, 0x47
	s_and_saveexec_b64 s[8:9], s[74:75]
	s_cbranch_execz .LBB30_162
; %bb.161:                              ;   in Loop: Header=BB30_10 Depth=1
	v_mad_u64_u32 v[4:5], s[74:75], v5, s37, v[124:125]
	v_add_u32_e32 v5, v185, v215
	ds_read2st64_b32 v[6:7], v5 offset1:17
	v_add_u32_e32 v5, 0, v215
	ds_read2st64_b32 v[8:9], v5 offset0:1 offset1:18
	v_lshl_add_u32 v4, v4, 7, v94
	v_ashrrev_i32_e32 v5, 31, v4
	s_waitcnt lgkmcnt(1)
	v_cvt_f32_f16_e32 v10, v6
	v_cvt_f32_f16_sdwa v11, v6 dst_sel:DWORD dst_unused:UNUSED_PAD src0_sel:WORD_1
	v_cvt_f32_f16_e32 v6, v7
	v_cvt_f32_f16_sdwa v7, v7 dst_sel:DWORD dst_unused:UNUSED_PAD src0_sel:WORD_1
	v_lshl_add_u64 v[4:5], v[4:5], 3, v[146:147]
	s_waitcnt lgkmcnt(0)
	v_pk_fma_f32 v[10:11], v[8:9], v[10:11], 0 op_sel_hi:[0,1,0]
	v_mov_b32_e32 v8, v9
	v_pk_fma_f32 v[6:7], v[8:9], v[6:7], v[10:11] op_sel_hi:[0,1,1]
	global_store_dwordx2 v[4:5], v[6:7], off
	v_mov_b32_e32 v4, 0
.LBB30_162:                             ;   in Loop: Header=BB30_10 Depth=1
	s_or_b64 exec, exec, s[8:9]
	v_cmp_gt_i32_e64 s[8:9], s97, v4
	s_mov_b64 s[74:75], -1
	s_and_saveexec_b64 s[76:77], s[8:9]
; %bb.163:                              ;   in Loop: Header=BB30_10 Depth=1
	v_cmp_eq_u32_e64 s[8:9], 0, v4
	s_orn2_b64 s[74:75], s[8:9], exec
; %bb.164:                              ;   in Loop: Header=BB30_10 Depth=1
	s_or_b64 exec, exec, s[76:77]
	s_and_b64 exec, exec, s[74:75]
	s_cbranch_execz .LBB30_207
; %bb.165:                              ;   in Loop: Header=BB30_10 Depth=1
	scratch_load_dword v4, off, off         ; 4-byte Folded Reload
	s_waitcnt vmcnt(0)
	v_add_u32_e32 v5, v4, v97
	v_cmp_gt_i32_e64 s[8:9], s36, v5
	s_and_b64 s[74:75], s[8:9], vcc
	v_mov_b32_e32 v4, 0x47
	s_and_saveexec_b64 s[8:9], s[74:75]
	s_cbranch_execz .LBB30_167
; %bb.166:                              ;   in Loop: Header=BB30_10 Depth=1
	v_mad_u64_u32 v[4:5], s[74:75], v5, s37, v[124:125]
	v_add_u32_e32 v5, v185, v217
	ds_read2st64_b32 v[6:7], v5 offset1:17
	v_add_u32_e32 v5, 0, v217
	ds_read2st64_b32 v[8:9], v5 offset0:1 offset1:18
	v_lshl_add_u32 v4, v4, 7, v94
	v_ashrrev_i32_e32 v5, 31, v4
	s_waitcnt lgkmcnt(1)
	v_cvt_f32_f16_e32 v10, v6
	v_cvt_f32_f16_sdwa v11, v6 dst_sel:DWORD dst_unused:UNUSED_PAD src0_sel:WORD_1
	v_cvt_f32_f16_e32 v6, v7
	v_cvt_f32_f16_sdwa v7, v7 dst_sel:DWORD dst_unused:UNUSED_PAD src0_sel:WORD_1
	v_lshl_add_u64 v[4:5], v[4:5], 3, v[146:147]
	s_waitcnt lgkmcnt(0)
	v_pk_fma_f32 v[10:11], v[8:9], v[10:11], 0 op_sel_hi:[0,1,0]
	v_mov_b32_e32 v8, v9
	v_pk_fma_f32 v[6:7], v[8:9], v[6:7], v[10:11] op_sel_hi:[0,1,1]
	global_store_dwordx2 v[4:5], v[6:7], off
	v_mov_b32_e32 v4, 0
.LBB30_167:                             ;   in Loop: Header=BB30_10 Depth=1
	s_or_b64 exec, exec, s[8:9]
	v_cmp_gt_i32_e64 s[8:9], s97, v4
	s_mov_b64 s[74:75], -1
	s_and_saveexec_b64 s[76:77], s[8:9]
; %bb.168:                              ;   in Loop: Header=BB30_10 Depth=1
	v_cmp_eq_u32_e64 s[8:9], 0, v4
	s_orn2_b64 s[74:75], s[8:9], exec
; %bb.169:                              ;   in Loop: Header=BB30_10 Depth=1
	s_or_b64 exec, exec, s[76:77]
	s_and_b64 exec, exec, s[74:75]
	s_cbranch_execz .LBB30_207
; %bb.170:                              ;   in Loop: Header=BB30_10 Depth=1
	scratch_load_dword v4, off, off offset:4 ; 4-byte Folded Reload
	s_waitcnt vmcnt(0)
	v_add_u32_e32 v5, v4, v97
	v_cmp_gt_i32_e64 s[8:9], s36, v5
	s_and_b64 s[74:75], s[8:9], vcc
	v_mov_b32_e32 v4, 0x47
	s_and_saveexec_b64 s[8:9], s[74:75]
	s_cbranch_execz .LBB30_172
; %bb.171:                              ;   in Loop: Header=BB30_10 Depth=1
	scratch_load_dword v8, off, off offset:8 ; 4-byte Folded Reload
	v_mad_u64_u32 v[4:5], s[74:75], v5, s37, v[124:125]
	v_lshl_add_u32 v4, v4, 7, v94
	s_waitcnt vmcnt(0)
	v_add_u32_e32 v5, v185, v8
	ds_read2st64_b32 v[6:7], v5 offset1:17
	v_add_u32_e32 v5, 0, v8
	ds_read2st64_b32 v[8:9], v5 offset0:1 offset1:18
	v_ashrrev_i32_e32 v5, 31, v4
	v_lshl_add_u64 v[4:5], v[4:5], 3, v[146:147]
	s_waitcnt lgkmcnt(1)
	v_cvt_f32_f16_e32 v10, v6
	v_cvt_f32_f16_sdwa v11, v6 dst_sel:DWORD dst_unused:UNUSED_PAD src0_sel:WORD_1
	v_cvt_f32_f16_e32 v6, v7
	v_cvt_f32_f16_sdwa v7, v7 dst_sel:DWORD dst_unused:UNUSED_PAD src0_sel:WORD_1
	s_waitcnt lgkmcnt(0)
	v_pk_fma_f32 v[10:11], v[8:9], v[10:11], 0 op_sel_hi:[0,1,0]
	v_mov_b32_e32 v8, v9
	v_pk_fma_f32 v[6:7], v[8:9], v[6:7], v[10:11] op_sel_hi:[0,1,1]
	global_store_dwordx2 v[4:5], v[6:7], off
	v_mov_b32_e32 v4, 0
.LBB30_172:                             ;   in Loop: Header=BB30_10 Depth=1
	s_or_b64 exec, exec, s[8:9]
	v_cmp_gt_i32_e64 s[8:9], s97, v4
	s_mov_b64 s[74:75], -1
	s_and_saveexec_b64 s[76:77], s[8:9]
; %bb.173:                              ;   in Loop: Header=BB30_10 Depth=1
	v_cmp_eq_u32_e64 s[8:9], 0, v4
	s_orn2_b64 s[74:75], s[8:9], exec
; %bb.174:                              ;   in Loop: Header=BB30_10 Depth=1
	s_or_b64 exec, exec, s[76:77]
	s_and_b64 exec, exec, s[74:75]
	s_cbranch_execz .LBB30_207
; %bb.175:                              ;   in Loop: Header=BB30_10 Depth=1
	scratch_load_dword v4, off, off offset:12 ; 4-byte Folded Reload
	s_waitcnt vmcnt(0)
	v_add_u32_e32 v5, v4, v97
	v_cmp_gt_i32_e64 s[8:9], s36, v5
	s_and_b64 s[74:75], s[8:9], vcc
	v_mov_b32_e32 v4, 0x47
	s_and_saveexec_b64 s[8:9], s[74:75]
	s_cbranch_execz .LBB30_177
; %bb.176:                              ;   in Loop: Header=BB30_10 Depth=1
	scratch_load_dword v8, off, off offset:16 ; 4-byte Folded Reload
	v_mad_u64_u32 v[4:5], s[74:75], v5, s37, v[124:125]
	v_lshl_add_u32 v4, v4, 7, v94
	s_waitcnt vmcnt(0)
	v_add_u32_e32 v5, v185, v8
	ds_read2st64_b32 v[6:7], v5 offset1:17
	v_add_u32_e32 v5, 0, v8
	ds_read2st64_b32 v[8:9], v5 offset0:1 offset1:18
	v_ashrrev_i32_e32 v5, 31, v4
	v_lshl_add_u64 v[4:5], v[4:5], 3, v[146:147]
	s_waitcnt lgkmcnt(1)
	v_cvt_f32_f16_e32 v10, v6
	v_cvt_f32_f16_sdwa v11, v6 dst_sel:DWORD dst_unused:UNUSED_PAD src0_sel:WORD_1
	v_cvt_f32_f16_e32 v6, v7
	v_cvt_f32_f16_sdwa v7, v7 dst_sel:DWORD dst_unused:UNUSED_PAD src0_sel:WORD_1
	s_waitcnt lgkmcnt(0)
	v_pk_fma_f32 v[10:11], v[8:9], v[10:11], 0 op_sel_hi:[0,1,0]
	v_mov_b32_e32 v8, v9
	v_pk_fma_f32 v[6:7], v[8:9], v[6:7], v[10:11] op_sel_hi:[0,1,1]
	global_store_dwordx2 v[4:5], v[6:7], off
	v_mov_b32_e32 v4, 0
.LBB30_177:                             ;   in Loop: Header=BB30_10 Depth=1
	s_or_b64 exec, exec, s[8:9]
	v_cmp_gt_i32_e64 s[8:9], s97, v4
	s_mov_b64 s[74:75], -1
	s_and_saveexec_b64 s[76:77], s[8:9]
; %bb.178:                              ;   in Loop: Header=BB30_10 Depth=1
	v_cmp_eq_u32_e64 s[8:9], 0, v4
	s_orn2_b64 s[74:75], s[8:9], exec
; %bb.179:                              ;   in Loop: Header=BB30_10 Depth=1
	s_or_b64 exec, exec, s[76:77]
	s_and_b64 exec, exec, s[74:75]
	s_cbranch_execz .LBB30_207
; %bb.180:                              ;   in Loop: Header=BB30_10 Depth=1
	scratch_load_dword v4, off, off offset:20 ; 4-byte Folded Reload
	s_waitcnt vmcnt(0)
	v_add_u32_e32 v5, v4, v97
	v_cmp_gt_i32_e64 s[8:9], s36, v5
	s_and_b64 s[74:75], s[8:9], vcc
	v_mov_b32_e32 v4, 0x47
	s_and_saveexec_b64 s[8:9], s[74:75]
	s_cbranch_execz .LBB30_182
; %bb.181:                              ;   in Loop: Header=BB30_10 Depth=1
	scratch_load_dword v8, off, off offset:24 ; 4-byte Folded Reload
	v_mad_u64_u32 v[4:5], s[74:75], v5, s37, v[124:125]
	v_lshl_add_u32 v4, v4, 7, v94
	s_waitcnt vmcnt(0)
	v_add_u32_e32 v5, v185, v8
	ds_read2st64_b32 v[6:7], v5 offset1:17
	v_add_u32_e32 v5, 0, v8
	ds_read2st64_b32 v[8:9], v5 offset0:1 offset1:18
	v_ashrrev_i32_e32 v5, 31, v4
	v_lshl_add_u64 v[4:5], v[4:5], 3, v[146:147]
	s_waitcnt lgkmcnt(1)
	v_cvt_f32_f16_e32 v10, v6
	v_cvt_f32_f16_sdwa v11, v6 dst_sel:DWORD dst_unused:UNUSED_PAD src0_sel:WORD_1
	v_cvt_f32_f16_e32 v6, v7
	v_cvt_f32_f16_sdwa v7, v7 dst_sel:DWORD dst_unused:UNUSED_PAD src0_sel:WORD_1
	s_waitcnt lgkmcnt(0)
	v_pk_fma_f32 v[10:11], v[8:9], v[10:11], 0 op_sel_hi:[0,1,0]
	v_mov_b32_e32 v8, v9
	v_pk_fma_f32 v[6:7], v[8:9], v[6:7], v[10:11] op_sel_hi:[0,1,1]
	global_store_dwordx2 v[4:5], v[6:7], off
	v_mov_b32_e32 v4, 0
.LBB30_182:                             ;   in Loop: Header=BB30_10 Depth=1
	s_or_b64 exec, exec, s[8:9]
	v_cmp_gt_i32_e64 s[8:9], s97, v4
	s_mov_b64 s[74:75], -1
	s_and_saveexec_b64 s[76:77], s[8:9]
; %bb.183:                              ;   in Loop: Header=BB30_10 Depth=1
	v_cmp_eq_u32_e64 s[8:9], 0, v4
	s_orn2_b64 s[74:75], s[8:9], exec
; %bb.184:                              ;   in Loop: Header=BB30_10 Depth=1
	s_or_b64 exec, exec, s[76:77]
	s_and_b64 exec, exec, s[74:75]
	s_cbranch_execz .LBB30_207
; %bb.185:                              ;   in Loop: Header=BB30_10 Depth=1
	scratch_load_dword v4, off, off offset:28 ; 4-byte Folded Reload
	s_waitcnt vmcnt(0)
	v_add_u32_e32 v5, v4, v97
	v_cmp_gt_i32_e64 s[8:9], s36, v5
	s_and_b64 s[74:75], s[8:9], vcc
	v_mov_b32_e32 v4, 0x47
	s_and_saveexec_b64 s[8:9], s[74:75]
	s_cbranch_execz .LBB30_187
; %bb.186:                              ;   in Loop: Header=BB30_10 Depth=1
	scratch_load_dword v8, off, off offset:32 ; 4-byte Folded Reload
	v_mad_u64_u32 v[4:5], s[74:75], v5, s37, v[124:125]
	v_lshl_add_u32 v4, v4, 7, v94
	s_waitcnt vmcnt(0)
	v_add_u32_e32 v5, v185, v8
	ds_read2st64_b32 v[6:7], v5 offset1:17
	v_add_u32_e32 v5, 0, v8
	ds_read2st64_b32 v[8:9], v5 offset0:1 offset1:18
	v_ashrrev_i32_e32 v5, 31, v4
	v_lshl_add_u64 v[4:5], v[4:5], 3, v[146:147]
	s_waitcnt lgkmcnt(1)
	v_cvt_f32_f16_e32 v10, v6
	v_cvt_f32_f16_sdwa v11, v6 dst_sel:DWORD dst_unused:UNUSED_PAD src0_sel:WORD_1
	v_cvt_f32_f16_e32 v6, v7
	v_cvt_f32_f16_sdwa v7, v7 dst_sel:DWORD dst_unused:UNUSED_PAD src0_sel:WORD_1
	s_waitcnt lgkmcnt(0)
	v_pk_fma_f32 v[10:11], v[8:9], v[10:11], 0 op_sel_hi:[0,1,0]
	v_mov_b32_e32 v8, v9
	v_pk_fma_f32 v[6:7], v[8:9], v[6:7], v[10:11] op_sel_hi:[0,1,1]
	global_store_dwordx2 v[4:5], v[6:7], off
	v_mov_b32_e32 v4, 0
.LBB30_187:                             ;   in Loop: Header=BB30_10 Depth=1
	s_or_b64 exec, exec, s[8:9]
	v_cmp_gt_i32_e64 s[8:9], s97, v4
	s_mov_b64 s[74:75], -1
	s_and_saveexec_b64 s[76:77], s[8:9]
; %bb.188:                              ;   in Loop: Header=BB30_10 Depth=1
	v_cmp_eq_u32_e64 s[8:9], 0, v4
	s_orn2_b64 s[74:75], s[8:9], exec
; %bb.189:                              ;   in Loop: Header=BB30_10 Depth=1
	s_or_b64 exec, exec, s[76:77]
	s_and_b64 exec, exec, s[74:75]
	s_cbranch_execz .LBB30_207
; %bb.190:                              ;   in Loop: Header=BB30_10 Depth=1
	scratch_load_dword v4, off, off offset:36 ; 4-byte Folded Reload
	s_waitcnt vmcnt(0)
	v_add_u32_e32 v5, v4, v97
	v_cmp_gt_i32_e64 s[8:9], s36, v5
	s_and_b64 s[74:75], s[8:9], vcc
	v_mov_b32_e32 v4, 0x47
	s_and_saveexec_b64 s[8:9], s[74:75]
	s_cbranch_execz .LBB30_192
; %bb.191:                              ;   in Loop: Header=BB30_10 Depth=1
	scratch_load_dword v8, off, off offset:40 ; 4-byte Folded Reload
	v_mad_u64_u32 v[4:5], s[74:75], v5, s37, v[124:125]
	v_lshl_add_u32 v4, v4, 7, v94
	s_waitcnt vmcnt(0)
	v_add_u32_e32 v5, v185, v8
	ds_read2st64_b32 v[6:7], v5 offset1:17
	v_add_u32_e32 v5, 0, v8
	ds_read2st64_b32 v[8:9], v5 offset0:1 offset1:18
	v_ashrrev_i32_e32 v5, 31, v4
	v_lshl_add_u64 v[4:5], v[4:5], 3, v[146:147]
	s_waitcnt lgkmcnt(1)
	v_cvt_f32_f16_e32 v10, v6
	v_cvt_f32_f16_sdwa v11, v6 dst_sel:DWORD dst_unused:UNUSED_PAD src0_sel:WORD_1
	v_cvt_f32_f16_e32 v6, v7
	v_cvt_f32_f16_sdwa v7, v7 dst_sel:DWORD dst_unused:UNUSED_PAD src0_sel:WORD_1
	s_waitcnt lgkmcnt(0)
	v_pk_fma_f32 v[10:11], v[8:9], v[10:11], 0 op_sel_hi:[0,1,0]
	v_mov_b32_e32 v8, v9
	v_pk_fma_f32 v[6:7], v[8:9], v[6:7], v[10:11] op_sel_hi:[0,1,1]
	global_store_dwordx2 v[4:5], v[6:7], off
	v_mov_b32_e32 v4, 0
.LBB30_192:                             ;   in Loop: Header=BB30_10 Depth=1
	s_or_b64 exec, exec, s[8:9]
	v_cmp_gt_i32_e64 s[8:9], s97, v4
	s_mov_b64 s[74:75], -1
	s_and_saveexec_b64 s[76:77], s[8:9]
; %bb.193:                              ;   in Loop: Header=BB30_10 Depth=1
	v_cmp_eq_u32_e64 s[8:9], 0, v4
	s_orn2_b64 s[74:75], s[8:9], exec
; %bb.194:                              ;   in Loop: Header=BB30_10 Depth=1
	s_or_b64 exec, exec, s[76:77]
	s_and_b64 exec, exec, s[74:75]
	s_cbranch_execz .LBB30_207
; %bb.195:                              ;   in Loop: Header=BB30_10 Depth=1
	scratch_load_dword v4, off, off offset:44 ; 4-byte Folded Reload
	s_waitcnt vmcnt(0)
	v_add_u32_e32 v5, v4, v97
	v_cmp_gt_i32_e64 s[8:9], s36, v5
	s_and_b64 s[74:75], s[8:9], vcc
	v_mov_b32_e32 v4, 0x47
	s_and_saveexec_b64 s[8:9], s[74:75]
	s_cbranch_execz .LBB30_197
; %bb.196:                              ;   in Loop: Header=BB30_10 Depth=1
	scratch_load_dword v8, off, off offset:48 ; 4-byte Folded Reload
	v_mad_u64_u32 v[4:5], s[74:75], v5, s37, v[124:125]
	v_lshl_add_u32 v4, v4, 7, v94
	s_waitcnt vmcnt(0)
	v_add_u32_e32 v5, v185, v8
	ds_read2st64_b32 v[6:7], v5 offset1:17
	v_add_u32_e32 v5, 0, v8
	ds_read2st64_b32 v[8:9], v5 offset0:1 offset1:18
	v_ashrrev_i32_e32 v5, 31, v4
	v_lshl_add_u64 v[4:5], v[4:5], 3, v[146:147]
	s_waitcnt lgkmcnt(1)
	v_cvt_f32_f16_e32 v10, v6
	v_cvt_f32_f16_sdwa v11, v6 dst_sel:DWORD dst_unused:UNUSED_PAD src0_sel:WORD_1
	v_cvt_f32_f16_e32 v6, v7
	v_cvt_f32_f16_sdwa v7, v7 dst_sel:DWORD dst_unused:UNUSED_PAD src0_sel:WORD_1
	s_waitcnt lgkmcnt(0)
	v_pk_fma_f32 v[10:11], v[8:9], v[10:11], 0 op_sel_hi:[0,1,0]
	v_mov_b32_e32 v8, v9
	v_pk_fma_f32 v[6:7], v[8:9], v[6:7], v[10:11] op_sel_hi:[0,1,1]
	global_store_dwordx2 v[4:5], v[6:7], off
	v_mov_b32_e32 v4, 0
.LBB30_197:                             ;   in Loop: Header=BB30_10 Depth=1
	s_or_b64 exec, exec, s[8:9]
	v_cmp_gt_i32_e64 s[8:9], s97, v4
	s_mov_b64 s[74:75], -1
	s_and_saveexec_b64 s[76:77], s[8:9]
; %bb.198:                              ;   in Loop: Header=BB30_10 Depth=1
	v_cmp_eq_u32_e64 s[8:9], 0, v4
	s_orn2_b64 s[74:75], s[8:9], exec
; %bb.199:                              ;   in Loop: Header=BB30_10 Depth=1
	s_or_b64 exec, exec, s[76:77]
	s_and_b64 exec, exec, s[74:75]
	s_cbranch_execz .LBB30_207
; %bb.200:                              ;   in Loop: Header=BB30_10 Depth=1
	scratch_load_dword v4, off, off offset:52 ; 4-byte Folded Reload
	s_waitcnt vmcnt(0)
	v_add_u32_e32 v5, v4, v97
	v_cmp_gt_i32_e64 s[8:9], s36, v5
	s_and_b64 s[74:75], s[8:9], vcc
	v_mov_b32_e32 v4, 0x47
	s_and_saveexec_b64 s[8:9], s[74:75]
	s_cbranch_execz .LBB30_202
; %bb.201:                              ;   in Loop: Header=BB30_10 Depth=1
	scratch_load_dword v8, off, off offset:56 ; 4-byte Folded Reload
	v_mad_u64_u32 v[4:5], s[74:75], v5, s37, v[124:125]
	v_lshl_add_u32 v4, v4, 7, v94
	s_waitcnt vmcnt(0)
	v_add_u32_e32 v5, v185, v8
	ds_read2st64_b32 v[6:7], v5 offset1:17
	v_add_u32_e32 v5, 0, v8
	ds_read2st64_b32 v[8:9], v5 offset0:1 offset1:18
	v_ashrrev_i32_e32 v5, 31, v4
	v_lshl_add_u64 v[4:5], v[4:5], 3, v[146:147]
	s_waitcnt lgkmcnt(1)
	v_cvt_f32_f16_e32 v10, v6
	v_cvt_f32_f16_sdwa v11, v6 dst_sel:DWORD dst_unused:UNUSED_PAD src0_sel:WORD_1
	v_cvt_f32_f16_e32 v6, v7
	v_cvt_f32_f16_sdwa v7, v7 dst_sel:DWORD dst_unused:UNUSED_PAD src0_sel:WORD_1
	s_waitcnt lgkmcnt(0)
	v_pk_fma_f32 v[10:11], v[8:9], v[10:11], 0 op_sel_hi:[0,1,0]
	v_mov_b32_e32 v8, v9
	v_pk_fma_f32 v[6:7], v[8:9], v[6:7], v[10:11] op_sel_hi:[0,1,1]
	global_store_dwordx2 v[4:5], v[6:7], off
	v_mov_b32_e32 v4, 0
.LBB30_202:                             ;   in Loop: Header=BB30_10 Depth=1
	s_or_b64 exec, exec, s[8:9]
	v_cmp_gt_i32_e64 s[8:9], s97, v4
	s_mov_b64 s[74:75], -1
	s_and_saveexec_b64 s[76:77], s[8:9]
; %bb.203:                              ;   in Loop: Header=BB30_10 Depth=1
	v_cmp_eq_u32_e64 s[8:9], 0, v4
	s_orn2_b64 s[74:75], s[8:9], exec
; %bb.204:                              ;   in Loop: Header=BB30_10 Depth=1
	s_or_b64 exec, exec, s[76:77]
	s_and_b64 exec, exec, s[74:75]
	s_cbranch_execz .LBB30_207
; %bb.205:                              ;   in Loop: Header=BB30_10 Depth=1
	scratch_load_dword v4, off, off offset:60 ; 4-byte Folded Reload
	s_waitcnt vmcnt(0)
	v_add_u32_e32 v4, v4, v97
	v_cmp_gt_i32_e64 s[8:9], s36, v4
	s_and_b64 s[8:9], s[8:9], vcc
	s_and_b64 exec, exec, s[8:9]
	s_cbranch_execz .LBB30_207
; %bb.206:                              ;   in Loop: Header=BB30_10 Depth=1
	scratch_load_dword v8, off, off offset:64 ; 4-byte Folded Reload
	v_mad_u64_u32 v[4:5], s[8:9], v4, s37, v[124:125]
	v_lshl_add_u32 v4, v4, 7, v94
	s_waitcnt vmcnt(0)
	v_add_u32_e32 v5, v185, v8
	ds_read2st64_b32 v[6:7], v5 offset1:17
	v_add_u32_e32 v5, 0, v8
	ds_read2st64_b32 v[8:9], v5 offset0:1 offset1:18
	v_ashrrev_i32_e32 v5, 31, v4
	v_lshl_add_u64 v[4:5], v[4:5], 3, v[146:147]
	s_waitcnt lgkmcnt(1)
	v_cvt_f32_f16_e32 v10, v6
	v_cvt_f32_f16_sdwa v11, v6 dst_sel:DWORD dst_unused:UNUSED_PAD src0_sel:WORD_1
	v_cvt_f32_f16_e32 v6, v7
	v_cvt_f32_f16_sdwa v7, v7 dst_sel:DWORD dst_unused:UNUSED_PAD src0_sel:WORD_1
	s_waitcnt lgkmcnt(0)
	v_pk_fma_f32 v[10:11], v[8:9], v[10:11], 0 op_sel_hi:[0,1,0]
	v_mov_b32_e32 v8, v9
	v_pk_fma_f32 v[6:7], v[8:9], v[6:7], v[10:11] op_sel_hi:[0,1,1]
	global_store_dwordx2 v[4:5], v[6:7], off
.LBB30_207:                             ;   in Loop: Header=BB30_10 Depth=1
	s_or_b64 exec, exec, s[12:13]
	s_barrier
	ds_write2_b32 v3, v36, v13 offset1:1
	ds_write2_b32 v3, v40, v16 offset0:8 offset1:9
	ds_write2_b32 v3, v41, v20 offset0:16 offset1:17
	ds_write2_b32 v3, v60, v21 offset0:24 offset1:25
	ds_write2_b32 v3, v57, v24 offset0:32 offset1:33
	ds_write2_b32 v3, v56, v25 offset0:40 offset1:41
	ds_write2_b32 v3, v45, v32 offset0:48 offset1:49
	ds_write2_b32 v3, v44, v33 offset0:56 offset1:57
	s_waitcnt lgkmcnt(0)
	s_barrier
	s_and_saveexec_b64 s[12:13], s[0:1]
	s_cbranch_execz .LBB30_285
; %bb.208:                              ;   in Loop: Header=BB30_10 Depth=1
	v_or_b32_e32 v3, v124, v127
	v_cmp_gt_i32_e64 s[8:9], s36, v2
	v_cmp_gt_i32_e32 vcc, s78, v3
	s_and_b64 s[74:75], s[8:9], vcc
	v_mov_b32_e32 v3, 0x47
	s_and_saveexec_b64 s[8:9], s[74:75]
	s_cbranch_execz .LBB30_210
; %bb.209:                              ;   in Loop: Header=BB30_10 Depth=1
	v_mad_u64_u32 v[2:3], s[74:75], v2, s37, v[124:125]
	v_add_u32_e32 v3, v185, v203
	ds_read2st64_b32 v[4:5], v3 offset1:17
	v_add_u32_e32 v3, 0, v203
	ds_read2st64_b32 v[6:7], v3 offset0:1 offset1:18
	v_lshl_add_u32 v2, v2, 7, v239
	v_ashrrev_i32_e32 v3, 31, v2
	s_waitcnt lgkmcnt(1)
	v_cvt_f32_f16_e32 v8, v4
	v_cvt_f32_f16_sdwa v9, v4 dst_sel:DWORD dst_unused:UNUSED_PAD src0_sel:WORD_1
	v_cvt_f32_f16_e32 v4, v5
	v_cvt_f32_f16_sdwa v5, v5 dst_sel:DWORD dst_unused:UNUSED_PAD src0_sel:WORD_1
	v_lshl_add_u64 v[2:3], v[2:3], 3, v[146:147]
	s_waitcnt lgkmcnt(0)
	v_pk_fma_f32 v[8:9], v[6:7], v[8:9], 0 op_sel_hi:[0,1,0]
	v_mov_b32_e32 v6, v7
	v_pk_fma_f32 v[4:5], v[6:7], v[4:5], v[8:9] op_sel_hi:[0,1,1]
	global_store_dwordx2 v[2:3], v[4:5], off
	v_mov_b32_e32 v3, 0
.LBB30_210:                             ;   in Loop: Header=BB30_10 Depth=1
	s_or_b64 exec, exec, s[8:9]
	v_cmp_gt_i32_e64 s[8:9], s97, v3
	s_mov_b64 s[74:75], -1
	s_and_saveexec_b64 s[76:77], s[8:9]
; %bb.211:                              ;   in Loop: Header=BB30_10 Depth=1
	v_cmp_eq_u32_e64 s[8:9], 0, v3
	s_orn2_b64 s[74:75], s[8:9], exec
; %bb.212:                              ;   in Loop: Header=BB30_10 Depth=1
	s_or_b64 exec, exec, s[76:77]
	s_and_b64 exec, exec, s[74:75]
	s_cbranch_execz .LBB30_285
; %bb.213:                              ;   in Loop: Header=BB30_10 Depth=1
	v_add_u32_e32 v3, v204, v97
	v_cmp_gt_i32_e64 s[8:9], s36, v3
	s_and_b64 s[74:75], s[8:9], vcc
	v_mov_b32_e32 v2, 0x47
	s_and_saveexec_b64 s[8:9], s[74:75]
	s_cbranch_execz .LBB30_215
; %bb.214:                              ;   in Loop: Header=BB30_10 Depth=1
	v_mad_u64_u32 v[2:3], s[74:75], v3, s37, v[124:125]
	v_add_u32_e32 v3, v185, v205
	ds_read2st64_b32 v[4:5], v3 offset1:17
	v_add_u32_e32 v3, 0, v205
	ds_read2st64_b32 v[6:7], v3 offset0:1 offset1:18
	v_lshl_add_u32 v2, v2, 7, v239
	v_ashrrev_i32_e32 v3, 31, v2
	s_waitcnt lgkmcnt(1)
	v_cvt_f32_f16_e32 v8, v4
	v_cvt_f32_f16_sdwa v9, v4 dst_sel:DWORD dst_unused:UNUSED_PAD src0_sel:WORD_1
	v_cvt_f32_f16_e32 v4, v5
	v_cvt_f32_f16_sdwa v5, v5 dst_sel:DWORD dst_unused:UNUSED_PAD src0_sel:WORD_1
	v_lshl_add_u64 v[2:3], v[2:3], 3, v[146:147]
	s_waitcnt lgkmcnt(0)
	v_pk_fma_f32 v[8:9], v[6:7], v[8:9], 0 op_sel_hi:[0,1,0]
	v_mov_b32_e32 v6, v7
	v_pk_fma_f32 v[4:5], v[6:7], v[4:5], v[8:9] op_sel_hi:[0,1,1]
	global_store_dwordx2 v[2:3], v[4:5], off
	v_mov_b32_e32 v2, 0
.LBB30_215:                             ;   in Loop: Header=BB30_10 Depth=1
	s_or_b64 exec, exec, s[8:9]
	v_cmp_gt_i32_e64 s[8:9], s97, v2
	s_mov_b64 s[74:75], -1
	s_and_saveexec_b64 s[76:77], s[8:9]
; %bb.216:                              ;   in Loop: Header=BB30_10 Depth=1
	v_cmp_eq_u32_e64 s[8:9], 0, v2
	s_orn2_b64 s[74:75], s[8:9], exec
; %bb.217:                              ;   in Loop: Header=BB30_10 Depth=1
	s_or_b64 exec, exec, s[76:77]
	s_and_b64 exec, exec, s[74:75]
	s_cbranch_execz .LBB30_285
; %bb.218:                              ;   in Loop: Header=BB30_10 Depth=1
	v_add_u32_e32 v3, v206, v97
	v_cmp_gt_i32_e64 s[8:9], s36, v3
	;; [unrolled: 39-line block ×6, first 2 shown]
	s_and_b64 s[74:75], s[8:9], vcc
	v_mov_b32_e32 v2, 0x47
	s_and_saveexec_b64 s[8:9], s[74:75]
	s_cbranch_execz .LBB30_240
; %bb.239:                              ;   in Loop: Header=BB30_10 Depth=1
	v_mad_u64_u32 v[2:3], s[74:75], v3, s37, v[124:125]
	v_add_u32_e32 v3, v185, v215
	ds_read2st64_b32 v[4:5], v3 offset1:17
	v_add_u32_e32 v3, 0, v215
	ds_read2st64_b32 v[6:7], v3 offset0:1 offset1:18
	v_lshl_add_u32 v2, v2, 7, v239
	v_ashrrev_i32_e32 v3, 31, v2
	s_waitcnt lgkmcnt(1)
	v_cvt_f32_f16_e32 v8, v4
	v_cvt_f32_f16_sdwa v9, v4 dst_sel:DWORD dst_unused:UNUSED_PAD src0_sel:WORD_1
	v_cvt_f32_f16_e32 v4, v5
	v_cvt_f32_f16_sdwa v5, v5 dst_sel:DWORD dst_unused:UNUSED_PAD src0_sel:WORD_1
	v_lshl_add_u64 v[2:3], v[2:3], 3, v[146:147]
	s_waitcnt lgkmcnt(0)
	v_pk_fma_f32 v[8:9], v[6:7], v[8:9], 0 op_sel_hi:[0,1,0]
	v_mov_b32_e32 v6, v7
	v_pk_fma_f32 v[4:5], v[6:7], v[4:5], v[8:9] op_sel_hi:[0,1,1]
	global_store_dwordx2 v[2:3], v[4:5], off
	v_mov_b32_e32 v2, 0
.LBB30_240:                             ;   in Loop: Header=BB30_10 Depth=1
	s_or_b64 exec, exec, s[8:9]
	v_cmp_gt_i32_e64 s[8:9], s97, v2
	s_mov_b64 s[74:75], -1
	s_and_saveexec_b64 s[76:77], s[8:9]
; %bb.241:                              ;   in Loop: Header=BB30_10 Depth=1
	v_cmp_eq_u32_e64 s[8:9], 0, v2
	s_orn2_b64 s[74:75], s[8:9], exec
; %bb.242:                              ;   in Loop: Header=BB30_10 Depth=1
	s_or_b64 exec, exec, s[76:77]
	s_and_b64 exec, exec, s[74:75]
	s_cbranch_execz .LBB30_285
; %bb.243:                              ;   in Loop: Header=BB30_10 Depth=1
	scratch_load_dword v2, off, off         ; 4-byte Folded Reload
	s_waitcnt vmcnt(0)
	v_add_u32_e32 v3, v2, v97
	v_cmp_gt_i32_e64 s[8:9], s36, v3
	s_and_b64 s[74:75], s[8:9], vcc
	v_mov_b32_e32 v2, 0x47
	s_and_saveexec_b64 s[8:9], s[74:75]
	s_cbranch_execz .LBB30_245
; %bb.244:                              ;   in Loop: Header=BB30_10 Depth=1
	v_mad_u64_u32 v[2:3], s[74:75], v3, s37, v[124:125]
	v_add_u32_e32 v3, v185, v217
	ds_read2st64_b32 v[4:5], v3 offset1:17
	v_add_u32_e32 v3, 0, v217
	ds_read2st64_b32 v[6:7], v3 offset0:1 offset1:18
	v_lshl_add_u32 v2, v2, 7, v239
	v_ashrrev_i32_e32 v3, 31, v2
	s_waitcnt lgkmcnt(1)
	v_cvt_f32_f16_e32 v8, v4
	v_cvt_f32_f16_sdwa v9, v4 dst_sel:DWORD dst_unused:UNUSED_PAD src0_sel:WORD_1
	v_cvt_f32_f16_e32 v4, v5
	v_cvt_f32_f16_sdwa v5, v5 dst_sel:DWORD dst_unused:UNUSED_PAD src0_sel:WORD_1
	v_lshl_add_u64 v[2:3], v[2:3], 3, v[146:147]
	s_waitcnt lgkmcnt(0)
	v_pk_fma_f32 v[8:9], v[6:7], v[8:9], 0 op_sel_hi:[0,1,0]
	v_mov_b32_e32 v6, v7
	v_pk_fma_f32 v[4:5], v[6:7], v[4:5], v[8:9] op_sel_hi:[0,1,1]
	global_store_dwordx2 v[2:3], v[4:5], off
	v_mov_b32_e32 v2, 0
.LBB30_245:                             ;   in Loop: Header=BB30_10 Depth=1
	s_or_b64 exec, exec, s[8:9]
	v_cmp_gt_i32_e64 s[8:9], s97, v2
	s_mov_b64 s[74:75], -1
	s_and_saveexec_b64 s[76:77], s[8:9]
; %bb.246:                              ;   in Loop: Header=BB30_10 Depth=1
	v_cmp_eq_u32_e64 s[8:9], 0, v2
	s_orn2_b64 s[74:75], s[8:9], exec
; %bb.247:                              ;   in Loop: Header=BB30_10 Depth=1
	s_or_b64 exec, exec, s[76:77]
	s_and_b64 exec, exec, s[74:75]
	s_cbranch_execz .LBB30_285
; %bb.248:                              ;   in Loop: Header=BB30_10 Depth=1
	scratch_load_dword v2, off, off offset:4 ; 4-byte Folded Reload
	s_waitcnt vmcnt(0)
	v_add_u32_e32 v3, v2, v97
	v_cmp_gt_i32_e64 s[8:9], s36, v3
	s_and_b64 s[74:75], s[8:9], vcc
	v_mov_b32_e32 v2, 0x47
	s_and_saveexec_b64 s[8:9], s[74:75]
	s_cbranch_execz .LBB30_250
; %bb.249:                              ;   in Loop: Header=BB30_10 Depth=1
	scratch_load_dword v6, off, off offset:8 ; 4-byte Folded Reload
	v_mad_u64_u32 v[2:3], s[74:75], v3, s37, v[124:125]
	v_lshl_add_u32 v2, v2, 7, v239
	s_waitcnt vmcnt(0)
	v_add_u32_e32 v3, v185, v6
	ds_read2st64_b32 v[4:5], v3 offset1:17
	v_add_u32_e32 v3, 0, v6
	ds_read2st64_b32 v[6:7], v3 offset0:1 offset1:18
	v_ashrrev_i32_e32 v3, 31, v2
	v_lshl_add_u64 v[2:3], v[2:3], 3, v[146:147]
	s_waitcnt lgkmcnt(1)
	v_cvt_f32_f16_e32 v8, v4
	v_cvt_f32_f16_sdwa v9, v4 dst_sel:DWORD dst_unused:UNUSED_PAD src0_sel:WORD_1
	v_cvt_f32_f16_e32 v4, v5
	v_cvt_f32_f16_sdwa v5, v5 dst_sel:DWORD dst_unused:UNUSED_PAD src0_sel:WORD_1
	s_waitcnt lgkmcnt(0)
	v_pk_fma_f32 v[8:9], v[6:7], v[8:9], 0 op_sel_hi:[0,1,0]
	v_mov_b32_e32 v6, v7
	v_pk_fma_f32 v[4:5], v[6:7], v[4:5], v[8:9] op_sel_hi:[0,1,1]
	global_store_dwordx2 v[2:3], v[4:5], off
	v_mov_b32_e32 v2, 0
.LBB30_250:                             ;   in Loop: Header=BB30_10 Depth=1
	s_or_b64 exec, exec, s[8:9]
	v_cmp_gt_i32_e64 s[8:9], s97, v2
	s_mov_b64 s[74:75], -1
	s_and_saveexec_b64 s[76:77], s[8:9]
; %bb.251:                              ;   in Loop: Header=BB30_10 Depth=1
	v_cmp_eq_u32_e64 s[8:9], 0, v2
	s_orn2_b64 s[74:75], s[8:9], exec
; %bb.252:                              ;   in Loop: Header=BB30_10 Depth=1
	s_or_b64 exec, exec, s[76:77]
	s_and_b64 exec, exec, s[74:75]
	s_cbranch_execz .LBB30_285
; %bb.253:                              ;   in Loop: Header=BB30_10 Depth=1
	scratch_load_dword v2, off, off offset:12 ; 4-byte Folded Reload
	s_waitcnt vmcnt(0)
	v_add_u32_e32 v3, v2, v97
	v_cmp_gt_i32_e64 s[8:9], s36, v3
	s_and_b64 s[74:75], s[8:9], vcc
	v_mov_b32_e32 v2, 0x47
	s_and_saveexec_b64 s[8:9], s[74:75]
	s_cbranch_execz .LBB30_255
; %bb.254:                              ;   in Loop: Header=BB30_10 Depth=1
	scratch_load_dword v6, off, off offset:16 ; 4-byte Folded Reload
	v_mad_u64_u32 v[2:3], s[74:75], v3, s37, v[124:125]
	v_lshl_add_u32 v2, v2, 7, v239
	s_waitcnt vmcnt(0)
	v_add_u32_e32 v3, v185, v6
	ds_read2st64_b32 v[4:5], v3 offset1:17
	v_add_u32_e32 v3, 0, v6
	ds_read2st64_b32 v[6:7], v3 offset0:1 offset1:18
	v_ashrrev_i32_e32 v3, 31, v2
	v_lshl_add_u64 v[2:3], v[2:3], 3, v[146:147]
	s_waitcnt lgkmcnt(1)
	v_cvt_f32_f16_e32 v8, v4
	v_cvt_f32_f16_sdwa v9, v4 dst_sel:DWORD dst_unused:UNUSED_PAD src0_sel:WORD_1
	v_cvt_f32_f16_e32 v4, v5
	v_cvt_f32_f16_sdwa v5, v5 dst_sel:DWORD dst_unused:UNUSED_PAD src0_sel:WORD_1
	s_waitcnt lgkmcnt(0)
	v_pk_fma_f32 v[8:9], v[6:7], v[8:9], 0 op_sel_hi:[0,1,0]
	v_mov_b32_e32 v6, v7
	v_pk_fma_f32 v[4:5], v[6:7], v[4:5], v[8:9] op_sel_hi:[0,1,1]
	global_store_dwordx2 v[2:3], v[4:5], off
	v_mov_b32_e32 v2, 0
.LBB30_255:                             ;   in Loop: Header=BB30_10 Depth=1
	;; [unrolled: 43-line block ×7, first 2 shown]
	s_or_b64 exec, exec, s[8:9]
	v_cmp_gt_i32_e64 s[8:9], s97, v2
	s_mov_b64 s[74:75], -1
	s_and_saveexec_b64 s[76:77], s[8:9]
; %bb.281:                              ;   in Loop: Header=BB30_10 Depth=1
	v_cmp_eq_u32_e64 s[8:9], 0, v2
	s_orn2_b64 s[74:75], s[8:9], exec
; %bb.282:                              ;   in Loop: Header=BB30_10 Depth=1
	s_or_b64 exec, exec, s[76:77]
	s_and_b64 exec, exec, s[74:75]
	s_cbranch_execz .LBB30_285
; %bb.283:                              ;   in Loop: Header=BB30_10 Depth=1
	scratch_load_dword v2, off, off offset:60 ; 4-byte Folded Reload
	s_waitcnt vmcnt(0)
	v_add_u32_e32 v2, v2, v97
	v_cmp_gt_i32_e64 s[8:9], s36, v2
	s_and_b64 s[8:9], s[8:9], vcc
	s_and_b64 exec, exec, s[8:9]
	s_cbranch_execz .LBB30_285
; %bb.284:                              ;   in Loop: Header=BB30_10 Depth=1
	scratch_load_dword v6, off, off offset:64 ; 4-byte Folded Reload
	v_mad_u64_u32 v[2:3], s[8:9], v2, s37, v[124:125]
	v_lshl_add_u32 v2, v2, 7, v239
	s_waitcnt vmcnt(0)
	v_add_u32_e32 v3, v185, v6
	ds_read2st64_b32 v[4:5], v3 offset1:17
	v_add_u32_e32 v3, 0, v6
	ds_read2st64_b32 v[6:7], v3 offset0:1 offset1:18
	v_ashrrev_i32_e32 v3, 31, v2
	v_lshl_add_u64 v[2:3], v[2:3], 3, v[146:147]
	s_waitcnt lgkmcnt(1)
	v_cvt_f32_f16_e32 v8, v4
	v_cvt_f32_f16_sdwa v9, v4 dst_sel:DWORD dst_unused:UNUSED_PAD src0_sel:WORD_1
	v_cvt_f32_f16_e32 v4, v5
	v_cvt_f32_f16_sdwa v5, v5 dst_sel:DWORD dst_unused:UNUSED_PAD src0_sel:WORD_1
	s_waitcnt lgkmcnt(0)
	v_pk_fma_f32 v[8:9], v[6:7], v[8:9], 0 op_sel_hi:[0,1,0]
	v_mov_b32_e32 v6, v7
	v_pk_fma_f32 v[4:5], v[6:7], v[4:5], v[8:9] op_sel_hi:[0,1,1]
	global_store_dwordx2 v[2:3], v[4:5], off
.LBB30_285:                             ;   in Loop: Header=BB30_10 Depth=1
	s_or_b64 exec, exec, s[12:13]
	s_barrier
	s_branch .LBB30_9
.LBB30_286:                             ;   in Loop: Header=BB30_10 Depth=1
	v_cmp_le_i32_e64 s[8:9], s36, v176
	v_cmp_le_i32_e64 s[12:13], s78, v177
	v_cmp_gt_i32_e32 vcc, s78, v177
	s_or_b64 s[8:9], s[8:9], s[12:13]
	s_and_saveexec_b64 s[12:13], s[8:9]
	s_xor_b64 s[8:9], exec, s[12:13]
; %bb.287:                              ;   in Loop: Header=BB30_10 Depth=1
	v_add_u32_e32 v2, v185, v240
	ds_write2st64_b32 v2, v99, v99 offset1:1
                                        ; implicit-def: $vgpr176
; %bb.288:                              ;   in Loop: Header=BB30_10 Depth=1
	s_andn2_saveexec_b64 s[8:9], s[8:9]
	s_cbranch_execz .LBB30_290
; %bb.289:                              ;   in Loop: Header=BB30_10 Depth=1
	v_mad_u64_u32 v[2:3], s[12:13], v176, s57, v[126:127]
	v_ashrrev_i32_e32 v3, 31, v2
	v_lshl_add_u64 v[2:3], v[2:3], 3, v[166:167]
	global_load_dwordx2 v[4:5], v[2:3], off
	s_nop 0
	global_load_dwordx2 v[2:3], v[2:3], off offset:512
	s_waitcnt vmcnt(1)
	v_cvt_pk_f16_f32 v4, v4, v5
	s_waitcnt vmcnt(0)
	v_cvt_pk_f16_f32 v2, v2, v3
	v_pk_mul_f16 v3, v4, v235
	v_pk_mul_f16 v2, v2, v235
	ds_write2st64_b32 v241, v3, v2 offset1:1
.LBB30_290:                             ;   in Loop: Header=BB30_10 Depth=1
	s_or_b64 exec, exec, s[8:9]
	v_add_u32_e32 v2, v242, v97
	v_cmp_le_i32_e64 s[8:9], s36, v2
	s_xor_b64 s[12:13], vcc, -1
	s_or_b64 s[8:9], s[8:9], s[12:13]
	s_and_saveexec_b64 s[74:75], s[8:9]
	s_xor_b64 s[8:9], exec, s[74:75]
; %bb.291:                              ;   in Loop: Header=BB30_10 Depth=1
	v_add_u32_e32 v2, v185, v240
	v_add_u32_e32 v2, 0x80, v2
	ds_write2st64_b32 v2, v99, v99 offset0:16 offset1:17
                                        ; implicit-def: $vgpr2
; %bb.292:                              ;   in Loop: Header=BB30_10 Depth=1
	s_andn2_saveexec_b64 s[8:9], s[8:9]
	s_cbranch_execz .LBB30_294
; %bb.293:                              ;   in Loop: Header=BB30_10 Depth=1
	v_mad_u64_u32 v[2:3], s[74:75], v2, s57, v[126:127]
	v_ashrrev_i32_e32 v3, 31, v2
	v_lshl_add_u64 v[2:3], v[2:3], 3, v[166:167]
	global_load_dwordx2 v[4:5], v[2:3], off
	s_nop 0
	global_load_dwordx2 v[2:3], v[2:3], off offset:512
	s_waitcnt vmcnt(1)
	v_cvt_pk_f16_f32 v4, v4, v5
	s_waitcnt vmcnt(0)
	v_cvt_pk_f16_f32 v2, v2, v3
	v_pk_mul_f16 v3, v4, v235
	v_pk_mul_f16 v2, v2, v235
	ds_write2st64_b32 v243, v3, v2 offset1:1
.LBB30_294:                             ;   in Loop: Header=BB30_10 Depth=1
	s_or_b64 exec, exec, s[8:9]
	v_add_u32_e32 v2, v244, v97
	v_cmp_le_i32_e32 vcc, s36, v2
	s_or_b64 s[8:9], vcc, s[12:13]
	s_and_saveexec_b64 s[74:75], s[8:9]
	s_xor_b64 s[8:9], exec, s[74:75]
; %bb.295:                              ;   in Loop: Header=BB30_10 Depth=1
	v_add_u32_e32 v2, v185, v240
	ds_write2st64_b32 v2, v99, v99 offset0:33 offset1:34
                                        ; implicit-def: $vgpr2
; %bb.296:                              ;   in Loop: Header=BB30_10 Depth=1
	s_andn2_saveexec_b64 s[8:9], s[8:9]
	s_cbranch_execz .LBB30_298
; %bb.297:                              ;   in Loop: Header=BB30_10 Depth=1
	v_mad_u64_u32 v[2:3], s[74:75], v2, s57, v[126:127]
	v_ashrrev_i32_e32 v3, 31, v2
	v_lshl_add_u64 v[2:3], v[2:3], 3, v[166:167]
	global_load_dwordx2 v[4:5], v[2:3], off
	s_nop 0
	global_load_dwordx2 v[2:3], v[2:3], off offset:512
	s_waitcnt vmcnt(1)
	v_cvt_pk_f16_f32 v4, v4, v5
	s_waitcnt vmcnt(0)
	v_cvt_pk_f16_f32 v2, v2, v3
	v_pk_mul_f16 v3, v4, v235
	v_pk_mul_f16 v2, v2, v235
	ds_write2st64_b32 v245, v3, v2 offset1:1
.LBB30_298:                             ;   in Loop: Header=BB30_10 Depth=1
	s_or_b64 exec, exec, s[8:9]
	v_add_u32_e32 v2, v246, v97
	v_cmp_le_i32_e32 vcc, s36, v2
	s_or_b64 s[8:9], vcc, s[12:13]
	s_and_saveexec_b64 s[74:75], s[8:9]
	s_xor_b64 s[8:9], exec, s[74:75]
; %bb.299:                              ;   in Loop: Header=BB30_10 Depth=1
	v_add_u32_e32 v2, v185, v240
	v_add_u32_e32 v2, 0x80, v2
	ds_write2st64_b32 v2, v99, v99 offset0:49 offset1:50
                                        ; implicit-def: $vgpr2
; %bb.300:                              ;   in Loop: Header=BB30_10 Depth=1
	s_andn2_saveexec_b64 s[8:9], s[8:9]
	s_cbranch_execz .LBB30_302
; %bb.301:                              ;   in Loop: Header=BB30_10 Depth=1
	v_mad_u64_u32 v[2:3], s[74:75], v2, s57, v[126:127]
	v_ashrrev_i32_e32 v3, 31, v2
	v_lshl_add_u64 v[2:3], v[2:3], 3, v[166:167]
	global_load_dwordx2 v[4:5], v[2:3], off
	s_nop 0
	global_load_dwordx2 v[2:3], v[2:3], off offset:512
	s_waitcnt vmcnt(1)
	v_cvt_pk_f16_f32 v4, v4, v5
	s_waitcnt vmcnt(0)
	v_cvt_pk_f16_f32 v2, v2, v3
	v_pk_mul_f16 v3, v4, v235
	v_pk_mul_f16 v2, v2, v235
	ds_write2st64_b32 v247, v3, v2 offset1:1
.LBB30_302:                             ;   in Loop: Header=BB30_10 Depth=1
	s_or_b64 exec, exec, s[8:9]
	v_add_u32_e32 v2, v248, v97
	v_cmp_le_i32_e32 vcc, s36, v2
	s_or_b64 s[8:9], vcc, s[12:13]
	s_and_saveexec_b64 s[74:75], s[8:9]
	s_xor_b64 s[8:9], exec, s[74:75]
; %bb.303:                              ;   in Loop: Header=BB30_10 Depth=1
	v_add_u32_e32 v2, v185, v240
	ds_write2st64_b32 v2, v99, v99 offset0:66 offset1:67
                                        ; implicit-def: $vgpr2
; %bb.304:                              ;   in Loop: Header=BB30_10 Depth=1
	s_andn2_saveexec_b64 s[8:9], s[8:9]
	s_cbranch_execz .LBB30_306
; %bb.305:                              ;   in Loop: Header=BB30_10 Depth=1
	v_mad_u64_u32 v[2:3], s[74:75], v2, s57, v[126:127]
	v_ashrrev_i32_e32 v3, 31, v2
	v_lshl_add_u64 v[2:3], v[2:3], 3, v[166:167]
	global_load_dwordx2 v[4:5], v[2:3], off
	s_nop 0
	global_load_dwordx2 v[2:3], v[2:3], off offset:512
	s_waitcnt vmcnt(1)
	v_cvt_pk_f16_f32 v4, v4, v5
	s_waitcnt vmcnt(0)
	v_cvt_pk_f16_f32 v2, v2, v3
	v_pk_mul_f16 v3, v4, v235
	v_pk_mul_f16 v2, v2, v235
	ds_write2st64_b32 v249, v3, v2 offset1:1
.LBB30_306:                             ;   in Loop: Header=BB30_10 Depth=1
	s_or_b64 exec, exec, s[8:9]
	v_add_u32_e32 v2, v250, v97
	v_cmp_le_i32_e32 vcc, s36, v2
	s_or_b64 s[8:9], vcc, s[12:13]
	;; [unrolled: 57-line block ×3, first 2 shown]
	s_and_saveexec_b64 s[12:13], s[8:9]
	s_xor_b64 s[8:9], exec, s[12:13]
; %bb.315:                              ;   in Loop: Header=BB30_10 Depth=1
	v_add_u32_e32 v2, v185, v240
	v_add_u32_e32 v2, 0x80, v2
	ds_write2st64_b32 v2, v99, v99 offset0:115 offset1:116
                                        ; implicit-def: $vgpr2
                                        ; implicit-def: $vgpr166_vgpr167
; %bb.316:                              ;   in Loop: Header=BB30_10 Depth=1
	s_andn2_saveexec_b64 s[8:9], s[8:9]
	s_cbranch_execz .LBB30_318
; %bb.317:                              ;   in Loop: Header=BB30_10 Depth=1
	v_mad_u64_u32 v[2:3], s[12:13], v2, s57, v[126:127]
	v_ashrrev_i32_e32 v3, 31, v2
	v_lshl_add_u64 v[2:3], v[2:3], 3, v[166:167]
	global_load_dwordx2 v[4:5], v[2:3], off
	s_nop 0
	global_load_dwordx2 v[2:3], v[2:3], off offset:512
	s_waitcnt vmcnt(1)
	v_cvt_pk_f16_f32 v4, v4, v5
	s_waitcnt vmcnt(0)
	v_cvt_pk_f16_f32 v2, v2, v3
	v_pk_mul_f16 v3, v4, v235
	v_pk_mul_f16 v2, v2, v235
	ds_write2st64_b32 v255, v3, v2 offset1:1
.LBB30_318:                             ;   in Loop: Header=BB30_10 Depth=1
	s_or_b64 exec, exec, s[8:9]
	s_waitcnt lgkmcnt(0)
	s_barrier
	ds_read2_b64 v[30:33], v186 offset1:4
	ds_read2_b64 v[26:29], v186 offset0:8 offset1:12
	ds_read2_b64 v[22:25], v186 offset0:16 offset1:20
	;; [unrolled: 1-line block ×7, first 2 shown]
	s_cmp_gt_i32 s98, 1
	s_mov_b64 s[8:9], -1
	s_waitcnt lgkmcnt(0)
	s_barrier
	s_cbranch_scc1 .LBB30_320
; %bb.319:                              ;   in Loop: Header=BB30_10 Depth=1
	s_mov_b64 s[8:9], 0
.LBB30_320:                             ;   in Loop: Header=BB30_10 Depth=1
	v_add_u32_e32 v34, v97, v187
	v_mul_hi_u32 v35, s46, v34
	v_add_u32_e32 v35, v34, v35
	v_lshrrev_b32_e32 v35, s47, v35
	v_mul_lo_u32 v35, v35, s36
	s_andn2_b64 vcc, exec, s[8:9]
	v_sub_u32_e32 v98, v34, v35
	s_cbranch_vccnz .LBB30_356
; %bb.321:                              ;   in Loop: Header=BB30_10 Depth=1
	v_and_b32_e32 v34, 64, v234
	v_add_u32_e32 v34, 64, v34
	v_xor_b32_e32 v35, 32, v234
	v_cmp_lt_i32_e32 vcc, v35, v34
	s_add_i32 s12, s98, -1
	v_mov_b32_e32 v174, 0
	v_cndmask_b32_e32 v35, v234, v35, vcc
	v_lshlrev_b32_e32 v229, 2, v35
	v_xor_b32_e32 v35, 16, v234
	v_cmp_lt_i32_e32 vcc, v35, v34
	v_mov_b32_e32 v53, 0xfeffffff
	v_mov_b32_e32 v52, 0
	v_cndmask_b32_e32 v34, v234, v35, vcc
	v_lshlrev_b32_e32 v226, 2, v34
	v_mad_i64_i32 v[34:35], s[8:9], s68, v98, v[160:161]
	v_lshl_add_u64 v[160:161], v[128:129], 0, v[34:35]
	v_lshl_add_u64 v[34:35], v[162:163], 0, v[164:165]
	;; [unrolled: 1-line block ×11, first 2 shown]
	s_mov_b32 s13, s12
	v_mov_b32_e32 v175, 0
	v_mov_b32_e32 v91, 0
	;; [unrolled: 1-line block ×31, first 2 shown]
.LBB30_322:                             ;   Parent Loop BB30_10 Depth=1
                                        ; =>  This Inner Loop Header: Depth=2
	v_lshl_add_u64 v[34:35], v[156:157], 0, v[118:119]
	v_lshl_add_u64 v[38:39], v[158:159], 0, v[118:119]
	;; [unrolled: 1-line block ×3, first 2 shown]
	global_load_dword v61, v[160:161], off
	v_lshl_add_u64 v[62:63], v[172:173], 0, v[118:119]
	global_load_dwordx4 v[34:37], v[34:35], off
	s_nop 0
	global_load_dwordx4 v[38:41], v[38:39], off
	s_nop 0
	;; [unrolled: 2-line block ×3, first 2 shown]
	global_load_dwordx4 v[222:225], v[62:63], off
	s_waitcnt vmcnt(4)
	ds_write_b32 v197, v61 offset:33792
	s_waitcnt vmcnt(3)
	ds_write_b128 v188, v[34:37]
	s_waitcnt vmcnt(2)
	ds_write_b128 v236, v[38:41]
	;; [unrolled: 2-line block ×4, first 2 shown]
	v_add_u32_e32 v61, 0x4000, v190
	s_waitcnt lgkmcnt(0)
	s_barrier
	ds_read2_b64 v[34:37], v190 offset1:4
	ds_read2_b64 v[56:59], v61 offset0:64 offset1:68
	s_waitcnt lgkmcnt(1)
	v_mfma_f32_16x16x16_f16 v[38:41], v[34:35], v[30:31], 0
	s_waitcnt lgkmcnt(0)
	v_mfma_f32_16x16x16_f16 v[222:225], v[56:57], v[30:31], 0
	v_mfma_f32_16x16x16_f16 v[34:37], v[36:37], v[32:33], v[38:41]
	;; [unrolled: 1-line block ×3, first 2 shown]
	ds_read2_b64 v[56:59], v190 offset0:8 offset1:12
	s_nop 4
	ds_read2_b64 v[222:225], v61 offset0:72 offset1:76
	s_waitcnt lgkmcnt(1)
	v_mfma_f32_16x16x16_f16 v[34:37], v[56:57], v[26:27], v[34:37]
	s_waitcnt lgkmcnt(0)
	v_mfma_f32_16x16x16_f16 v[38:41], v[222:223], v[26:27], v[38:41]
	v_mfma_f32_16x16x16_f16 v[34:37], v[58:59], v[28:29], v[34:37]
	ds_read2_b64 v[56:59], v190 offset0:16 offset1:20
	v_mfma_f32_16x16x16_f16 v[38:41], v[224:225], v[28:29], v[38:41]
	ds_read2_b64 v[222:225], v61 offset0:80 offset1:84
	s_waitcnt lgkmcnt(1)
	v_mfma_f32_16x16x16_f16 v[34:37], v[56:57], v[22:23], v[34:37]
	s_waitcnt lgkmcnt(0)
	v_mfma_f32_16x16x16_f16 v[38:41], v[222:223], v[22:23], v[38:41]
	v_mfma_f32_16x16x16_f16 v[34:37], v[58:59], v[24:25], v[34:37]
	ds_read2_b64 v[56:59], v190 offset0:24 offset1:28
	v_mfma_f32_16x16x16_f16 v[38:41], v[224:225], v[24:25], v[38:41]
	;; [unrolled: 8-line block ×6, first 2 shown]
	ds_read2_b64 v[222:225], v61 offset0:120 offset1:124
	s_waitcnt lgkmcnt(0)
	s_barrier
	v_mfma_f32_16x16x16_f16 v[34:37], v[56:57], v[2:3], v[34:37]
                                        ; implicit-def: $vgpr56
	v_mfma_f32_16x16x16_f16 v[38:41], v[222:223], v[2:3], v[38:41]
	v_mfma_f32_16x16x16_f16 v[34:37], v[58:59], v[4:5], v[34:37]
	;; [unrolled: 1-line block ×3, first 2 shown]
	s_nop 6
	v_cmp_nlt_f32_e64 s[8:9], |v34|, s45
	s_and_saveexec_b64 s[74:75], s[8:9]
	s_xor_b64 s[8:9], exec, s[74:75]
	s_cbranch_execz .LBB30_324
; %bb.323:                              ;   in Loop: Header=BB30_322 Depth=2
	v_add_f32_e64 v56, |v34|, |v34|
	v_mul_f32_e32 v57, 0x3fb8aa3b, v56
	v_rndne_f32_e32 v58, v57
	v_sub_f32_e32 v59, v57, v58
	v_fma_f32 v57, v56, s69, -v57
	v_fmac_f32_e32 v57, 0x32a5705f, v56
	v_add_f32_e32 v57, v59, v57
	v_cvt_i32_f32_e32 v58, v58
	v_exp_f32_e32 v57, v57
	v_cmp_ngt_f32_e32 vcc, s92, v56
	v_ldexp_f32 v57, v57, v58
	s_nop 0
	v_cndmask_b32_e32 v57, 0, v57, vcc
	v_cmp_nlt_f32_e32 vcc, s93, v56
	s_nop 1
	v_cndmask_b32_e32 v56, v230, v57, vcc
	v_add_f32_e32 v56, 1.0, v56
	v_rcp_f32_e32 v56, v56
	s_nop 0
	v_fma_f32 v56, v56, -2.0, 1.0
.LBB30_324:                             ;   in Loop: Header=BB30_322 Depth=2
	s_andn2_saveexec_b64 s[8:9], s[8:9]
; %bb.325:                              ;   in Loop: Header=BB30_322 Depth=2
	v_mul_f32_e32 v56, v34, v34
	v_fmamk_f32 v57, v56, 0xbbbac73d, v233
	v_fmaak_f32 v57, v56, v57, 0xbd5c1c4e
	v_fmaak_f32 v57, v56, v57, 0x3e088382
	;; [unrolled: 1-line block ×3, first 2 shown]
	v_mul_f32_e64 v57, |v34|, v57
	v_fma_f32 v56, v56, v57, |v34|
; %bb.326:                              ;   in Loop: Header=BB30_322 Depth=2
	s_or_b64 exec, exec, s[8:9]
	v_cmp_nlt_f32_e64 s[8:9], |v35|, s45
                                        ; implicit-def: $vgpr57
	s_and_saveexec_b64 s[74:75], s[8:9]
	s_xor_b64 s[8:9], exec, s[74:75]
	s_cbranch_execz .LBB30_328
; %bb.327:                              ;   in Loop: Header=BB30_322 Depth=2
	v_add_f32_e64 v57, |v35|, |v35|
	v_mul_f32_e32 v58, 0x3fb8aa3b, v57
	v_rndne_f32_e32 v59, v58
	v_sub_f32_e32 v61, v58, v59
	v_fma_f32 v58, v57, s69, -v58
	v_fmac_f32_e32 v58, 0x32a5705f, v57
	v_add_f32_e32 v58, v61, v58
	v_cvt_i32_f32_e32 v59, v59
	v_exp_f32_e32 v58, v58
	v_cmp_ngt_f32_e32 vcc, s92, v57
	v_ldexp_f32 v58, v58, v59
	s_nop 0
	v_cndmask_b32_e32 v58, 0, v58, vcc
	v_cmp_nlt_f32_e32 vcc, s93, v57
	s_nop 1
	v_cndmask_b32_e32 v57, v230, v58, vcc
	v_add_f32_e32 v57, 1.0, v57
	v_rcp_f32_e32 v57, v57
	s_nop 0
	v_fma_f32 v57, v57, -2.0, 1.0
.LBB30_328:                             ;   in Loop: Header=BB30_322 Depth=2
	s_andn2_saveexec_b64 s[8:9], s[8:9]
; %bb.329:                              ;   in Loop: Header=BB30_322 Depth=2
	v_mul_f32_e32 v57, v35, v35
	v_fmamk_f32 v58, v57, 0xbbbac73d, v233
	v_fmaak_f32 v58, v57, v58, 0xbd5c1c4e
	v_fmaak_f32 v58, v57, v58, 0x3e088382
	;; [unrolled: 1-line block ×3, first 2 shown]
	v_mul_f32_e64 v58, |v35|, v58
	v_fma_f32 v57, v57, v58, |v35|
; %bb.330:                              ;   in Loop: Header=BB30_322 Depth=2
	s_or_b64 exec, exec, s[8:9]
	v_cmp_nlt_f32_e64 s[8:9], |v36|, s45
                                        ; implicit-def: $vgpr58
	s_and_saveexec_b64 s[74:75], s[8:9]
	s_xor_b64 s[8:9], exec, s[74:75]
	s_cbranch_execz .LBB30_332
; %bb.331:                              ;   in Loop: Header=BB30_322 Depth=2
	v_add_f32_e64 v58, |v36|, |v36|
	v_mul_f32_e32 v59, 0x3fb8aa3b, v58
	v_rndne_f32_e32 v61, v59
	v_sub_f32_e32 v62, v59, v61
	v_fma_f32 v59, v58, s69, -v59
	v_fmac_f32_e32 v59, 0x32a5705f, v58
	v_add_f32_e32 v59, v62, v59
	v_cvt_i32_f32_e32 v61, v61
	v_exp_f32_e32 v59, v59
	v_cmp_ngt_f32_e32 vcc, s92, v58
	v_ldexp_f32 v59, v59, v61
	s_nop 0
	v_cndmask_b32_e32 v59, 0, v59, vcc
	v_cmp_nlt_f32_e32 vcc, s93, v58
	s_nop 1
	v_cndmask_b32_e32 v58, v230, v59, vcc
	v_add_f32_e32 v58, 1.0, v58
	v_rcp_f32_e32 v58, v58
	s_nop 0
	v_fma_f32 v58, v58, -2.0, 1.0
.LBB30_332:                             ;   in Loop: Header=BB30_322 Depth=2
	s_andn2_saveexec_b64 s[8:9], s[8:9]
; %bb.333:                              ;   in Loop: Header=BB30_322 Depth=2
	v_mul_f32_e32 v58, v36, v36
	v_fmamk_f32 v59, v58, 0xbbbac73d, v233
	v_fmaak_f32 v59, v58, v59, 0xbd5c1c4e
	v_fmaak_f32 v59, v58, v59, 0x3e088382
	;; [unrolled: 1-line block ×3, first 2 shown]
	v_mul_f32_e64 v59, |v36|, v59
	v_fma_f32 v58, v58, v59, |v36|
; %bb.334:                              ;   in Loop: Header=BB30_322 Depth=2
	s_or_b64 exec, exec, s[8:9]
	v_cmp_nlt_f32_e64 s[8:9], |v37|, s45
                                        ; implicit-def: $vgpr59
	s_and_saveexec_b64 s[74:75], s[8:9]
	s_xor_b64 s[8:9], exec, s[74:75]
	s_cbranch_execz .LBB30_336
; %bb.335:                              ;   in Loop: Header=BB30_322 Depth=2
	v_add_f32_e64 v59, |v37|, |v37|
	v_mul_f32_e32 v61, 0x3fb8aa3b, v59
	v_rndne_f32_e32 v62, v61
	v_sub_f32_e32 v63, v61, v62
	v_fma_f32 v61, v59, s69, -v61
	v_fmac_f32_e32 v61, 0x32a5705f, v59
	v_add_f32_e32 v61, v63, v61
	v_cvt_i32_f32_e32 v62, v62
	v_exp_f32_e32 v61, v61
	v_cmp_ngt_f32_e32 vcc, s92, v59
	v_ldexp_f32 v61, v61, v62
	s_nop 0
	v_cndmask_b32_e32 v61, 0, v61, vcc
	v_cmp_nlt_f32_e32 vcc, s93, v59
	s_nop 1
	v_cndmask_b32_e32 v59, v230, v61, vcc
	v_add_f32_e32 v59, 1.0, v59
	v_rcp_f32_e32 v59, v59
	s_nop 0
	v_fma_f32 v59, v59, -2.0, 1.0
.LBB30_336:                             ;   in Loop: Header=BB30_322 Depth=2
	s_andn2_saveexec_b64 s[8:9], s[8:9]
; %bb.337:                              ;   in Loop: Header=BB30_322 Depth=2
	v_mul_f32_e32 v59, v37, v37
	v_fmamk_f32 v61, v59, 0xbbbac73d, v233
	v_fmaak_f32 v61, v59, v61, 0xbd5c1c4e
	v_fmaak_f32 v61, v59, v61, 0x3e088382
	;; [unrolled: 1-line block ×3, first 2 shown]
	v_mul_f32_e64 v61, |v37|, v61
	v_fma_f32 v59, v59, v61, |v37|
; %bb.338:                              ;   in Loop: Header=BB30_322 Depth=2
	s_or_b64 exec, exec, s[8:9]
	v_cmp_nlt_f32_e64 s[8:9], |v38|, s45
                                        ; implicit-def: $vgpr61
	s_and_saveexec_b64 s[74:75], s[8:9]
	s_xor_b64 s[8:9], exec, s[74:75]
	s_cbranch_execz .LBB30_340
; %bb.339:                              ;   in Loop: Header=BB30_322 Depth=2
	v_add_f32_e64 v61, |v38|, |v38|
	v_mul_f32_e32 v62, 0x3fb8aa3b, v61
	v_rndne_f32_e32 v63, v62
	v_sub_f32_e32 v69, v62, v63
	v_fma_f32 v62, v61, s69, -v62
	v_fmac_f32_e32 v62, 0x32a5705f, v61
	v_add_f32_e32 v62, v69, v62
	v_cvt_i32_f32_e32 v63, v63
	v_exp_f32_e32 v62, v62
	v_cmp_ngt_f32_e32 vcc, s92, v61
	v_ldexp_f32 v62, v62, v63
	s_nop 0
	v_cndmask_b32_e32 v62, 0, v62, vcc
	v_cmp_nlt_f32_e32 vcc, s93, v61
	s_nop 1
	v_cndmask_b32_e32 v61, v230, v62, vcc
	v_add_f32_e32 v61, 1.0, v61
	v_rcp_f32_e32 v61, v61
	s_nop 0
	v_fma_f32 v61, v61, -2.0, 1.0
.LBB30_340:                             ;   in Loop: Header=BB30_322 Depth=2
	s_andn2_saveexec_b64 s[8:9], s[8:9]
; %bb.341:                              ;   in Loop: Header=BB30_322 Depth=2
	v_mul_f32_e32 v61, v38, v38
	v_fmamk_f32 v62, v61, 0xbbbac73d, v233
	v_fmaak_f32 v62, v61, v62, 0xbd5c1c4e
	v_fmaak_f32 v62, v61, v62, 0x3e088382
	v_fmaak_f32 v62, v61, v62, 0xbeaaaa99
	v_mul_f32_e64 v62, |v38|, v62
	v_fma_f32 v61, v61, v62, |v38|
; %bb.342:                              ;   in Loop: Header=BB30_322 Depth=2
	s_or_b64 exec, exec, s[8:9]
	v_cmp_nlt_f32_e64 s[8:9], |v39|, s45
                                        ; implicit-def: $vgpr62
	s_and_saveexec_b64 s[74:75], s[8:9]
	s_xor_b64 s[8:9], exec, s[74:75]
	s_cbranch_execz .LBB30_344
; %bb.343:                              ;   in Loop: Header=BB30_322 Depth=2
	v_add_f32_e64 v62, |v39|, |v39|
	v_mul_f32_e32 v63, 0x3fb8aa3b, v62
	v_rndne_f32_e32 v69, v63
	v_sub_f32_e32 v72, v63, v69
	v_fma_f32 v63, v62, s69, -v63
	v_fmac_f32_e32 v63, 0x32a5705f, v62
	v_add_f32_e32 v63, v72, v63
	v_cvt_i32_f32_e32 v69, v69
	v_exp_f32_e32 v63, v63
	v_cmp_ngt_f32_e32 vcc, s92, v62
	v_ldexp_f32 v63, v63, v69
	s_nop 0
	v_cndmask_b32_e32 v63, 0, v63, vcc
	v_cmp_nlt_f32_e32 vcc, s93, v62
	s_nop 1
	v_cndmask_b32_e32 v62, v230, v63, vcc
	v_add_f32_e32 v62, 1.0, v62
	v_rcp_f32_e32 v62, v62
	s_nop 0
	v_fma_f32 v62, v62, -2.0, 1.0
.LBB30_344:                             ;   in Loop: Header=BB30_322 Depth=2
	s_andn2_saveexec_b64 s[8:9], s[8:9]
; %bb.345:                              ;   in Loop: Header=BB30_322 Depth=2
	v_mul_f32_e32 v62, v39, v39
	v_fmamk_f32 v63, v62, 0xbbbac73d, v233
	v_fmaak_f32 v63, v62, v63, 0xbd5c1c4e
	v_fmaak_f32 v63, v62, v63, 0x3e088382
	v_fmaak_f32 v63, v62, v63, 0xbeaaaa99
	v_mul_f32_e64 v63, |v39|, v63
	v_fma_f32 v62, v62, v63, |v39|
; %bb.346:                              ;   in Loop: Header=BB30_322 Depth=2
	s_or_b64 exec, exec, s[8:9]
	v_cmp_nlt_f32_e64 s[8:9], |v40|, s45
                                        ; implicit-def: $vgpr63
	s_and_saveexec_b64 s[74:75], s[8:9]
	s_xor_b64 s[8:9], exec, s[74:75]
	s_cbranch_execz .LBB30_348
; %bb.347:                              ;   in Loop: Header=BB30_322 Depth=2
	v_add_f32_e64 v63, |v40|, |v40|
	v_mul_f32_e32 v69, 0x3fb8aa3b, v63
	v_rndne_f32_e32 v72, v69
	v_sub_f32_e32 v73, v69, v72
	v_fma_f32 v69, v63, s69, -v69
	v_fmac_f32_e32 v69, 0x32a5705f, v63
	v_add_f32_e32 v69, v73, v69
	v_cvt_i32_f32_e32 v72, v72
	v_exp_f32_e32 v69, v69
	v_cmp_ngt_f32_e32 vcc, s92, v63
	v_ldexp_f32 v69, v69, v72
	s_nop 0
	v_cndmask_b32_e32 v69, 0, v69, vcc
	v_cmp_nlt_f32_e32 vcc, s93, v63
	s_nop 1
	v_cndmask_b32_e32 v63, v230, v69, vcc
	v_add_f32_e32 v63, 1.0, v63
	v_rcp_f32_e32 v63, v63
	s_nop 0
	v_fma_f32 v63, v63, -2.0, 1.0
.LBB30_348:                             ;   in Loop: Header=BB30_322 Depth=2
	s_andn2_saveexec_b64 s[8:9], s[8:9]
; %bb.349:                              ;   in Loop: Header=BB30_322 Depth=2
	v_mul_f32_e32 v63, v40, v40
	v_fmamk_f32 v69, v63, 0xbbbac73d, v233
	v_fmaak_f32 v69, v63, v69, 0xbd5c1c4e
	v_fmaak_f32 v69, v63, v69, 0x3e088382
	;; [unrolled: 1-line block ×3, first 2 shown]
	v_mul_f32_e64 v69, |v40|, v69
	v_fma_f32 v63, v63, v69, |v40|
; %bb.350:                              ;   in Loop: Header=BB30_322 Depth=2
	s_or_b64 exec, exec, s[8:9]
	v_cmp_nlt_f32_e64 s[8:9], |v41|, s45
                                        ; implicit-def: $vgpr69
	s_and_saveexec_b64 s[74:75], s[8:9]
	s_xor_b64 s[8:9], exec, s[74:75]
	s_cbranch_execz .LBB30_352
; %bb.351:                              ;   in Loop: Header=BB30_322 Depth=2
	v_add_f32_e64 v69, |v41|, |v41|
	v_mul_f32_e32 v72, 0x3fb8aa3b, v69
	v_rndne_f32_e32 v73, v72
	v_sub_f32_e32 v76, v72, v73
	v_fma_f32 v72, v69, s69, -v72
	v_fmac_f32_e32 v72, 0x32a5705f, v69
	v_add_f32_e32 v72, v76, v72
	v_cvt_i32_f32_e32 v73, v73
	v_exp_f32_e32 v72, v72
	v_cmp_ngt_f32_e32 vcc, s92, v69
	v_ldexp_f32 v72, v72, v73
	s_nop 0
	v_cndmask_b32_e32 v72, 0, v72, vcc
	v_cmp_nlt_f32_e32 vcc, s93, v69
	s_nop 1
	v_cndmask_b32_e32 v69, v230, v72, vcc
	v_add_f32_e32 v69, 1.0, v69
	v_rcp_f32_e32 v69, v69
	s_nop 0
	v_fma_f32 v69, v69, -2.0, 1.0
.LBB30_352:                             ;   in Loop: Header=BB30_322 Depth=2
	s_andn2_saveexec_b64 s[8:9], s[8:9]
; %bb.353:                              ;   in Loop: Header=BB30_322 Depth=2
	v_mul_f32_e32 v69, v41, v41
	v_fmamk_f32 v72, v69, 0xbbbac73d, v233
	v_fmaak_f32 v72, v69, v72, 0xbd5c1c4e
	v_fmaak_f32 v72, v69, v72, 0x3e088382
	;; [unrolled: 1-line block ×3, first 2 shown]
	v_mul_f32_e64 v72, |v41|, v72
	v_fma_f32 v69, v69, v72, |v41|
; %bb.354:                              ;   in Loop: Header=BB30_322 Depth=2
	s_or_b64 exec, exec, s[8:9]
	v_bfi_b32 v56, s94, v56, v34
	v_add_u32_e32 v34, 0x8400, v191
	v_bfi_b32 v57, s94, v57, v35
	ds_read2_b32 v[34:35], v34 offset1:1
	v_bfi_b32 v37, s94, v59, v37
	v_bfi_b32 v36, s94, v58, v36
	;; [unrolled: 1-line block ×4, first 2 shown]
	s_waitcnt lgkmcnt(0)
	v_fma_mix_f32 v36, s3, v36, v35 op_sel_hi:[0,0,1]
	v_fma_mix_f32 v35, s3, v37, v35 op_sel:[0,0,1] op_sel_hi:[0,0,1]
	ds_read_b32 v37, v198 offset:33792
	v_fma_mix_f32 v56, s3, v56, v34 op_sel_hi:[0,0,1]
	v_fma_mix_f32 v34, s3, v57, v34 op_sel:[0,0,1] op_sel_hi:[0,0,1]
	v_bfi_b32 v40, s94, v63, v40
	v_bfi_b32 v41, s94, v69, v41
	s_waitcnt lgkmcnt(0)
	v_fma_mix_f32 v57, s3, v38, v37 op_sel_hi:[0,0,1]
	ds_read_b32 v38, v199 offset:33792
	v_fma_mix_f32 v37, s3, v39, v37 op_sel:[0,0,1] op_sel_hi:[0,0,1]
	v_add_f32_e32 v39, 0x40051340, v34
	v_lshl_add_u64 v[76:77], v[168:169], 0, v[118:119]
	s_add_i32 s13, s13, -1
	s_waitcnt lgkmcnt(0)
	v_fma_mix_f32 v58, s3, v40, v38 op_sel_hi:[0,0,1]
	v_fma_mix_f32 v41, s3, v41, v38 op_sel:[0,0,1] op_sel_hi:[0,0,1]
	v_add_f32_e32 v38, 0x40051340, v56
	v_max3_f32 v38, v53, v38, v39
	v_add_f32_e32 v39, 0x40051340, v36
	v_add_f32_e32 v40, 0x40051340, v35
	v_max3_f32 v38, v38, v39, v40
	v_add_f32_e32 v39, 0x40051340, v57
	;; [unrolled: 3-line block ×3, first 2 shown]
	v_add_f32_e32 v40, 0x40051340, v41
	v_max3_f32 v38, v38, v39, v40
	ds_bpermute_b32 v39, v229, v38
	s_mov_b64 s[8:9], 0x80
	v_lshl_add_u64 v[160:161], v[160:161], 0, s[8:9]
	v_lshl_add_u64 v[168:169], v[168:169], 0, s[70:71]
	;; [unrolled: 1-line block ×3, first 2 shown]
	s_waitcnt lgkmcnt(0)
	v_max_f32_e32 v39, v39, v39
	v_max_f32_e32 v38, v38, v39
	ds_bpermute_b32 v39, v226, v38
	v_lshl_add_u64 v[158:159], v[158:159], 0, s[72:73]
	v_lshl_add_u64 v[170:171], v[170:171], 0, s[72:73]
	;; [unrolled: 1-line block ×3, first 2 shown]
	s_cmp_lg_u32 s13, 0
	s_waitcnt lgkmcnt(0)
	v_max_f32_e32 v39, v39, v39
	v_max_f32_e32 v231, v38, v39
	v_sub_f32_e32 v38, v56, v231
	v_mul_f32_e32 v39, 0x3fb8aa3b, v38
	v_fma_f32 v40, v38, s69, -v39
	v_rndne_f32_e32 v56, v39
	v_fmac_f32_e32 v40, 0x32a5705f, v38
	v_sub_f32_e32 v39, v39, v56
	v_add_f32_e32 v39, v39, v40
	v_exp_f32_e32 v39, v39
	v_cvt_i32_f32_e32 v40, v56
	v_cmp_ngt_f32_e32 vcc, s92, v38
	v_sub_f32_e32 v34, v34, v231
	v_sub_f32_e32 v36, v36, v231
	v_ldexp_f32 v39, v39, v40
	v_cndmask_b32_e32 v39, 0, v39, vcc
	v_cmp_nlt_f32_e32 vcc, s93, v38
	v_sub_f32_e32 v35, v35, v231
	s_nop 0
	v_cndmask_b32_e32 v38, v230, v39, vcc
	v_mul_f32_e32 v39, 0x3fb8aa3b, v34
	v_fma_f32 v40, v34, s69, -v39
	v_rndne_f32_e32 v56, v39
	v_fmac_f32_e32 v40, 0x32a5705f, v34
	v_sub_f32_e32 v39, v39, v56
	v_add_f32_e32 v39, v39, v40
	v_exp_f32_e32 v39, v39
	v_cvt_i32_f32_e32 v40, v56
	v_cmp_ngt_f32_e32 vcc, s92, v34
	v_ldexp_f32 v39, v39, v40
	v_mul_f32_e32 v40, 0x3fb8aa3b, v36
	v_fma_f32 v56, v36, s69, -v40
	v_rndne_f32_e32 v59, v40
	v_fmac_f32_e32 v56, 0x32a5705f, v36
	v_sub_f32_e32 v40, v40, v59
	v_add_f32_e32 v40, v40, v56
	v_exp_f32_e32 v40, v40
	v_cvt_i32_f32_e32 v56, v59
	v_cndmask_b32_e32 v39, 0, v39, vcc
	v_cmp_nlt_f32_e32 vcc, s93, v34
	v_ldexp_f32 v40, v40, v56
	s_nop 0
	v_cndmask_b32_e32 v39, v230, v39, vcc
	v_cmp_ngt_f32_e32 vcc, s92, v36
	v_add_f32_e32 v34, v38, v39
	v_cvt_pk_f16_f32 v176, v38, v39
	v_cndmask_b32_e32 v40, 0, v40, vcc
	v_cmp_nlt_f32_e32 vcc, s93, v36
	v_mul_f32_e32 v36, 0x3fb8aa3b, v35
	v_fma_f32 v56, v35, s69, -v36
	v_rndne_f32_e32 v59, v36
	v_fmac_f32_e32 v56, 0x32a5705f, v35
	v_sub_f32_e32 v36, v36, v59
	v_add_f32_e32 v36, v36, v56
	v_exp_f32_e32 v36, v36
	v_cvt_i32_f32_e32 v56, v59
	v_cndmask_b32_e32 v40, v230, v40, vcc
	v_cmp_ngt_f32_e32 vcc, s92, v35
	v_add_f32_e32 v34, v40, v34
	v_ldexp_f32 v36, v36, v56
	v_cndmask_b32_e32 v36, 0, v36, vcc
	v_cmp_nlt_f32_e32 vcc, s93, v35
	v_sub_f32_e32 v35, v57, v231
	s_nop 0
	v_cndmask_b32_e32 v56, v230, v36, vcc
	v_mul_f32_e32 v36, 0x3fb8aa3b, v35
	v_fma_f32 v57, v35, s69, -v36
	v_rndne_f32_e32 v59, v36
	v_fmac_f32_e32 v57, 0x32a5705f, v35
	v_sub_f32_e32 v36, v36, v59
	v_add_f32_e32 v36, v36, v57
	v_exp_f32_e32 v36, v36
	v_cvt_i32_f32_e32 v57, v59
	v_cmp_ngt_f32_e32 vcc, s92, v35
	v_add_f32_e32 v34, v56, v34
	v_cvt_pk_f16_f32 v177, v40, v56
	v_ldexp_f32 v36, v36, v57
	v_cndmask_b32_e32 v36, 0, v36, vcc
	v_cmp_nlt_f32_e32 vcc, s93, v35
	v_sub_f32_e32 v35, v37, v231
	s_nop 0
	v_cndmask_b32_e32 v57, v230, v36, vcc
	v_mul_f32_e32 v36, 0x3fb8aa3b, v35
	v_fma_f32 v37, v35, s69, -v36
	v_rndne_f32_e32 v59, v36
	v_fmac_f32_e32 v37, 0x32a5705f, v35
	v_sub_f32_e32 v36, v36, v59
	v_add_f32_e32 v36, v36, v37
	v_exp_f32_e32 v36, v36
	v_cvt_i32_f32_e32 v37, v59
	v_cmp_ngt_f32_e32 vcc, s92, v35
	v_add_f32_e32 v34, v57, v34
	v_ldexp_f32 v36, v36, v37
	v_cndmask_b32_e32 v36, 0, v36, vcc
	v_cmp_nlt_f32_e32 vcc, s93, v35
	v_sub_f32_e32 v35, v58, v231
	s_nop 0
	v_cndmask_b32_e32 v61, v230, v36, vcc
	v_mul_f32_e32 v36, 0x3fb8aa3b, v35
	v_fma_f32 v37, v35, s69, -v36
	v_rndne_f32_e32 v58, v36
	v_fmac_f32_e32 v37, 0x32a5705f, v35
	v_sub_f32_e32 v36, v36, v58
	v_add_f32_e32 v36, v36, v37
	v_exp_f32_e32 v36, v36
	v_cvt_i32_f32_e32 v37, v58
	v_cmp_ngt_f32_e32 vcc, s92, v35
	v_add_f32_e32 v34, v61, v34
	;; [unrolled: 16-line block ×3, first 2 shown]
	v_ldexp_f32 v36, v36, v37
	v_cndmask_b32_e32 v36, 0, v36, vcc
	v_cmp_nlt_f32_e32 vcc, s93, v35
	s_nop 1
	v_cndmask_b32_e32 v72, v230, v36, vcc
	v_add_f32_e32 v228, v72, v34
	v_sub_f32_e32 v34, v53, v231
	v_mul_f32_e32 v35, 0x3fb8aa3b, v34
	v_fma_f32 v36, v34, s69, -v35
	v_rndne_f32_e32 v37, v35
	v_fmac_f32_e32 v36, 0x32a5705f, v34
	v_sub_f32_e32 v35, v35, v37
	v_add_f32_e32 v35, v35, v36
	v_exp_f32_e32 v35, v35
	v_cvt_i32_f32_e32 v36, v37
	v_cmp_ngt_f32_e32 vcc, s92, v34
	v_ldexp_f32 v35, v35, v36
	s_nop 0
	v_cndmask_b32_e32 v35, 0, v35, vcc
	v_cmp_nlt_f32_e32 vcc, s93, v34
	s_nop 1
	v_cndmask_b32_e32 v35, v230, v35, vcc
	v_cmp_le_f32_e32 vcc, s95, v34
	s_nop 1
	v_cndmask_b32_e32 v34, 0, v35, vcc
	v_fmac_f32_e32 v228, v52, v34
	v_cvt_f16_f32_e32 v34, v34
	v_lshl_add_u64 v[52:53], v[164:165], 0, v[118:119]
	v_lshl_add_u64 v[164:165], v[164:165], 0, s[70:71]
	v_mul_u32_u24_e32 v34, 0x10001, v34
	v_pk_mul_f16 v49, v49, v34
	v_pk_mul_f16 v48, v48, v34
	;; [unrolled: 1-line block ×32, first 2 shown]
	v_lshl_add_u64 v[34:35], v[162:163], 0, v[118:119]
	global_load_dwordx4 v[34:37], v[34:35], off
	v_lshl_add_u64 v[64:65], v[166:167], 0, v[118:119]
	v_cvt_pk_f16_f32 v175, v69, v72
	v_cvt_pk_f16_f32 v174, v57, v61
	v_cvt_f32_f16_e32 v220, v43
	v_cvt_f32_f16_sdwa v221, v43 dst_sel:DWORD dst_unused:UNUSED_PAD src0_sel:WORD_1
	v_cvt_f32_f16_e32 v222, v42
	v_cvt_f32_f16_sdwa v223, v42 dst_sel:DWORD dst_unused:UNUSED_PAD src0_sel:WORD_1
	v_lshl_add_u64 v[162:163], v[162:163], 0, s[70:71]
	v_lshl_add_u64 v[166:167], v[166:167], 0, s[70:71]
	s_waitcnt vmcnt(0)
	ds_write_b128 v188, v[34:37]
	global_load_dwordx4 v[34:37], v[52:53], off
	s_waitcnt vmcnt(0)
	ds_write_b128 v236, v[34:37]
	global_load_dwordx4 v[34:37], v[64:65], off
	;; [unrolled: 3-line block ×3, first 2 shown]
	s_waitcnt vmcnt(0)
	ds_write_b128 v238, v[34:37]
	s_waitcnt lgkmcnt(0)
	s_barrier
	ds_read_u16 v44, v192 offset:528
	ds_read_u16 v52, v192 offset:1056
	v_cvt_f32_f16_e32 v36, v48
	v_cvt_f32_f16_sdwa v37, v48 dst_sel:DWORD dst_unused:UNUSED_PAD src0_sel:WORD_1
	ds_read_u16 v48, v193
	ds_read_u16 v53, v193 offset:32
	v_cvt_f32_f16_e32 v34, v49
	v_cvt_f32_f16_sdwa v35, v49 dst_sel:DWORD dst_unused:UNUSED_PAD src0_sel:WORD_1
	s_waitcnt lgkmcnt(1)
	v_perm_b32 v49, v48, v52, s96
	ds_read_u16 v48, v192
	ds_read_u16 v52, v192 offset:32
	s_waitcnt lgkmcnt(1)
	v_perm_b32 v48, v44, v48, s96
	s_nop 1
	v_mfma_f32_16x16x16_f16 v[34:37], v[48:49], v[176:177], v[34:37]
	ds_read_u16 v38, v192 offset:16896
	ds_read_u16 v40, v192 offset:17424
	;; [unrolled: 1-line block ×4, first 2 shown]
	s_nop 3
	v_cvt_f16_f32_e32 v34, v34
	v_cvt_f16_f32_e32 v35, v35
	;; [unrolled: 1-line block ×4, first 2 shown]
	s_waitcnt lgkmcnt(0)
	v_perm_b32 v39, v44, v39, s96
	v_perm_b32 v38, v40, v38, s96
	ds_read_u16 v44, v192 offset:560
	ds_read_u16 v48, v192 offset:1088
	v_cvt_f32_f16_e32 v34, v34
	v_cvt_f32_f16_e32 v35, v35
	;; [unrolled: 1-line block ×4, first 2 shown]
	s_waitcnt lgkmcnt(1)
	v_perm_b32 v44, v44, v52, s96
	v_cvt_f32_f16_e32 v40, v41
	v_mfma_f32_16x16x16_f16 v[34:37], v[38:39], v[174:175], v[34:37]
	v_cvt_f32_f16_e32 v38, v45
	v_cvt_f32_f16_sdwa v39, v45 dst_sel:DWORD dst_unused:UNUSED_PAD src0_sel:WORD_1
	s_waitcnt lgkmcnt(0)
	v_perm_b32 v45, v53, v48, s96
	v_cvt_f32_f16_sdwa v41, v41 dst_sel:DWORD dst_unused:UNUSED_PAD src0_sel:WORD_1
	s_nop 1
	v_mfma_f32_16x16x16_f16 v[38:41], v[44:45], v[176:177], v[38:41]
	ds_read_u16 v44, v192 offset:16928
	ds_read_u16 v48, v192 offset:17456
	;; [unrolled: 1-line block ×4, first 2 shown]
	s_nop 3
	v_cvt_f16_f32_e32 v38, v38
	v_cvt_f16_f32_e32 v39, v39
	;; [unrolled: 1-line block ×4, first 2 shown]
	s_waitcnt lgkmcnt(0)
	v_perm_b32 v45, v49, v45, s96
	v_perm_b32 v44, v48, v44, s96
	v_cvt_f32_f16_e32 v38, v38
	v_cvt_f32_f16_e32 v39, v39
	;; [unrolled: 1-line block ×4, first 2 shown]
	s_nop 1
	v_mfma_f32_16x16x16_f16 v[38:41], v[44:45], v[174:175], v[38:41]
	ds_read_u16 v44, v192 offset:64
	ds_read_u16 v45, v192 offset:592
	ds_read_u16 v48, v192 offset:1120
	ds_read_u16 v49, v193 offset:64
	s_waitcnt lgkmcnt(2)
	v_perm_b32 v42, v45, v44, s96
	s_waitcnt lgkmcnt(0)
	v_perm_b32 v43, v49, v48, s96
	ds_read_u16 v48, v192 offset:16960
	ds_read_u16 v52, v192 offset:17488
	;; [unrolled: 1-line block ×4, first 2 shown]
	v_mfma_f32_16x16x16_f16 v[42:45], v[42:43], v[176:177], v[220:223]
	s_waitcnt lgkmcnt(0)
	v_perm_b32 v49, v53, v49, s96
	v_perm_b32 v48, v52, v48, s96
	v_cvt_f32_f16_e32 v220, v47
	s_nop 3
	v_cvt_f16_f32_e32 v42, v42
	v_cvt_f16_f32_e32 v43, v43
	;; [unrolled: 1-line block ×4, first 2 shown]
	v_cvt_f32_f16_e32 v42, v42
	v_cvt_f32_f16_e32 v43, v43
	v_cvt_f32_f16_e32 v44, v44
	v_cvt_f32_f16_e32 v45, v45
	v_cvt_f32_f16_sdwa v221, v47 dst_sel:DWORD dst_unused:UNUSED_PAD src0_sel:WORD_1
	v_cvt_f32_f16_e32 v222, v46
	v_mfma_f32_16x16x16_f16 v[42:45], v[48:49], v[174:175], v[42:45]
	ds_read_u16 v48, v192 offset:96
	ds_read_u16 v49, v192 offset:624
	;; [unrolled: 1-line block ×4, first 2 shown]
	v_cvt_f32_f16_sdwa v223, v46 dst_sel:DWORD dst_unused:UNUSED_PAD src0_sel:WORD_1
	s_waitcnt lgkmcnt(2)
	v_perm_b32 v46, v49, v48, s96
	s_nop 0
	v_cvt_pk_f16_f32 v43, v42, v43
	s_waitcnt lgkmcnt(0)
	v_perm_b32 v47, v53, v52, s96
	ds_read_u16 v52, v192 offset:16992
	ds_read_u16 v56, v192 offset:17520
	ds_read_u16 v53, v192 offset:18048
	ds_read_u16 v57, v193 offset:16992
	v_mfma_f32_16x16x16_f16 v[46:49], v[46:47], v[176:177], v[220:223]
	s_waitcnt lgkmcnt(0)
	v_perm_b32 v53, v57, v53, s96
	v_perm_b32 v52, v56, v52, s96
	v_cvt_f32_f16_e32 v220, v51
	s_nop 3
	v_cvt_f16_f32_e32 v46, v46
	v_cvt_f16_f32_e32 v47, v47
	v_cvt_f16_f32_e32 v48, v48
	v_cvt_f16_f32_e32 v49, v49
	v_cvt_f32_f16_e32 v46, v46
	v_cvt_f32_f16_e32 v47, v47
	v_cvt_f32_f16_e32 v48, v48
	v_cvt_f32_f16_e32 v49, v49
	v_cvt_f32_f16_sdwa v221, v51 dst_sel:DWORD dst_unused:UNUSED_PAD src0_sel:WORD_1
	v_cvt_f32_f16_e32 v222, v50
	v_mfma_f32_16x16x16_f16 v[46:49], v[52:53], v[174:175], v[46:49]
	ds_read_u16 v52, v192 offset:128
	ds_read_u16 v53, v192 offset:656
	ds_read_u16 v56, v192 offset:1184
	ds_read_u16 v57, v193 offset:128
	v_cvt_f32_f16_sdwa v223, v50 dst_sel:DWORD dst_unused:UNUSED_PAD src0_sel:WORD_1
	v_cvt_pk_f16_f32 v42, v44, v45
	s_waitcnt lgkmcnt(2)
	v_perm_b32 v50, v53, v52, s96
	v_cvt_pk_f16_f32 v47, v46, v47
	s_waitcnt lgkmcnt(0)
	v_perm_b32 v51, v57, v56, s96
	ds_read_u16 v56, v192 offset:17024
	ds_read_u16 v60, v192 offset:17552
	ds_read_u16 v57, v192 offset:18080
	ds_read_u16 v61, v193 offset:17024
	v_mfma_f32_16x16x16_f16 v[50:53], v[50:51], v[176:177], v[220:223]
	s_waitcnt lgkmcnt(0)
	v_perm_b32 v57, v61, v57, s96
	v_perm_b32 v56, v60, v56, s96
	v_cvt_f32_f16_e32 v220, v55
	s_nop 3
	v_cvt_f16_f32_e32 v50, v50
	v_cvt_f16_f32_e32 v51, v51
	v_cvt_f16_f32_e32 v52, v52
	v_cvt_f16_f32_e32 v53, v53
	v_cvt_f32_f16_e32 v50, v50
	v_cvt_f32_f16_e32 v51, v51
	v_cvt_f32_f16_e32 v52, v52
	v_cvt_f32_f16_e32 v53, v53
	v_cvt_f32_f16_sdwa v221, v55 dst_sel:DWORD dst_unused:UNUSED_PAD src0_sel:WORD_1
	v_cvt_f32_f16_e32 v222, v54
	v_mfma_f32_16x16x16_f16 v[50:53], v[56:57], v[174:175], v[50:53]
	ds_read_u16 v56, v192 offset:160
	ds_read_u16 v57, v192 offset:688
	ds_read_u16 v60, v192 offset:1216
	ds_read_u16 v61, v193 offset:160
	v_cvt_f32_f16_sdwa v223, v54 dst_sel:DWORD dst_unused:UNUSED_PAD src0_sel:WORD_1
	v_cvt_pk_f16_f32 v46, v48, v49
	s_waitcnt lgkmcnt(2)
	v_perm_b32 v54, v57, v56, s96
	;; [unrolled: 32-line block ×4, first 2 shown]
	v_cvt_pk_f16_f32 v60, v60, v61
	s_waitcnt lgkmcnt(0)
	v_perm_b32 v63, v69, v68, s96
	v_cvt_pk_f16_f32 v45, v38, v39
	v_cvt_pk_f16_f32 v44, v40, v41
	v_mfma_f32_16x16x16_f16 v[220:223], v[62:63], v[176:177], v[220:223]
	ds_read_u16 v62, v192 offset:17120
	ds_read_u16 v63, v192 offset:17648
	;; [unrolled: 1-line block ×4, first 2 shown]
	v_cvt_pk_f16_f32 v49, v34, v35
	v_cvt_pk_f16_f32 v48, v36, v37
	s_nop 1
	v_cvt_f16_f32_e32 v64, v220
	v_cvt_f16_f32_e32 v65, v221
	;; [unrolled: 1-line block ×4, first 2 shown]
	v_cvt_f32_f16_e32 v220, v64
	v_cvt_f32_f16_e32 v221, v65
	;; [unrolled: 1-line block ×4, first 2 shown]
	s_waitcnt lgkmcnt(0)
	v_perm_b32 v65, v73, v72, s96
	v_perm_b32 v64, v63, v62, s96
	ds_read_u16 v68, v192 offset:256
	ds_read_u16 v69, v192 offset:784
	;; [unrolled: 1-line block ×4, first 2 shown]
	v_mfma_f32_16x16x16_f16 v[62:65], v[64:65], v[174:175], v[220:223]
	s_nop 2
	v_cvt_f32_f16_e32 v220, v67
	v_cvt_f32_f16_sdwa v221, v67 dst_sel:DWORD dst_unused:UNUSED_PAD src0_sel:WORD_1
	v_cvt_f32_f16_e32 v222, v66
	v_cvt_f32_f16_sdwa v223, v66 dst_sel:DWORD dst_unused:UNUSED_PAD src0_sel:WORD_1
	s_waitcnt lgkmcnt(0)
	v_perm_b32 v67, v73, v72, s96
	v_perm_b32 v66, v69, v68, s96
	ds_read_u16 v72, v192 offset:17152
	ds_read_u16 v76, v192 offset:17680
	ds_read_u16 v73, v192 offset:18208
	ds_read_u16 v77, v193 offset:17152
	v_mfma_f32_16x16x16_f16 v[66:69], v[66:67], v[176:177], v[220:223]
	s_waitcnt lgkmcnt(0)
	v_perm_b32 v73, v77, v73, s96
	v_perm_b32 v72, v76, v72, s96
	v_cvt_f32_f16_e32 v220, v71
	s_nop 3
	v_cvt_f16_f32_e32 v66, v66
	v_cvt_f16_f32_e32 v67, v67
	v_cvt_f16_f32_e32 v68, v68
	v_cvt_f16_f32_e32 v69, v69
	v_cvt_f32_f16_e32 v66, v66
	v_cvt_f32_f16_e32 v67, v67
	v_cvt_f32_f16_e32 v68, v68
	v_cvt_f32_f16_e32 v69, v69
	v_cvt_f32_f16_sdwa v221, v71 dst_sel:DWORD dst_unused:UNUSED_PAD src0_sel:WORD_1
	v_cvt_f32_f16_e32 v222, v70
	v_mfma_f32_16x16x16_f16 v[66:69], v[72:73], v[174:175], v[66:69]
	ds_read_u16 v72, v192 offset:288
	ds_read_u16 v73, v192 offset:816
	ds_read_u16 v76, v192 offset:1344
	ds_read_u16 v77, v193 offset:288
	v_cvt_f32_f16_sdwa v223, v70 dst_sel:DWORD dst_unused:UNUSED_PAD src0_sel:WORD_1
	v_cvt_pk_f16_f32 v64, v64, v65
	s_waitcnt lgkmcnt(2)
	v_perm_b32 v70, v73, v72, s96
	v_cvt_pk_f16_f32 v67, v66, v67
	s_waitcnt lgkmcnt(0)
	v_perm_b32 v71, v77, v76, s96
	ds_read_u16 v76, v192 offset:17184
	ds_read_u16 v80, v192 offset:17712
	ds_read_u16 v77, v192 offset:18240
	ds_read_u16 v81, v193 offset:17184
	v_mfma_f32_16x16x16_f16 v[70:73], v[70:71], v[176:177], v[220:223]
	s_waitcnt lgkmcnt(0)
	v_perm_b32 v77, v81, v77, s96
	v_perm_b32 v76, v80, v76, s96
	v_cvt_f32_f16_e32 v220, v75
	s_nop 3
	v_cvt_f16_f32_e32 v70, v70
	v_cvt_f16_f32_e32 v71, v71
	v_cvt_f16_f32_e32 v72, v72
	v_cvt_f16_f32_e32 v73, v73
	v_cvt_f32_f16_e32 v70, v70
	v_cvt_f32_f16_e32 v71, v71
	v_cvt_f32_f16_e32 v72, v72
	v_cvt_f32_f16_e32 v73, v73
	v_cvt_f32_f16_sdwa v221, v75 dst_sel:DWORD dst_unused:UNUSED_PAD src0_sel:WORD_1
	v_cvt_f32_f16_e32 v222, v74
	v_mfma_f32_16x16x16_f16 v[70:73], v[76:77], v[174:175], v[70:73]
	ds_read_u16 v76, v192 offset:320
	ds_read_u16 v77, v192 offset:848
	ds_read_u16 v80, v192 offset:1376
	ds_read_u16 v81, v193 offset:320
	v_cvt_f32_f16_sdwa v223, v74 dst_sel:DWORD dst_unused:UNUSED_PAD src0_sel:WORD_1
	v_cvt_pk_f16_f32 v66, v68, v69
	s_waitcnt lgkmcnt(2)
	v_perm_b32 v74, v77, v76, s96
	v_cvt_pk_f16_f32 v71, v70, v71
	s_waitcnt lgkmcnt(0)
	;; [unrolled: 32-line block ×6, first 2 shown]
	v_perm_b32 v91, v219, v218, s96
	v_cvt_pk_f16_f32 v86, v88, v89
	v_cvt_pk_f16_f32 v68, v62, v63
	v_mfma_f32_16x16x16_f16 v[90:93], v[90:91], v[176:177], v[220:223]
	ds_read_u16 v218, v192 offset:17344
	s_nop 1
	ds_read_u16 v220, v192 offset:17872
	ds_read_u16 v219, v192 offset:18400
	;; [unrolled: 1-line block ×3, first 2 shown]
	v_cvt_f32_f16_e32 v222, v224
	v_cvt_f32_f16_sdwa v223, v224 dst_sel:DWORD dst_unused:UNUSED_PAD src0_sel:WORD_1
	v_cvt_f16_f32_e32 v90, v90
	v_cvt_f16_f32_e32 v91, v91
	;; [unrolled: 1-line block ×4, first 2 shown]
	s_waitcnt lgkmcnt(0)
	v_perm_b32 v219, v221, v219, s96
	v_perm_b32 v218, v220, v218, s96
	v_cvt_f32_f16_e32 v90, v90
	v_cvt_f32_f16_e32 v91, v91
	v_cvt_f32_f16_e32 v92, v92
	v_cvt_f32_f16_e32 v93, v93
	v_cvt_f32_f16_e32 v220, v227
	v_cvt_f32_f16_sdwa v221, v227 dst_sel:DWORD dst_unused:UNUSED_PAD src0_sel:WORD_1
	v_mfma_f32_16x16x16_f16 v[90:93], v[218:219], v[174:175], v[90:93]
	ds_read_u16 v218, v192 offset:480
	ds_read_u16 v225, v192 offset:1008
	;; [unrolled: 1-line block ×4, first 2 shown]
	v_cvt_pk_f16_f32 v65, v58, v59
	s_waitcnt lgkmcnt(2)
	v_perm_b32 v218, v225, v218, s96
	s_nop 0
	v_cvt_pk_f16_f32 v91, v90, v91
	s_waitcnt lgkmcnt(0)
	v_perm_b32 v219, v216, v219, s96
	v_cvt_pk_f16_f32 v90, v92, v93
	s_nop 0
	v_mfma_f32_16x16x16_f16 v[220:223], v[218:219], v[176:177], v[220:223]
	s_nop 7
	v_cvt_f16_f32_e32 v227, v222
	v_cvt_f16_f32_e32 v222, v223
	ds_read_u16 v176, v192 offset:17376
	ds_read_u16 v177, v192 offset:17904
	ds_read_u16 v216, v192 offset:18432
	ds_read_u16 v223, v193 offset:17376
	v_cvt_f16_f32_e32 v224, v220
	v_cvt_f16_f32_e32 v225, v221
	v_cvt_f32_f16_e32 v221, v222
	s_waitcnt lgkmcnt(2)
	v_perm_b32 v222, v177, v176, s96
	s_waitcnt lgkmcnt(0)
	v_perm_b32 v223, v223, v216, s96
	v_cvt_f32_f16_e32 v218, v224
	v_cvt_f32_f16_e32 v219, v225
	;; [unrolled: 1-line block ×3, first 2 shown]
	s_barrier
	s_nop 0
	v_mfma_f32_16x16x16_f16 v[174:177], v[222:223], v[174:175], v[218:221]
	s_nop 7
	v_cvt_pk_f16_f32 v174, v174, v175
	v_cvt_pk_f16_f32 v175, v176, v177
	s_cbranch_scc0 .LBB30_357
; %bb.355:                              ;   in Loop: Header=BB30_322 Depth=2
	v_mov_b32_e32 v52, v228
	v_mov_b32_e32 v53, v231
	s_branch .LBB30_322
.LBB30_356:                             ;   in Loop: Header=BB30_10 Depth=1
	v_mov_b32_e32 v231, 0xfeffffff
	v_mov_b32_e32 v228, 0
	s_mov_b64 s[8:9], 0
	v_mov_b32_e32 v48, 0
	v_mov_b32_e32 v49, 0
	;; [unrolled: 1-line block ×32, first 2 shown]
	s_branch .LBB30_358
.LBB30_357:                             ;   in Loop: Header=BB30_10 Depth=1
	s_lshl_b32 s62, s12, 6
	s_mov_b64 s[8:9], s[62:63]
.LBB30_358:                             ;   in Loop: Header=BB30_10 Depth=1
	v_mad_i64_i32 v[34:35], s[12:13], v98, s44, 0
	s_lshl_b64 s[12:13], s[8:9], 1
	s_nop 0
	v_lshl_add_u64 v[36:37], v[154:155], 0, s[12:13]
	s_mul_i32 s9, s8, s39
	s_mul_hi_u32 s12, s8, s38
	v_lshl_add_u64 v[34:35], v[34:35], 1, v[36:37]
	v_lshlrev_b32_e32 v98, 1, v108
	s_add_i32 s13, s12, s9
	s_mul_i32 s12, s8, s38
	v_lshl_add_u64 v[34:35], v[34:35], 0, v[98:99]
	s_lshl_b64 s[12:13], s[12:13], 2
	global_load_dword v61, v[34:35], off
	v_lshl_add_u64 v[34:35], v[152:153], 0, s[12:13]
	v_lshl_add_u64 v[36:37], v[100:101], 2, v[34:35]
	v_lshlrev_b32_e32 v98, 2, v96
	v_lshl_add_u64 v[38:39], v[102:103], 2, v[34:35]
	v_lshl_add_u64 v[36:37], v[36:37], 0, v[98:99]
	;; [unrolled: 1-line block ×7, first 2 shown]
	global_load_dwordx4 v[34:37], v[36:37], off
	s_nop 0
	global_load_dwordx4 v[38:41], v[38:39], off
	s_nop 0
	global_load_dwordx4 v[56:59], v[52:53], off
	global_load_dwordx4 v[152:155], v[62:63], off
	v_add_u32_e32 v52, 0x4000, v190
	s_waitcnt vmcnt(4)
	ds_write_b32 v197, v61 offset:33792
	s_waitcnt vmcnt(3)
	ds_write_b128 v188, v[34:37]
	s_waitcnt vmcnt(2)
	ds_write_b128 v236, v[38:41]
	;; [unrolled: 2-line block ×4, first 2 shown]
	s_waitcnt lgkmcnt(0)
	s_barrier
	ds_read2_b64 v[34:37], v190 offset1:4
	ds_read2_b64 v[56:59], v52 offset0:64 offset1:68
	s_waitcnt lgkmcnt(1)
	v_mfma_f32_16x16x16_f16 v[38:41], v[34:35], v[30:31], 0
	s_waitcnt lgkmcnt(0)
	v_mfma_f32_16x16x16_f16 v[152:155], v[56:57], v[30:31], 0
	v_mfma_f32_16x16x16_f16 v[34:37], v[36:37], v[32:33], v[38:41]
	;; [unrolled: 1-line block ×3, first 2 shown]
	s_nop 3
	ds_read2_b64 v[38:41], v190 offset0:8 offset1:12
	ds_read2_b64 v[56:59], v52 offset0:72 offset1:76
	s_waitcnt lgkmcnt(1)
	v_mfma_f32_16x16x16_f16 v[34:37], v[38:39], v[26:27], v[34:37]
	s_waitcnt lgkmcnt(0)
	v_mfma_f32_16x16x16_f16 v[30:33], v[56:57], v[26:27], v[30:33]
	v_mfma_f32_16x16x16_f16 v[34:37], v[40:41], v[28:29], v[34:37]
	ds_read2_b64 v[38:41], v52 offset0:80 offset1:84
	v_mfma_f32_16x16x16_f16 v[26:29], v[58:59], v[28:29], v[30:33]
	s_nop 4
	ds_read2_b64 v[30:33], v190 offset0:16 offset1:20
	s_waitcnt lgkmcnt(0)
	v_mfma_f32_16x16x16_f16 v[34:37], v[30:31], v[22:23], v[34:37]
	v_mfma_f32_16x16x16_f16 v[26:29], v[38:39], v[22:23], v[26:29]
	v_mfma_f32_16x16x16_f16 v[30:33], v[32:33], v[24:25], v[34:37]
	v_mfma_f32_16x16x16_f16 v[22:25], v[40:41], v[24:25], v[26:29]
	s_nop 4
	ds_read2_b64 v[34:37], v52 offset0:88 offset1:92
	ds_read2_b64 v[26:29], v190 offset0:24 offset1:28
	s_waitcnt lgkmcnt(0)
	v_mfma_f32_16x16x16_f16 v[30:33], v[26:27], v[18:19], v[30:33]
	v_mfma_f32_16x16x16_f16 v[22:25], v[34:35], v[18:19], v[22:25]
	v_mfma_f32_16x16x16_f16 v[26:29], v[28:29], v[20:21], v[30:33]
	v_mfma_f32_16x16x16_f16 v[18:21], v[36:37], v[20:21], v[22:25]
	s_nop 4
	ds_read2_b64 v[30:33], v52 offset0:96 offset1:100
	ds_read2_b64 v[22:25], v190 offset0:32 offset1:36
	s_waitcnt lgkmcnt(0)
	v_mfma_f32_16x16x16_f16 v[26:29], v[22:23], v[14:15], v[26:29]
	v_mfma_f32_16x16x16_f16 v[18:21], v[30:31], v[14:15], v[18:21]
	v_mfma_f32_16x16x16_f16 v[22:25], v[24:25], v[16:17], v[26:29]
	v_mfma_f32_16x16x16_f16 v[14:17], v[32:33], v[16:17], v[18:21]
	s_nop 4
	ds_read2_b64 v[26:29], v52 offset0:104 offset1:108
	ds_read2_b64 v[18:21], v190 offset0:40 offset1:44
	s_waitcnt lgkmcnt(0)
	v_mfma_f32_16x16x16_f16 v[22:25], v[18:19], v[10:11], v[22:25]
	v_mfma_f32_16x16x16_f16 v[14:17], v[26:27], v[10:11], v[14:17]
	v_mfma_f32_16x16x16_f16 v[18:21], v[20:21], v[12:13], v[22:25]
	v_mfma_f32_16x16x16_f16 v[10:13], v[28:29], v[12:13], v[14:17]
	s_nop 4
	ds_read2_b64 v[22:25], v52 offset0:112 offset1:116
	ds_read2_b64 v[14:17], v190 offset0:48 offset1:52
	s_waitcnt lgkmcnt(0)
	v_mfma_f32_16x16x16_f16 v[18:21], v[14:15], v[6:7], v[18:21]
	v_mfma_f32_16x16x16_f16 v[10:13], v[22:23], v[6:7], v[10:13]
	v_mfma_f32_16x16x16_f16 v[14:17], v[16:17], v[8:9], v[18:21]
	v_mfma_f32_16x16x16_f16 v[6:9], v[24:25], v[8:9], v[10:13]
	s_nop 4
	ds_read2_b64 v[18:21], v52 offset0:120 offset1:124
	ds_read2_b64 v[10:13], v190 offset0:56 offset1:60
	s_waitcnt lgkmcnt(0)
	v_mfma_f32_16x16x16_f16 v[14:17], v[10:11], v[2:3], v[14:17]
	s_barrier
	v_mfma_f32_16x16x16_f16 v[22:25], v[18:19], v[2:3], v[6:9]
                                        ; implicit-def: $vgpr10
	v_mfma_f32_16x16x16_f16 v[6:9], v[12:13], v[4:5], v[14:17]
	v_mfma_f32_16x16x16_f16 v[2:5], v[20:21], v[4:5], v[22:25]
	s_nop 6
	v_cmp_nlt_f32_e64 s[12:13], |v6|, s45
	s_and_saveexec_b64 s[74:75], s[12:13]
	s_xor_b64 s[12:13], exec, s[74:75]
	s_cbranch_execz .LBB30_360
; %bb.359:                              ;   in Loop: Header=BB30_10 Depth=1
	v_add_f32_e64 v10, |v6|, |v6|
	v_mul_f32_e32 v11, 0x3fb8aa3b, v10
	v_rndne_f32_e32 v12, v11
	v_sub_f32_e32 v13, v11, v12
	v_fma_f32 v11, v10, s69, -v11
	v_fmac_f32_e32 v11, 0x32a5705f, v10
	v_add_f32_e32 v11, v13, v11
	v_cvt_i32_f32_e32 v12, v12
	v_exp_f32_e32 v11, v11
	v_cmp_ngt_f32_e32 vcc, s92, v10
	v_ldexp_f32 v11, v11, v12
	s_nop 0
	v_cndmask_b32_e32 v11, 0, v11, vcc
	v_cmp_nlt_f32_e32 vcc, s93, v10
	s_nop 1
	v_cndmask_b32_e32 v10, v230, v11, vcc
	v_add_f32_e32 v10, 1.0, v10
	v_rcp_f32_e32 v10, v10
	s_nop 0
	v_fma_f32 v10, v10, -2.0, 1.0
.LBB30_360:                             ;   in Loop: Header=BB30_10 Depth=1
	s_andn2_saveexec_b64 s[12:13], s[12:13]
; %bb.361:                              ;   in Loop: Header=BB30_10 Depth=1
	v_mul_f32_e32 v10, v6, v6
	v_fmamk_f32 v11, v10, 0xbbbac73d, v233
	v_fmaak_f32 v11, v10, v11, 0xbd5c1c4e
	v_fmaak_f32 v11, v10, v11, 0x3e088382
	;; [unrolled: 1-line block ×3, first 2 shown]
	v_mul_f32_e64 v11, |v6|, v11
	v_fma_f32 v10, v10, v11, |v6|
; %bb.362:                              ;   in Loop: Header=BB30_10 Depth=1
	s_or_b64 exec, exec, s[12:13]
	v_cmp_nlt_f32_e64 s[12:13], |v7|, s45
                                        ; implicit-def: $vgpr11
	s_and_saveexec_b64 s[74:75], s[12:13]
	s_xor_b64 s[12:13], exec, s[74:75]
	s_cbranch_execz .LBB30_364
; %bb.363:                              ;   in Loop: Header=BB30_10 Depth=1
	v_add_f32_e64 v11, |v7|, |v7|
	v_mul_f32_e32 v12, 0x3fb8aa3b, v11
	v_rndne_f32_e32 v13, v12
	v_sub_f32_e32 v14, v12, v13
	v_fma_f32 v12, v11, s69, -v12
	v_fmac_f32_e32 v12, 0x32a5705f, v11
	v_add_f32_e32 v12, v14, v12
	v_cvt_i32_f32_e32 v13, v13
	v_exp_f32_e32 v12, v12
	v_cmp_ngt_f32_e32 vcc, s92, v11
	v_ldexp_f32 v12, v12, v13
	s_nop 0
	v_cndmask_b32_e32 v12, 0, v12, vcc
	v_cmp_nlt_f32_e32 vcc, s93, v11
	s_nop 1
	v_cndmask_b32_e32 v11, v230, v12, vcc
	v_add_f32_e32 v11, 1.0, v11
	v_rcp_f32_e32 v11, v11
	s_nop 0
	v_fma_f32 v11, v11, -2.0, 1.0
.LBB30_364:                             ;   in Loop: Header=BB30_10 Depth=1
	s_andn2_saveexec_b64 s[12:13], s[12:13]
; %bb.365:                              ;   in Loop: Header=BB30_10 Depth=1
	v_mul_f32_e32 v11, v7, v7
	v_fmamk_f32 v12, v11, 0xbbbac73d, v233
	v_fmaak_f32 v12, v11, v12, 0xbd5c1c4e
	v_fmaak_f32 v12, v11, v12, 0x3e088382
	;; [unrolled: 1-line block ×3, first 2 shown]
	v_mul_f32_e64 v12, |v7|, v12
	v_fma_f32 v11, v11, v12, |v7|
; %bb.366:                              ;   in Loop: Header=BB30_10 Depth=1
	s_or_b64 exec, exec, s[12:13]
	v_cmp_nlt_f32_e64 s[12:13], |v8|, s45
                                        ; implicit-def: $vgpr12
	s_and_saveexec_b64 s[74:75], s[12:13]
	s_xor_b64 s[12:13], exec, s[74:75]
	s_cbranch_execz .LBB30_368
; %bb.367:                              ;   in Loop: Header=BB30_10 Depth=1
	v_add_f32_e64 v12, |v8|, |v8|
	v_mul_f32_e32 v13, 0x3fb8aa3b, v12
	v_rndne_f32_e32 v14, v13
	v_sub_f32_e32 v15, v13, v14
	v_fma_f32 v13, v12, s69, -v13
	v_fmac_f32_e32 v13, 0x32a5705f, v12
	v_add_f32_e32 v13, v15, v13
	v_cvt_i32_f32_e32 v14, v14
	v_exp_f32_e32 v13, v13
	v_cmp_ngt_f32_e32 vcc, s92, v12
	v_ldexp_f32 v13, v13, v14
	s_nop 0
	v_cndmask_b32_e32 v13, 0, v13, vcc
	v_cmp_nlt_f32_e32 vcc, s93, v12
	s_nop 1
	v_cndmask_b32_e32 v12, v230, v13, vcc
	v_add_f32_e32 v12, 1.0, v12
	v_rcp_f32_e32 v12, v12
	s_nop 0
	v_fma_f32 v12, v12, -2.0, 1.0
.LBB30_368:                             ;   in Loop: Header=BB30_10 Depth=1
	s_andn2_saveexec_b64 s[12:13], s[12:13]
; %bb.369:                              ;   in Loop: Header=BB30_10 Depth=1
	v_mul_f32_e32 v12, v8, v8
	v_fmamk_f32 v13, v12, 0xbbbac73d, v233
	v_fmaak_f32 v13, v12, v13, 0xbd5c1c4e
	v_fmaak_f32 v13, v12, v13, 0x3e088382
	;; [unrolled: 1-line block ×3, first 2 shown]
	v_mul_f32_e64 v13, |v8|, v13
	v_fma_f32 v12, v12, v13, |v8|
; %bb.370:                              ;   in Loop: Header=BB30_10 Depth=1
	s_or_b64 exec, exec, s[12:13]
	v_cmp_nlt_f32_e64 s[12:13], |v9|, s45
                                        ; implicit-def: $vgpr13
	s_and_saveexec_b64 s[74:75], s[12:13]
	s_xor_b64 s[12:13], exec, s[74:75]
	s_cbranch_execz .LBB30_372
; %bb.371:                              ;   in Loop: Header=BB30_10 Depth=1
	v_add_f32_e64 v13, |v9|, |v9|
	v_mul_f32_e32 v14, 0x3fb8aa3b, v13
	v_rndne_f32_e32 v15, v14
	v_sub_f32_e32 v16, v14, v15
	v_fma_f32 v14, v13, s69, -v14
	v_fmac_f32_e32 v14, 0x32a5705f, v13
	v_add_f32_e32 v14, v16, v14
	v_cvt_i32_f32_e32 v15, v15
	v_exp_f32_e32 v14, v14
	v_cmp_ngt_f32_e32 vcc, s92, v13
	v_ldexp_f32 v14, v14, v15
	s_nop 0
	v_cndmask_b32_e32 v14, 0, v14, vcc
	v_cmp_nlt_f32_e32 vcc, s93, v13
	s_nop 1
	v_cndmask_b32_e32 v13, v230, v14, vcc
	v_add_f32_e32 v13, 1.0, v13
	v_rcp_f32_e32 v13, v13
	s_nop 0
	v_fma_f32 v13, v13, -2.0, 1.0
.LBB30_372:                             ;   in Loop: Header=BB30_10 Depth=1
	s_andn2_saveexec_b64 s[12:13], s[12:13]
; %bb.373:                              ;   in Loop: Header=BB30_10 Depth=1
	v_mul_f32_e32 v13, v9, v9
	v_fmamk_f32 v14, v13, 0xbbbac73d, v233
	v_fmaak_f32 v14, v13, v14, 0xbd5c1c4e
	v_fmaak_f32 v14, v13, v14, 0x3e088382
	;; [unrolled: 1-line block ×3, first 2 shown]
	v_mul_f32_e64 v14, |v9|, v14
	v_fma_f32 v13, v13, v14, |v9|
; %bb.374:                              ;   in Loop: Header=BB30_10 Depth=1
	s_or_b64 exec, exec, s[12:13]
	v_cmp_nlt_f32_e64 s[12:13], |v2|, s45
                                        ; implicit-def: $vgpr14
	s_and_saveexec_b64 s[74:75], s[12:13]
	s_xor_b64 s[12:13], exec, s[74:75]
	s_cbranch_execz .LBB30_376
; %bb.375:                              ;   in Loop: Header=BB30_10 Depth=1
	v_add_f32_e64 v14, |v2|, |v2|
	v_mul_f32_e32 v15, 0x3fb8aa3b, v14
	v_rndne_f32_e32 v16, v15
	v_sub_f32_e32 v17, v15, v16
	v_fma_f32 v15, v14, s69, -v15
	v_fmac_f32_e32 v15, 0x32a5705f, v14
	v_add_f32_e32 v15, v17, v15
	v_cvt_i32_f32_e32 v16, v16
	v_exp_f32_e32 v15, v15
	v_cmp_ngt_f32_e32 vcc, s92, v14
	v_ldexp_f32 v15, v15, v16
	s_nop 0
	v_cndmask_b32_e32 v15, 0, v15, vcc
	v_cmp_nlt_f32_e32 vcc, s93, v14
	s_nop 1
	v_cndmask_b32_e32 v14, v230, v15, vcc
	v_add_f32_e32 v14, 1.0, v14
	v_rcp_f32_e32 v14, v14
	s_nop 0
	v_fma_f32 v14, v14, -2.0, 1.0
.LBB30_376:                             ;   in Loop: Header=BB30_10 Depth=1
	s_andn2_saveexec_b64 s[12:13], s[12:13]
; %bb.377:                              ;   in Loop: Header=BB30_10 Depth=1
	v_mul_f32_e32 v14, v2, v2
	v_fmamk_f32 v15, v14, 0xbbbac73d, v233
	v_fmaak_f32 v15, v14, v15, 0xbd5c1c4e
	v_fmaak_f32 v15, v14, v15, 0x3e088382
	v_fmaak_f32 v15, v14, v15, 0xbeaaaa99
	v_mul_f32_e64 v15, |v2|, v15
	v_fma_f32 v14, v14, v15, |v2|
; %bb.378:                              ;   in Loop: Header=BB30_10 Depth=1
	s_or_b64 exec, exec, s[12:13]
	v_cmp_nlt_f32_e64 s[12:13], |v3|, s45
                                        ; implicit-def: $vgpr15
	s_and_saveexec_b64 s[74:75], s[12:13]
	s_xor_b64 s[12:13], exec, s[74:75]
	s_cbranch_execz .LBB30_380
; %bb.379:                              ;   in Loop: Header=BB30_10 Depth=1
	v_add_f32_e64 v15, |v3|, |v3|
	v_mul_f32_e32 v16, 0x3fb8aa3b, v15
	v_rndne_f32_e32 v17, v16
	v_sub_f32_e32 v18, v16, v17
	v_fma_f32 v16, v15, s69, -v16
	v_fmac_f32_e32 v16, 0x32a5705f, v15
	v_add_f32_e32 v16, v18, v16
	v_cvt_i32_f32_e32 v17, v17
	v_exp_f32_e32 v16, v16
	v_cmp_ngt_f32_e32 vcc, s92, v15
	v_ldexp_f32 v16, v16, v17
	s_nop 0
	v_cndmask_b32_e32 v16, 0, v16, vcc
	v_cmp_nlt_f32_e32 vcc, s93, v15
	s_nop 1
	v_cndmask_b32_e32 v15, v230, v16, vcc
	v_add_f32_e32 v15, 1.0, v15
	v_rcp_f32_e32 v15, v15
	s_nop 0
	v_fma_f32 v15, v15, -2.0, 1.0
.LBB30_380:                             ;   in Loop: Header=BB30_10 Depth=1
	s_andn2_saveexec_b64 s[12:13], s[12:13]
; %bb.381:                              ;   in Loop: Header=BB30_10 Depth=1
	v_mul_f32_e32 v15, v3, v3
	v_fmamk_f32 v16, v15, 0xbbbac73d, v233
	v_fmaak_f32 v16, v15, v16, 0xbd5c1c4e
	v_fmaak_f32 v16, v15, v16, 0x3e088382
	;; [unrolled: 1-line block ×3, first 2 shown]
	v_mul_f32_e64 v16, |v3|, v16
	v_fma_f32 v15, v15, v16, |v3|
; %bb.382:                              ;   in Loop: Header=BB30_10 Depth=1
	s_or_b64 exec, exec, s[12:13]
	v_cmp_nlt_f32_e64 s[12:13], |v4|, s45
                                        ; implicit-def: $vgpr16
	s_and_saveexec_b64 s[74:75], s[12:13]
	s_xor_b64 s[12:13], exec, s[74:75]
	s_cbranch_execz .LBB30_384
; %bb.383:                              ;   in Loop: Header=BB30_10 Depth=1
	v_add_f32_e64 v16, |v4|, |v4|
	v_mul_f32_e32 v17, 0x3fb8aa3b, v16
	v_rndne_f32_e32 v18, v17
	v_sub_f32_e32 v19, v17, v18
	v_fma_f32 v17, v16, s69, -v17
	v_fmac_f32_e32 v17, 0x32a5705f, v16
	v_add_f32_e32 v17, v19, v17
	v_cvt_i32_f32_e32 v18, v18
	v_exp_f32_e32 v17, v17
	v_cmp_ngt_f32_e32 vcc, s92, v16
	v_ldexp_f32 v17, v17, v18
	s_nop 0
	v_cndmask_b32_e32 v17, 0, v17, vcc
	v_cmp_nlt_f32_e32 vcc, s93, v16
	s_nop 1
	v_cndmask_b32_e32 v16, v230, v17, vcc
	v_add_f32_e32 v16, 1.0, v16
	v_rcp_f32_e32 v16, v16
	s_nop 0
	v_fma_f32 v16, v16, -2.0, 1.0
.LBB30_384:                             ;   in Loop: Header=BB30_10 Depth=1
	s_andn2_saveexec_b64 s[12:13], s[12:13]
; %bb.385:                              ;   in Loop: Header=BB30_10 Depth=1
	v_mul_f32_e32 v16, v4, v4
	v_fmamk_f32 v17, v16, 0xbbbac73d, v233
	v_fmaak_f32 v17, v16, v17, 0xbd5c1c4e
	v_fmaak_f32 v17, v16, v17, 0x3e088382
	;; [unrolled: 1-line block ×3, first 2 shown]
	v_mul_f32_e64 v17, |v4|, v17
	v_fma_f32 v16, v16, v17, |v4|
; %bb.386:                              ;   in Loop: Header=BB30_10 Depth=1
	s_or_b64 exec, exec, s[12:13]
	v_cmp_nlt_f32_e64 s[12:13], |v5|, s45
                                        ; implicit-def: $vgpr17
	s_and_saveexec_b64 s[74:75], s[12:13]
	s_xor_b64 s[12:13], exec, s[74:75]
	s_cbranch_execz .LBB30_388
; %bb.387:                              ;   in Loop: Header=BB30_10 Depth=1
	v_add_f32_e64 v17, |v5|, |v5|
	v_mul_f32_e32 v18, 0x3fb8aa3b, v17
	v_rndne_f32_e32 v19, v18
	v_sub_f32_e32 v20, v18, v19
	v_fma_f32 v18, v17, s69, -v18
	v_fmac_f32_e32 v18, 0x32a5705f, v17
	v_add_f32_e32 v18, v20, v18
	v_cvt_i32_f32_e32 v19, v19
	v_exp_f32_e32 v18, v18
	v_cmp_ngt_f32_e32 vcc, s92, v17
	v_ldexp_f32 v18, v18, v19
	s_nop 0
	v_cndmask_b32_e32 v18, 0, v18, vcc
	v_cmp_nlt_f32_e32 vcc, s93, v17
	s_nop 1
	v_cndmask_b32_e32 v17, v230, v18, vcc
	v_add_f32_e32 v17, 1.0, v17
	v_rcp_f32_e32 v17, v17
	s_nop 0
	v_fma_f32 v17, v17, -2.0, 1.0
.LBB30_388:                             ;   in Loop: Header=BB30_10 Depth=1
	s_andn2_saveexec_b64 s[12:13], s[12:13]
; %bb.389:                              ;   in Loop: Header=BB30_10 Depth=1
	v_mul_f32_e32 v17, v5, v5
	v_fmamk_f32 v18, v17, 0xbbbac73d, v233
	v_fmaak_f32 v18, v17, v18, 0xbd5c1c4e
	v_fmaak_f32 v18, v17, v18, 0x3e088382
	;; [unrolled: 1-line block ×3, first 2 shown]
	v_mul_f32_e64 v18, |v5|, v18
	v_fma_f32 v17, v17, v18, |v5|
; %bb.390:                              ;   in Loop: Header=BB30_10 Depth=1
	s_or_b64 exec, exec, s[12:13]
	v_bfi_b32 v14, s94, v14, v2
	v_add_u32_e32 v2, 0x8400, v191
	v_bfi_b32 v15, s94, v15, v3
	ds_read2_b32 v[2:3], v2 offset1:1
	v_bfi_b32 v6, s94, v10, v6
	v_bfi_b32 v7, s94, v11, v7
	ds_read_b32 v10, v198 offset:33792
	v_bfi_b32 v4, s94, v16, v4
	s_waitcnt lgkmcnt(1)
	v_fma_mix_f32 v6, s3, v6, v2 op_sel_hi:[0,0,1]
	v_fma_mix_f32 v2, s3, v7, v2 op_sel:[0,0,1] op_sel_hi:[0,0,1]
	ds_read_b32 v7, v199 offset:33792
	v_bfi_b32 v9, s94, v13, v9
	v_bfi_b32 v8, s94, v12, v8
	;; [unrolled: 1-line block ×3, first 2 shown]
	v_fma_mix_f32 v8, s3, v8, v3 op_sel_hi:[0,0,1]
	v_fma_mix_f32 v3, s3, v9, v3 op_sel:[0,0,1] op_sel_hi:[0,0,1]
	s_waitcnt lgkmcnt(0)
	v_fma_mix_f32 v16, s3, v4, v7 op_sel_hi:[0,0,1]
	v_fma_mix_f32 v17, s3, v5, v7 op_sel:[0,0,1] op_sel_hi:[0,0,1]
	v_add_f32_e32 v4, 0x40051340, v6
	v_add_f32_e32 v5, 0x40051340, v2
	v_fma_mix_f32 v9, s3, v14, v10 op_sel_hi:[0,0,1]
	v_fma_mix_f32 v10, s3, v15, v10 op_sel:[0,0,1] op_sel_hi:[0,0,1]
	v_max3_f32 v4, v231, v4, v5
	v_add_f32_e32 v5, 0x40051340, v8
	v_add_f32_e32 v7, 0x40051340, v3
	v_max3_f32 v4, v4, v5, v7
	v_add_f32_e32 v5, 0x40051340, v9
	v_add_f32_e32 v7, 0x40051340, v10
	;; [unrolled: 3-line block ×3, first 2 shown]
	v_max3_f32 v4, v4, v5, v7
	v_and_b32_e32 v5, 64, v234
	v_add_u32_e32 v5, 64, v5
	v_xor_b32_e32 v7, 32, v234
	v_cmp_lt_i32_e32 vcc, v7, v5
	s_mul_i32 s9, s8, s35
	s_mul_hi_u32 s12, s8, s34
	v_cndmask_b32_e32 v7, v234, v7, vcc
	v_lshlrev_b32_e32 v59, 2, v7
	ds_bpermute_b32 v7, v59, v4
	s_add_i32 s9, s12, s9
	s_mul_i32 s8, s8, s34
	s_lshl_b64 s[8:9], s[8:9], 2
	s_waitcnt lgkmcnt(0)
	v_max_f32_e32 v7, v7, v7
	v_max_f32_e32 v4, v4, v7
	v_xor_b32_e32 v7, 16, v234
	v_cmp_lt_i32_e32 vcc, v7, v5
	s_nop 1
	v_cndmask_b32_e32 v5, v234, v7, vcc
	v_lshlrev_b32_e32 v62, 2, v5
	ds_bpermute_b32 v5, v62, v4
	s_waitcnt lgkmcnt(0)
	v_max_f32_e32 v5, v5, v5
	v_max_f32_e32 v58, v4, v5
	v_sub_f32_e32 v4, v6, v58
	v_mul_f32_e32 v5, 0x3fb8aa3b, v4
	v_fma_f32 v6, v4, s69, -v5
	v_rndne_f32_e32 v7, v5
	v_fmac_f32_e32 v6, 0x32a5705f, v4
	v_sub_f32_e32 v5, v5, v7
	v_add_f32_e32 v5, v5, v6
	v_exp_f32_e32 v5, v5
	v_cvt_i32_f32_e32 v6, v7
	v_cmp_ngt_f32_e32 vcc, s92, v4
	v_sub_f32_e32 v3, v3, v58
	v_sub_f32_e32 v18, v9, v58
	v_ldexp_f32 v5, v5, v6
	v_sub_f32_e32 v6, v2, v58
	v_mul_f32_e32 v2, 0x3fb8aa3b, v6
	v_fma_f32 v7, v6, s69, -v2
	v_rndne_f32_e32 v11, v2
	v_fmac_f32_e32 v7, 0x32a5705f, v6
	v_sub_f32_e32 v2, v2, v11
	v_add_f32_e32 v2, v2, v7
	v_exp_f32_e32 v7, v2
	v_cvt_i32_f32_e32 v11, v11
	v_cndmask_b32_e32 v2, 0, v5, vcc
	v_sub_f32_e32 v5, v8, v58
	v_cmp_nlt_f32_e32 vcc, s93, v4
	v_ldexp_f32 v4, v7, v11
	v_mul_f32_e32 v7, 0x3fb8aa3b, v5
	v_fma_f32 v8, v5, s69, -v7
	v_rndne_f32_e32 v11, v7
	v_fmac_f32_e32 v8, 0x32a5705f, v5
	v_sub_f32_e32 v7, v7, v11
	v_add_f32_e32 v7, v7, v8
	v_exp_f32_e32 v7, v7
	v_cvt_i32_f32_e32 v8, v11
	v_cndmask_b32_e32 v2, v230, v2, vcc
	v_cmp_ngt_f32_e32 vcc, s92, v6
	v_sub_f32_e32 v23, v10, v58
	v_sub_f32_e32 v17, v17, v58
	v_cndmask_b32_e32 v4, 0, v4, vcc
	v_cmp_nlt_f32_e32 vcc, s93, v6
	v_ldexp_f32 v6, v7, v8
	v_mul_f32_e32 v7, 0x3fb8aa3b, v3
	v_fma_f32 v8, v3, s69, -v7
	v_rndne_f32_e32 v11, v7
	v_fmac_f32_e32 v8, 0x32a5705f, v3
	v_sub_f32_e32 v7, v7, v11
	v_add_f32_e32 v7, v7, v8
	v_exp_f32_e32 v7, v7
	v_cvt_i32_f32_e32 v8, v11
	v_cndmask_b32_e32 v20, v230, v4, vcc
	v_cmp_ngt_f32_e32 vcc, s92, v5
	v_add_f32_e32 v4, v2, v20
	s_nop 0
	v_cndmask_b32_e32 v6, 0, v6, vcc
	v_cmp_nlt_f32_e32 vcc, s93, v5
	v_ldexp_f32 v5, v7, v8
	s_nop 0
	v_cndmask_b32_e32 v21, v230, v6, vcc
	v_mul_f32_e32 v6, 0x3fb8aa3b, v18
	v_fma_f32 v7, v18, s69, -v6
	v_rndne_f32_e32 v8, v6
	v_fmac_f32_e32 v7, 0x32a5705f, v18
	v_sub_f32_e32 v6, v6, v8
	v_add_f32_e32 v6, v6, v7
	v_exp_f32_e32 v6, v6
	v_cvt_i32_f32_e32 v7, v8
	v_cmp_ngt_f32_e32 vcc, s92, v3
	v_add_f32_e32 v4, v21, v4
	s_nop 0
	v_cndmask_b32_e32 v5, 0, v5, vcc
	v_cmp_nlt_f32_e32 vcc, s93, v3
	s_nop 1
	v_cndmask_b32_e32 v3, v230, v5, vcc
	v_add_f32_e32 v19, v3, v4
	v_ldexp_f32 v4, v6, v7
	v_cmp_ngt_f32_e32 vcc, s92, v18
	v_cvt_pk_f16_f32 v61, v21, v3
	s_nop 0
	v_cndmask_b32_e32 v22, 0, v4, vcc
	v_mul_f32_e32 v4, 0x3fb8aa3b, v23
	v_fma_f32 v5, v23, s69, -v4
	v_rndne_f32_e32 v24, v4
	v_fmac_f32_e32 v5, 0x32a5705f, v23
	v_sub_f32_e32 v4, v4, v24
	v_add_f32_e32 v4, v4, v5
	v_exp_f32_e32 v25, v4
	v_lshl_add_u64 v[4:5], v[150:151], 0, s[8:9]
	v_lshl_add_u64 v[6:7], v[110:111], 2, v[4:5]
	;; [unrolled: 1-line block ×9, first 2 shown]
	global_load_dwordx4 v[4:7], v[6:7], off
	s_nop 0
	global_load_dwordx4 v[8:11], v[8:9], off
	s_nop 0
	global_load_dwordx4 v[36:39], v[12:13], off
	global_load_dwordx4 v[150:153], v[14:15], off
	v_cmp_nlt_f32_e32 vcc, s93, v18
	v_sub_f32_e32 v15, v16, v58
	v_mul_f32_e32 v16, 0x3fb8aa3b, v15
	v_cndmask_b32_e32 v13, v230, v22, vcc
	v_add_f32_e32 v14, v13, v19
	v_fma_f32 v18, v15, s69, -v16
	v_rndne_f32_e32 v19, v16
	v_fmac_f32_e32 v18, 0x32a5705f, v15
	v_sub_f32_e32 v16, v16, v19
	v_add_f32_e32 v16, v16, v18
	v_exp_f32_e32 v16, v16
	v_cvt_i32_f32_e32 v18, v19
	v_cvt_i32_f32_e32 v12, v24
	v_cmp_ngt_f32_e32 vcc, s92, v23
	s_waitcnt vmcnt(3)
	ds_write_b128 v188, v[4:7]
	s_waitcnt vmcnt(2)
	ds_write_b128 v236, v[8:11]
	;; [unrolled: 2-line block ×4, first 2 shown]
	v_ldexp_f32 v16, v16, v18
	v_mul_f32_e32 v18, 0x3fb8aa3b, v17
	v_fma_f32 v19, v17, s69, -v18
	v_rndne_f32_e32 v22, v18
	v_fmac_f32_e32 v19, 0x32a5705f, v17
	v_sub_f32_e32 v18, v18, v22
	v_ldexp_f32 v12, v25, v12
	v_add_f32_e32 v18, v18, v19
	v_cndmask_b32_e32 v12, 0, v12, vcc
	v_cmp_nlt_f32_e32 vcc, s93, v23
	v_exp_f32_e32 v18, v18
	v_cvt_i32_f32_e32 v19, v22
	v_cndmask_b32_e32 v12, v230, v12, vcc
	v_cmp_ngt_f32_e32 vcc, s92, v15
	s_waitcnt lgkmcnt(0)
	s_barrier
	v_cndmask_b32_e32 v16, 0, v16, vcc
	v_cmp_nlt_f32_e32 vcc, s93, v15
	v_ldexp_f32 v15, v18, v19
	s_nop 0
	v_cndmask_b32_e32 v24, v230, v16, vcc
	v_sub_f32_e32 v16, v231, v58
	v_mul_f32_e32 v18, 0x3fb8aa3b, v16
	v_fma_f32 v19, v16, s69, -v18
	v_rndne_f32_e32 v22, v18
	v_fmac_f32_e32 v19, 0x32a5705f, v16
	v_sub_f32_e32 v18, v18, v22
	v_add_f32_e32 v18, v18, v19
	v_exp_f32_e32 v18, v18
	v_cvt_i32_f32_e32 v19, v22
	v_cmp_ngt_f32_e32 vcc, s92, v17
	v_cmp_ngt_f32_e64 s[8:9], s92, v16
	ds_read_u16 v7, v192 offset:528
	ds_read_u16 v8, v192 offset:1056
	ds_read_u16 v9, v193
	ds_read_u16 v10, v192
	v_cndmask_b32_e32 v15, 0, v15, vcc
	v_cmp_nlt_f32_e32 vcc, s93, v17
	v_ldexp_f32 v17, v18, v19
	v_cndmask_b32_e64 v17, 0, v17, s[8:9]
	v_cmp_nlt_f32_e64 s[8:9], s93, v16
	v_add_f32_e32 v14, v12, v14
	v_add_f32_e32 v14, v24, v14
	v_cndmask_b32_e64 v17, v230, v17, s[8:9]
	v_cmp_le_f32_e64 s[8:9], s95, v16
	v_cndmask_b32_e32 v25, v230, v15, vcc
	v_add_f32_e32 v63, v25, v14
	v_cndmask_b32_e64 v16, 0, v17, s[8:9]
	v_cvt_f16_f32_e32 v17, v16
	s_waitcnt lgkmcnt(1)
	v_perm_b32 v9, v9, v8, s96
	s_waitcnt lgkmcnt(0)
	v_perm_b32 v8, v7, v10, s96
	ds_read_u16 v10, v193 offset:32
	v_mul_u32_u24_e32 v14, 0x10001, v17
	v_pk_mul_f16 v17, v49, v14
	v_pk_mul_f16 v28, v48, v14
	v_cvt_f32_f16_e32 v4, v17
	v_cvt_f32_f16_sdwa v5, v17 dst_sel:DWORD dst_unused:UNUSED_PAD src0_sel:WORD_1
	v_cvt_f32_f16_e32 v6, v28
	v_cvt_f32_f16_sdwa v7, v28 dst_sel:DWORD dst_unused:UNUSED_PAD src0_sel:WORD_1
	v_pk_mul_f16 v26, v60, v14
	v_cvt_pk_f16_f32 v60, v2, v20
	v_cvt_pk_f16_f32 v56, v13, v12
	v_pk_mul_f16 v29, v45, v14
	v_mfma_f32_16x16x16_f16 v[2:5], v[8:9], v[60:61], v[4:7]
	s_nop 2
	ds_read_u16 v6, v192 offset:16896
	ds_read_u16 v7, v192 offset:17952
	;; [unrolled: 1-line block ×4, first 2 shown]
	v_pk_mul_f16 v32, v44, v14
	v_cvt_pk_f16_f32 v57, v24, v25
	v_cvt_f16_f32_e32 v2, v2
	v_cvt_f16_f32_e32 v3, v3
	;; [unrolled: 1-line block ×4, first 2 shown]
	s_waitcnt lgkmcnt(0)
	v_perm_b32 v6, v9, v6, s96
	ds_read_u16 v9, v192 offset:32
	ds_read_u16 v11, v192 offset:1088
	;; [unrolled: 1-line block ×3, first 2 shown]
	v_perm_b32 v7, v8, v7, s96
	v_cvt_f32_f16_e32 v2, v2
	v_cvt_f32_f16_e32 v3, v3
	;; [unrolled: 1-line block ×4, first 2 shown]
	s_waitcnt lgkmcnt(1)
	v_perm_b32 v11, v10, v11, s96
	s_waitcnt lgkmcnt(0)
	v_perm_b32 v10, v12, v9, s96
	v_mfma_f32_16x16x16_f16 v[2:5], v[6:7], v[56:57], v[2:5]
	v_cvt_f32_f16_e32 v6, v29
	v_cvt_f32_f16_sdwa v7, v29 dst_sel:DWORD dst_unused:UNUSED_PAD src0_sel:WORD_1
	v_cvt_f32_f16_e32 v8, v32
	v_cvt_f32_f16_sdwa v9, v32 dst_sel:DWORD dst_unused:UNUSED_PAD src0_sel:WORD_1
	v_pk_mul_f16 v33, v43, v14
	v_pk_mul_f16 v40, v42, v14
	v_mfma_f32_16x16x16_f16 v[6:9], v[10:11], v[60:61], v[6:9]
	ds_read_u16 v10, v192 offset:16928
	ds_read_u16 v11, v192 offset:17984
	;; [unrolled: 1-line block ×4, first 2 shown]
	v_fmac_f32_e32 v63, v228, v16
	v_pk_mul_f16 v16, v47, v14
	s_nop 1
	v_cvt_f16_f32_e32 v6, v6
	v_cvt_f16_f32_e32 v7, v7
	;; [unrolled: 1-line block ×4, first 2 shown]
	s_waitcnt lgkmcnt(0)
	v_perm_b32 v10, v13, v10, s96
	ds_read_u16 v13, v192 offset:64
	ds_read_u16 v17, v192 offset:1120
	;; [unrolled: 1-line block ×4, first 2 shown]
	v_perm_b32 v11, v12, v11, s96
	v_cvt_f32_f16_e32 v6, v6
	v_cvt_f32_f16_e32 v7, v7
	;; [unrolled: 1-line block ×4, first 2 shown]
	s_waitcnt lgkmcnt(1)
	v_perm_b32 v21, v20, v17, s96
	s_waitcnt lgkmcnt(0)
	v_perm_b32 v20, v24, v13, s96
	v_mfma_f32_16x16x16_f16 v[6:9], v[10:11], v[56:57], v[6:9]
	v_cvt_f32_f16_e32 v10, v33
	v_cvt_f32_f16_sdwa v11, v33 dst_sel:DWORD dst_unused:UNUSED_PAD src0_sel:WORD_1
	v_cvt_f32_f16_e32 v12, v40
	v_cvt_f32_f16_sdwa v13, v40 dst_sel:DWORD dst_unused:UNUSED_PAD src0_sel:WORD_1
	v_pk_mul_f16 v15, v46, v14
	v_pk_mul_f16 v27, v65, v14
	v_mfma_f32_16x16x16_f16 v[10:13], v[20:21], v[60:61], v[10:13]
	ds_read_u16 v17, v192 offset:16960
	ds_read_u16 v20, v192 offset:18016
	;; [unrolled: 1-line block ×4, first 2 shown]
	v_pk_mul_f16 v30, v64, v14
	v_cvt_f32_f16_e32 v64, v16
	s_nop 1
	v_cvt_f16_f32_e32 v10, v10
	v_cvt_f16_f32_e32 v11, v11
	;; [unrolled: 1-line block ×4, first 2 shown]
	s_waitcnt lgkmcnt(1)
	v_perm_b32 v21, v21, v20, s96
	s_waitcnt lgkmcnt(0)
	v_perm_b32 v20, v24, v17, s96
	v_cvt_f32_f16_e32 v10, v10
	v_cvt_f32_f16_e32 v11, v11
	;; [unrolled: 1-line block ×4, first 2 shown]
	v_cvt_f32_f16_sdwa v65, v16 dst_sel:DWORD dst_unused:UNUSED_PAD src0_sel:WORD_1
	v_pk_mul_f16 v34, v67, v14
	v_mfma_f32_16x16x16_f16 v[10:13], v[20:21], v[56:57], v[10:13]
	ds_read_u16 v20, v192 offset:96
	ds_read_u16 v17, v192 offset:1152
	;; [unrolled: 1-line block ×4, first 2 shown]
	v_pk_mul_f16 v35, v66, v14
	v_cvt_f32_f16_e32 v66, v15
	v_cvt_f32_f16_sdwa v67, v15 dst_sel:DWORD dst_unused:UNUSED_PAD src0_sel:WORD_1
	s_waitcnt lgkmcnt(1)
	v_perm_b32 v17, v21, v17, s96
	s_waitcnt lgkmcnt(0)
	v_perm_b32 v16, v24, v20, s96
	v_pk_mul_f16 v19, v51, v14
	v_pk_mul_f16 v18, v50, v14
	;; [unrolled: 1-line block ×19, first 2 shown]
	v_mfma_f32_16x16x16_f16 v[14:17], v[16:17], v[60:61], v[64:67]
	ds_read_u16 v20, v192 offset:16992
	ds_read_u16 v21, v192 offset:18048
	;; [unrolled: 1-line block ×4, first 2 shown]
	v_cvt_f32_f16_e32 v68, v19
	v_cvt_f32_f16_sdwa v69, v19 dst_sel:DWORD dst_unused:UNUSED_PAD src0_sel:WORD_1
	s_nop 1
	v_cvt_f16_f32_e32 v14, v14
	v_cvt_f16_f32_e32 v15, v15
	;; [unrolled: 1-line block ×4, first 2 shown]
	s_waitcnt lgkmcnt(1)
	v_perm_b32 v21, v24, v21, s96
	s_waitcnt lgkmcnt(0)
	v_perm_b32 v20, v25, v20, s96
	v_cvt_f32_f16_e32 v14, v14
	v_cvt_f32_f16_e32 v15, v15
	;; [unrolled: 1-line block ×5, first 2 shown]
	v_cvt_f32_f16_sdwa v71, v18 dst_sel:DWORD dst_unused:UNUSED_PAD src0_sel:WORD_1
	v_mfma_f32_16x16x16_f16 v[14:17], v[20:21], v[56:57], v[14:17]
	ds_read_u16 v20, v192 offset:128
	ds_read_u16 v21, v192 offset:1184
	ds_read_u16 v24, v193 offset:128
	ds_read_u16 v25, v192 offset:656
	v_cvt_f16_f32_e32 v4, v4
	v_cvt_f16_f32_e32 v5, v5
	v_cvt_f32_f16_e32 v76, v27
	s_waitcnt lgkmcnt(1)
	v_perm_b32 v21, v24, v21, s96
	s_waitcnt lgkmcnt(0)
	v_perm_b32 v20, v25, v20, s96
	ds_read_u16 v24, v192 offset:17024
	ds_read_u16 v25, v192 offset:18080
	;; [unrolled: 1-line block ×4, first 2 shown]
	v_mfma_f32_16x16x16_f16 v[18:21], v[20:21], v[60:61], v[68:71]
	v_perm_b32 v5, v5, v4, s96
	s_waitcnt lgkmcnt(1)
	v_perm_b32 v25, v28, v25, s96
	s_waitcnt lgkmcnt(0)
	v_perm_b32 v24, v29, v24, s96
	s_nop 2
	v_cvt_f16_f32_e32 v4, v18
	v_cvt_f16_f32_e32 v19, v19
	;; [unrolled: 1-line block ×4, first 2 shown]
	v_cvt_f32_f16_e32 v18, v4
	v_cvt_f32_f16_e32 v19, v19
	;; [unrolled: 1-line block ×4, first 2 shown]
	v_cvt_f16_f32_e32 v4, v8
	v_cvt_f16_f32_e32 v8, v9
	v_mfma_f32_16x16x16_f16 v[18:21], v[24:25], v[56:57], v[18:21]
	ds_read_u16 v9, v192 offset:160
	ds_read_u16 v24, v192 offset:1216
	;; [unrolled: 1-line block ×4, first 2 shown]
	v_cvt_f32_f16_e32 v68, v23
	v_cvt_f32_f16_sdwa v69, v23 dst_sel:DWORD dst_unused:UNUSED_PAD src0_sel:WORD_1
	v_cvt_f32_f16_e32 v70, v22
	s_waitcnt lgkmcnt(1)
	v_perm_b32 v25, v25, v24, s96
	s_waitcnt lgkmcnt(0)
	v_perm_b32 v24, v28, v9, s96
	v_cvt_f32_f16_sdwa v71, v22 dst_sel:DWORD dst_unused:UNUSED_PAD src0_sel:WORD_1
	ds_read_u16 v28, v192 offset:17056
	ds_read_u16 v29, v192 offset:18112
	;; [unrolled: 1-line block ×4, first 2 shown]
	v_mfma_f32_16x16x16_f16 v[22:25], v[24:25], v[60:61], v[68:71]
	v_perm_b32 v9, v8, v4, s96
	v_cvt_f16_f32_e32 v4, v12
	v_cvt_f16_f32_e32 v8, v13
	s_nop 4
	v_cvt_f16_f32_e32 v12, v22
	v_cvt_f16_f32_e32 v13, v23
	;; [unrolled: 1-line block ×4, first 2 shown]
	s_waitcnt lgkmcnt(1)
	v_perm_b32 v29, v32, v29, s96
	s_waitcnt lgkmcnt(0)
	v_perm_b32 v28, v33, v28, s96
	v_cvt_f32_f16_e32 v22, v12
	v_cvt_f32_f16_e32 v23, v13
	;; [unrolled: 1-line block ×4, first 2 shown]
	v_perm_b32 v13, v8, v4, s96
	v_cvt_f32_f16_sdwa v77, v27 dst_sel:DWORD dst_unused:UNUSED_PAD src0_sel:WORD_1
	v_mfma_f32_16x16x16_f16 v[22:25], v[28:29], v[56:57], v[22:25]
	ds_read_u16 v4, v192 offset:192
	ds_read_u16 v8, v192 offset:1248
	;; [unrolled: 1-line block ×4, first 2 shown]
	v_cvt_f32_f16_e32 v78, v26
	v_cvt_f32_f16_sdwa v79, v26 dst_sel:DWORD dst_unused:UNUSED_PAD src0_sel:WORD_1
	ds_read_u16 v32, v192 offset:17088
	ds_read_u16 v33, v192 offset:18144
	;; [unrolled: 1-line block ×4, first 2 shown]
	s_waitcnt lgkmcnt(5)
	v_perm_b32 v29, v12, v8, s96
	s_waitcnt lgkmcnt(4)
	v_perm_b32 v28, v28, v4, s96
	v_cvt_f16_f32_e32 v4, v16
	v_cvt_f16_f32_e32 v8, v17
	v_mfma_f32_16x16x16_f16 v[26:29], v[28:29], v[60:61], v[76:79]
	s_waitcnt lgkmcnt(1)
	v_perm_b32 v33, v36, v33, s96
	s_waitcnt lgkmcnt(0)
	v_perm_b32 v32, v37, v32, s96
	v_cvt_f32_f16_e32 v76, v31
	s_nop 2
	v_cvt_f16_f32_e32 v12, v26
	v_cvt_f16_f32_e32 v16, v27
	;; [unrolled: 1-line block ×4, first 2 shown]
	v_cvt_f32_f16_e32 v26, v12
	v_cvt_f32_f16_e32 v27, v16
	;; [unrolled: 1-line block ×3, first 2 shown]
	v_perm_b32 v17, v8, v4, s96
	ds_read_u16 v4, v192 offset:224
	ds_read_u16 v8, v192 offset:1280
	;; [unrolled: 1-line block ×4, first 2 shown]
	v_cvt_f32_f16_e32 v29, v29
	v_cvt_f32_f16_sdwa v77, v31 dst_sel:DWORD dst_unused:UNUSED_PAD src0_sel:WORD_1
	v_cvt_f32_f16_e32 v78, v30
	v_mfma_f32_16x16x16_f16 v[26:29], v[32:33], v[56:57], v[26:29]
	s_waitcnt lgkmcnt(1)
	v_perm_b32 v33, v12, v8, s96
	s_waitcnt lgkmcnt(0)
	v_perm_b32 v32, v16, v4, s96
	v_cvt_f32_f16_sdwa v79, v30 dst_sel:DWORD dst_unused:UNUSED_PAD src0_sel:WORD_1
	v_cvt_f16_f32_e32 v4, v20
	v_cvt_f16_f32_e32 v8, v21
	v_mfma_f32_16x16x16_f16 v[30:33], v[32:33], v[60:61], v[76:79]
	v_cvt_f32_f16_e32 v82, v35
	v_cvt_f32_f16_sdwa v83, v35 dst_sel:DWORD dst_unused:UNUSED_PAD src0_sel:WORD_1
	s_nop 0
	v_perm_b32 v76, v8, v4, s96
	v_cvt_f16_f32_e32 v4, v24
	s_nop 2
	v_cvt_f16_f32_e32 v20, v30
	v_cvt_f16_f32_e32 v21, v31
	;; [unrolled: 1-line block ×4, first 2 shown]
	ds_read_u16 v16, v192 offset:17120
	ds_read_u16 v31, v192 offset:18176
	;; [unrolled: 1-line block ×4, first 2 shown]
	v_cvt_f32_f16_e32 v78, v20
	v_cvt_f32_f16_e32 v79, v21
	;; [unrolled: 1-line block ×3, first 2 shown]
	s_waitcnt lgkmcnt(1)
	v_perm_b32 v21, v32, v31, s96
	s_waitcnt lgkmcnt(0)
	v_perm_b32 v20, v33, v16, s96
	v_cvt_f32_f16_e32 v81, v12
	v_cvt_f16_f32_e32 v8, v25
	v_cvt_f32_f16_e32 v84, v38
	v_mfma_f32_16x16x16_f16 v[30:33], v[20:21], v[56:57], v[78:81]
	ds_read_u16 v12, v192 offset:256
	ds_read_u16 v16, v192 offset:1312
	;; [unrolled: 1-line block ×4, first 2 shown]
	v_cvt_f32_f16_e32 v80, v34
	v_cvt_f32_f16_sdwa v81, v34 dst_sel:DWORD dst_unused:UNUSED_PAD src0_sel:WORD_1
	v_cvt_f32_f16_sdwa v85, v38 dst_sel:DWORD dst_unused:UNUSED_PAD src0_sel:WORD_1
	s_waitcnt lgkmcnt(1)
	v_perm_b32 v21, v20, v16, s96
	s_waitcnt lgkmcnt(0)
	v_perm_b32 v20, v24, v12, s96
	v_perm_b32 v24, v8, v4, s96
	v_cvt_f32_f16_e32 v86, v42
	v_mfma_f32_16x16x16_f16 v[34:37], v[20:21], v[60:61], v[80:83]
	v_cvt_f32_f16_sdwa v87, v42 dst_sel:DWORD dst_unused:UNUSED_PAD src0_sel:WORD_1
	s_nop 1
	v_cvt_f32_f16_e32 v82, v39
	v_cvt_f32_f16_sdwa v83, v39 dst_sel:DWORD dst_unused:UNUSED_PAD src0_sel:WORD_1
	s_nop 2
	v_cvt_f16_f32_e32 v16, v37
	ds_read_u16 v20, v192 offset:17152
	ds_read_u16 v21, v192 offset:18208
	;; [unrolled: 1-line block ×4, first 2 shown]
	v_cvt_f16_f32_e32 v4, v34
	v_cvt_f16_f32_e32 v8, v35
	;; [unrolled: 1-line block ×3, first 2 shown]
	s_waitcnt lgkmcnt(1)
	v_perm_b32 v21, v25, v21, s96
	s_waitcnt lgkmcnt(0)
	v_perm_b32 v20, v37, v20, s96
	v_cvt_f32_f16_e32 v34, v4
	v_cvt_f32_f16_e32 v35, v8
	;; [unrolled: 1-line block ×4, first 2 shown]
	v_cvt_f16_f32_e32 v4, v28
	v_cvt_f16_f32_e32 v8, v29
	v_mfma_f32_16x16x16_f16 v[34:37], v[20:21], v[56:57], v[34:37]
	ds_read_u16 v12, v192 offset:288
	ds_read_u16 v16, v192 offset:1344
	;; [unrolled: 1-line block ×4, first 2 shown]
	v_perm_b32 v29, v8, v4, s96
	v_cvt_f32_f16_e32 v88, v47
	v_cvt_f32_f16_sdwa v89, v47 dst_sel:DWORD dst_unused:UNUSED_PAD src0_sel:WORD_1
	s_waitcnt lgkmcnt(1)
	v_perm_b32 v21, v20, v16, s96
	s_waitcnt lgkmcnt(0)
	v_perm_b32 v20, v25, v12, s96
	v_cvt_f32_f16_e32 v90, v51
	v_cvt_f32_f16_sdwa v91, v51 dst_sel:DWORD dst_unused:UNUSED_PAD src0_sel:WORD_1
	v_mfma_f32_16x16x16_f16 v[38:41], v[20:21], v[60:61], v[82:85]
	ds_read_u16 v20, v192 offset:17184
	ds_read_u16 v21, v192 offset:18240
	;; [unrolled: 1-line block ×4, first 2 shown]
	v_cvt_f32_f16_e32 v84, v43
	v_cvt_f32_f16_sdwa v85, v43 dst_sel:DWORD dst_unused:UNUSED_PAD src0_sel:WORD_1
	s_nop 1
	v_cvt_f16_f32_e32 v4, v38
	v_cvt_f16_f32_e32 v8, v39
	;; [unrolled: 1-line block ×4, first 2 shown]
	s_waitcnt lgkmcnt(1)
	v_perm_b32 v21, v25, v21, s96
	s_waitcnt lgkmcnt(0)
	v_perm_b32 v20, v28, v20, s96
	v_cvt_f32_f16_e32 v38, v4
	v_cvt_f32_f16_e32 v39, v8
	;; [unrolled: 1-line block ×4, first 2 shown]
	v_cvt_f16_f32_e32 v4, v32
	v_cvt_f16_f32_e32 v8, v33
	v_mfma_f32_16x16x16_f16 v[38:41], v[20:21], v[56:57], v[38:41]
	ds_read_u16 v12, v192 offset:320
	ds_read_u16 v16, v192 offset:1376
	;; [unrolled: 1-line block ×4, first 2 shown]
	v_perm_b32 v32, v8, v4, s96
	v_cvt_f16_f32_e32 v4, v36
	v_cvt_f16_f32_e32 v8, v37
	s_waitcnt lgkmcnt(1)
	v_perm_b32 v21, v20, v16, s96
	s_waitcnt lgkmcnt(0)
	v_perm_b32 v20, v25, v12, s96
	v_cvt_f32_f16_e32 v92, v50
	v_perm_b32 v4, v8, v4, s96
	v_mfma_f32_16x16x16_f16 v[42:45], v[20:21], v[60:61], v[84:87]
	ds_read_u16 v28, v192 offset:17216
	ds_read_u16 v21, v192 offset:18272
	;; [unrolled: 1-line block ×4, first 2 shown]
	v_cvt_f32_f16_e32 v86, v46
	v_cvt_f32_f16_sdwa v87, v46 dst_sel:DWORD dst_unused:UNUSED_PAD src0_sel:WORD_1
	s_nop 1
	v_cvt_f16_f32_e32 v20, v44
	v_cvt_f16_f32_e32 v12, v42
	;; [unrolled: 1-line block ×4, first 2 shown]
	v_cvt_f32_f16_e32 v44, v20
	s_waitcnt lgkmcnt(1)
	v_perm_b32 v21, v33, v21, s96
	s_waitcnt lgkmcnt(0)
	v_perm_b32 v20, v36, v28, s96
	v_cvt_f32_f16_e32 v42, v12
	v_cvt_f32_f16_e32 v43, v16
	v_cvt_f32_f16_e32 v45, v25
	v_cvt_f32_f16_sdwa v93, v50 dst_sel:DWORD dst_unused:UNUSED_PAD src0_sel:WORD_1
	v_cvt_f16_f32_e32 v64, v2
	v_mfma_f32_16x16x16_f16 v[42:45], v[20:21], v[56:57], v[42:45]
	ds_read_u16 v8, v192 offset:352
	ds_read_u16 v12, v192 offset:1408
	;; [unrolled: 1-line block ×8, first 2 shown]
	v_cvt_f16_f32_e32 v65, v3
	v_cvt_f16_f32_e32 v66, v6
	s_waitcnt lgkmcnt(5)
	v_perm_b32 v21, v16, v12, s96
	s_waitcnt lgkmcnt(4)
	v_perm_b32 v20, v20, v8, s96
	v_cvt_f16_f32_e32 v8, v40
	v_cvt_f16_f32_e32 v12, v41
	v_mfma_f32_16x16x16_f16 v[46:49], v[20:21], v[60:61], v[86:89]
	v_perm_b32 v8, v12, v8, s96
	v_cvt_f16_f32_e32 v67, v7
	v_cvt_f16_f32_e32 v68, v10
	s_nop 4
	v_cvt_f16_f32_e32 v20, v47
	v_cvt_f16_f32_e32 v21, v48
	;; [unrolled: 1-line block ×4, first 2 shown]
	v_cvt_f32_f16_e32 v47, v20
	v_cvt_f32_f16_e32 v48, v21
	s_waitcnt lgkmcnt(1)
	v_perm_b32 v21, v36, v33, s96
	s_waitcnt lgkmcnt(0)
	v_perm_b32 v20, v37, v28, s96
	v_cvt_f32_f16_e32 v46, v16
	v_cvt_f32_f16_e32 v49, v25
	v_cvt_f16_f32_e32 v69, v11
	v_cvt_f16_f32_e32 v70, v14
	v_mfma_f32_16x16x16_f16 v[46:49], v[20:21], v[56:57], v[46:49]
	ds_read_u16 v12, v192 offset:384
	ds_read_u16 v16, v192 offset:1440
	ds_read_u16 v20, v193 offset:384
	ds_read_u16 v25, v192 offset:912
	ds_read_u16 v33, v192 offset:17280
	ds_read_u16 v36, v192 offset:18336
	ds_read_u16 v37, v193 offset:17280
	ds_read_u16 v40, v192 offset:17808
	v_cvt_f16_f32_e32 v71, v15
	v_cvt_f16_f32_e32 v72, v18
	s_waitcnt lgkmcnt(5)
	v_perm_b32 v21, v20, v16, s96
	s_waitcnt lgkmcnt(4)
	v_perm_b32 v20, v25, v12, s96
	v_cvt_f16_f32_e32 v12, v44
	v_cvt_f16_f32_e32 v16, v45
	v_mfma_f32_16x16x16_f16 v[90:93], v[20:21], v[60:61], v[90:93]
	v_perm_b32 v12, v16, v12, s96
	v_cvt_f16_f32_e32 v16, v48
	v_cvt_f16_f32_e32 v73, v19
	s_nop 4
	v_cvt_f16_f32_e32 v20, v90
	v_cvt_f16_f32_e32 v21, v91
	;; [unrolled: 1-line block ×4, first 2 shown]
	v_cvt_f32_f16_e32 v90, v20
	v_cvt_f32_f16_e32 v91, v21
	s_waitcnt lgkmcnt(1)
	v_perm_b32 v21, v37, v36, s96
	s_waitcnt lgkmcnt(0)
	v_perm_b32 v20, v40, v33, s96
	v_cvt_f32_f16_e32 v92, v25
	v_cvt_f32_f16_e32 v93, v28
	v_cvt_f16_f32_e32 v25, v49
	v_cvt_f16_f32_e32 v77, v22
	v_mfma_f32_16x16x16_f16 v[48:51], v[20:21], v[56:57], v[90:93]
	ds_read_u16 v20, v192 offset:416
	ds_read_u16 v21, v192 offset:1472
	;; [unrolled: 1-line block ×4, first 2 shown]
	v_cvt_f32_f16_e32 v90, v53
	v_cvt_f32_f16_sdwa v91, v53 dst_sel:DWORD dst_unused:UNUSED_PAD src0_sel:WORD_1
	v_cvt_f32_f16_e32 v92, v52
	s_waitcnt lgkmcnt(1)
	v_perm_b32 v21, v28, v21, s96
	s_waitcnt lgkmcnt(0)
	v_perm_b32 v20, v33, v20, s96
	v_cvt_f32_f16_sdwa v93, v52 dst_sel:DWORD dst_unused:UNUSED_PAD src0_sel:WORD_1
	ds_read_u16 v33, v192 offset:17312
	ds_read_u16 v36, v192 offset:18368
	;; [unrolled: 1-line block ×4, first 2 shown]
	v_mfma_f32_16x16x16_f16 v[90:93], v[20:21], v[60:61], v[90:93]
	v_perm_b32 v16, v25, v16, s96
	v_cvt_f16_f32_e32 v78, v23
	v_cvt_f16_f32_e32 v79, v26
	s_nop 4
	v_cvt_f16_f32_e32 v20, v90
	v_cvt_f16_f32_e32 v21, v91
	;; [unrolled: 1-line block ×4, first 2 shown]
	v_cvt_f32_f16_e32 v90, v20
	v_cvt_f32_f16_e32 v91, v21
	s_waitcnt lgkmcnt(1)
	v_perm_b32 v21, v37, v36, s96
	s_waitcnt lgkmcnt(0)
	v_perm_b32 v20, v40, v33, s96
	v_cvt_f32_f16_e32 v92, v25
	v_cvt_f32_f16_e32 v93, v28
	v_cvt_f16_f32_e32 v25, v50
	v_cvt_f16_f32_e32 v28, v51
	v_mfma_f32_16x16x16_f16 v[50:53], v[20:21], v[56:57], v[90:93]
	ds_read_u16 v20, v192 offset:448
	ds_read_u16 v21, v192 offset:1504
	ds_read_u16 v33, v193 offset:448
	ds_read_u16 v36, v192 offset:976
	v_cvt_f32_f16_e32 v90, v54
	v_cvt_f32_f16_sdwa v91, v54 dst_sel:DWORD dst_unused:UNUSED_PAD src0_sel:WORD_1
	v_cvt_f32_f16_e32 v92, v55
	s_waitcnt lgkmcnt(1)
	v_perm_b32 v151, v33, v21, s96
	s_waitcnt lgkmcnt(0)
	v_perm_b32 v150, v36, v20, s96
	v_cvt_f32_f16_sdwa v93, v55 dst_sel:DWORD dst_unused:UNUSED_PAD src0_sel:WORD_1
	ds_read_u16 v36, v192 offset:17344
	ds_read_u16 v54, v192 offset:18400
	;; [unrolled: 1-line block ×4, first 2 shown]
	v_mfma_f32_16x16x16_f16 v[90:93], v[150:151], v[60:61], v[90:93]
	v_perm_b32 v20, v28, v25, s96
	s_waitcnt lgkmcnt(1)
	v_perm_b32 v55, v55, v54, s96
	s_waitcnt lgkmcnt(0)
	v_perm_b32 v54, v89, v36, s96
	s_nop 2
	v_cvt_f16_f32_e32 v21, v90
	v_cvt_f16_f32_e32 v25, v91
	v_cvt_f16_f32_e32 v28, v92
	v_cvt_f16_f32_e32 v33, v93
	v_cvt_f32_f16_e32 v90, v21
	v_cvt_f32_f16_e32 v91, v25
	;; [unrolled: 1-line block ×4, first 2 shown]
	v_cvt_f16_f32_e32 v21, v52
	v_cvt_f16_f32_e32 v25, v53
	v_mfma_f32_16x16x16_f16 v[52:55], v[54:55], v[56:57], v[90:93]
	ds_read_u16 v28, v192 offset:480
	ds_read_u16 v33, v192 offset:1536
	;; [unrolled: 1-line block ×4, first 2 shown]
	v_cvt_f32_f16_e32 v90, v75
	v_cvt_f32_f16_sdwa v91, v75 dst_sel:DWORD dst_unused:UNUSED_PAD src0_sel:WORD_1
	v_cvt_f32_f16_e32 v92, v74
	s_waitcnt lgkmcnt(1)
	v_perm_b32 v151, v36, v33, s96
	s_waitcnt lgkmcnt(0)
	v_perm_b32 v150, v93, v28, s96
	v_cvt_f32_f16_sdwa v93, v74 dst_sel:DWORD dst_unused:UNUSED_PAD src0_sel:WORD_1
	v_perm_b32 v21, v25, v21, s96
	v_cvt_f16_f32_e32 v25, v54
	v_mfma_f32_16x16x16_f16 v[90:93], v[150:151], v[60:61], v[90:93]
	ds_read_u16 v36, v192 offset:17376
	ds_read_u16 v61, v192 offset:18432
	;; [unrolled: 1-line block ×4, first 2 shown]
	v_cvt_f16_f32_e32 v28, v55
	v_cvt_f16_f32_e32 v80, v27
	s_nop 1
	v_cvt_f16_f32_e32 v54, v90
	v_cvt_f16_f32_e32 v55, v91
	;; [unrolled: 1-line block ×4, first 2 shown]
	v_cvt_f32_f16_e32 v90, v54
	v_cvt_f32_f16_e32 v91, v55
	s_waitcnt lgkmcnt(1)
	v_perm_b32 v55, v74, v61, s96
	s_waitcnt lgkmcnt(0)
	v_perm_b32 v54, v75, v36, s96
	v_cvt_f32_f16_e32 v92, v60
	v_cvt_f32_f16_e32 v93, v33
	v_perm_b32 v25, v28, v25, s96
	ds_bpermute_b32 v28, v59, v63
	v_mfma_f32_16x16x16_f16 v[54:57], v[54:55], v[56:57], v[90:93]
	v_cvt_f16_f32_e32 v81, v30
	v_cvt_f16_f32_e32 v82, v31
	s_waitcnt lgkmcnt(0)
	v_add_f32_e32 v59, v63, v28
	ds_bpermute_b32 v63, v62, v59
	v_cvt_f16_f32_e32 v83, v34
	v_cvt_f16_f32_e32 v84, v35
	;; [unrolled: 1-line block ×18, first 2 shown]
	v_cmp_ne_u64_e32 vcc, 0, v[148:149]
	s_waitcnt lgkmcnt(0)
	v_add_f32_e32 v59, v59, v63
	v_perm_b32 v28, v57, v56, s96
	s_and_b64 s[12:13], s[0:1], vcc
	v_perm_b32 v33, v61, v33, s96
	v_perm_b32 v36, v60, v36, s96
	;; [unrolled: 1-line block ×16, first 2 shown]
	s_barrier
	s_and_saveexec_b64 s[8:9], s[12:13]
	s_cbranch_execz .LBB30_392
; %bb.391:                              ;   in Loop: Header=BB30_10 Depth=1
	v_lshlrev_b32_e32 v33, 2, v120
	v_readfirstlane_b32 s12, v148
	v_readfirstlane_b32 s13, v149
	v_cvt_pk_f16_f32 v36, v2, v3
	v_max_f32_e32 v2, v58, v58
	v_cvt_pk_f16_f32 v6, v6, v7
	v_cvt_pk_f16_f32 v7, v10, v11
	;; [unrolled: 1-line block ×3, first 2 shown]
	global_load_dword v33, v33, s[12:13]
	v_cvt_pk_f16_f32 v18, v30, v31
	v_cvt_pk_f16_f32 v19, v34, v35
	;; [unrolled: 1-line block ×10, first 2 shown]
	s_waitcnt vmcnt(0)
	v_max_f32_e32 v3, v33, v33
	v_max_f32_e32 v2, v2, v3
	v_sub_f32_e32 v3, v58, v2
	v_sub_f32_e32 v31, v33, v2
	v_mul_f32_e32 v33, 0x3fb8aa3b, v3
	v_mul_f32_e32 v34, 0x3fb8aa3b, v31
	v_fma_f32 v35, v3, s69, -v33
	v_rndne_f32_e32 v37, v33
	v_fma_f32 v38, v31, s69, -v34
	v_rndne_f32_e32 v39, v34
	v_fmac_f32_e32 v35, 0x32a5705f, v3
	v_sub_f32_e32 v33, v33, v37
	v_fmac_f32_e32 v38, 0x32a5705f, v31
	v_sub_f32_e32 v34, v34, v39
	v_add_f32_e32 v33, v33, v35
	v_cvt_i32_f32_e32 v37, v37
	v_add_f32_e32 v34, v34, v38
	v_exp_f32_e32 v33, v33
	v_cvt_i32_f32_e32 v39, v39
	v_exp_f32_e32 v34, v34
	v_cmp_ngt_f32_e32 vcc, s92, v3
	v_ldexp_f32 v33, v33, v37
	v_cvt_pk_f16_f32 v35, v52, v53
	v_ldexp_f32 v34, v34, v39
	v_cndmask_b32_e32 v33, 0, v33, vcc
	v_cmp_ngt_f32_e32 vcc, s92, v31
	v_cvt_pk_f16_f32 v38, v54, v55
	s_nop 0
	v_cndmask_b32_e32 v34, 0, v34, vcc
	v_cmp_nlt_f32_e32 vcc, s93, v3
	s_nop 1
	v_cndmask_b32_e32 v33, v230, v33, vcc
	v_cmp_le_f32_e32 vcc, s95, v3
	s_nop 1
	v_cndmask_b32_e32 v33, 0, v33, vcc
	v_cvt_f16_f32_e32 v37, v33
	v_cmp_nlt_f32_e32 vcc, s93, v31
	v_mul_u32_u24_e32 v31, 0x10001, v37
	s_nop 0
	v_cndmask_b32_e32 v3, v230, v34, vcc
	v_fmac_f32_e32 v3, v59, v33
	v_pk_mul_f16 v64, v36, v31
	v_pk_mul_f16 v5, v5, v31
	;; [unrolled: 1-line block ×32, first 2 shown]
	v_mov_b64_e32 v[58:59], v[2:3]
.LBB30_392:                             ;   in Loop: Header=BB30_10 Depth=1
	s_or_b64 exec, exec, s[8:9]
	s_and_saveexec_b64 s[8:9], s[4:5]
; %bb.393:                              ;   in Loop: Header=BB30_10 Depth=1
	v_add_u32_e32 v2, 0, v200
	ds_write2_b32 v2, v58, v59 offset0:64 offset1:65
; %bb.394:                              ;   in Loop: Header=BB30_10 Depth=1
	s_or_b64 exec, exec, s[8:9]
	s_waitcnt lgkmcnt(0)
	s_barrier
	s_and_saveexec_b64 s[8:9], s[10:11]
	s_xor_b64 s[8:9], exec, s[8:9]
	s_cbranch_execz .LBB30_396
; %bb.395:                              ;   in Loop: Header=BB30_10 Depth=1
	s_barrier
                                        ; implicit-def: $vgpr62
.LBB30_396:                             ;   in Loop: Header=BB30_10 Depth=1
	s_andn2_saveexec_b64 s[8:9], s[8:9]
	s_cbranch_execz .LBB30_400
; %bb.397:                              ;   in Loop: Header=BB30_10 Depth=1
	v_add_u32_e32 v6, 0, v201
	ds_read_b64 v[2:3], v6 offset:256
	s_waitcnt lgkmcnt(0)
	s_barrier
	ds_bpermute_b32 v7, v62, v2
	v_max_f32_e32 v10, v2, v2
	s_waitcnt lgkmcnt(0)
	v_max_f32_e32 v7, v7, v7
	v_max_f32_e32 v7, v10, v7
	v_sub_f32_e32 v2, v2, v7
	v_mul_f32_e32 v7, 0x3fb8aa3b, v2
	v_fma_f32 v10, v2, s69, -v7
	v_rndne_f32_e32 v11, v7
	v_fmac_f32_e32 v10, 0x32a5705f, v2
	v_sub_f32_e32 v7, v7, v11
	v_add_f32_e32 v7, v7, v10
	v_cvt_i32_f32_e32 v11, v11
	v_exp_f32_e32 v7, v7
	v_cmp_ngt_f32_e32 vcc, s92, v2
	v_ldexp_f32 v7, v7, v11
	s_nop 0
	v_cndmask_b32_e32 v7, 0, v7, vcc
	v_cmp_nlt_f32_e32 vcc, s93, v2
	s_nop 1
	v_cndmask_b32_e32 v2, v230, v7, vcc
	v_mul_f32_e32 v3, v3, v2
	ds_bpermute_b32 v7, v62, v3
	s_and_saveexec_b64 s[12:13], s[6:7]
	s_cbranch_execz .LBB30_399
; %bb.398:                              ;   in Loop: Header=BB30_10 Depth=1
	s_waitcnt lgkmcnt(0)
	v_add_f32_e32 v3, v3, v7
	ds_write_b64 v6, v[2:3] offset:256
.LBB30_399:                             ;   in Loop: Header=BB30_10 Depth=1
	s_or_b64 exec, exec, s[12:13]
.LBB30_400:                             ;   in Loop: Header=BB30_10 Depth=1
	s_or_b64 exec, exec, s[8:9]
	v_add_u32_e32 v2, v189, v202
	ds_write2_b32 v2, v64, v5 offset1:1
	ds_write2_b32 v2, v66, v9 offset0:8 offset1:9
	ds_write2_b32 v2, v68, v13 offset0:16 offset1:17
	;; [unrolled: 1-line block ×7, first 2 shown]
	s_waitcnt lgkmcnt(0)
	s_barrier
	s_and_saveexec_b64 s[12:13], s[0:1]
	s_cbranch_execz .LBB30_478
; %bb.401:                              ;   in Loop: Header=BB30_10 Depth=1
	v_add_u32_e32 v3, v232, v97
	v_or_b32_e32 v5, v124, v127
	v_cmp_gt_i32_e32 vcc, s36, v3
	v_cmp_gt_i32_e64 s[8:9], s78, v5
	s_and_b64 s[76:77], vcc, s[8:9]
	v_mov_b32_e32 v5, 0x47
	s_and_saveexec_b64 s[74:75], s[76:77]
	s_cbranch_execz .LBB30_403
; %bb.402:                              ;   in Loop: Header=BB30_10 Depth=1
	v_add_u32_e32 v5, v185, v203
	ds_read2st64_b32 v[6:7], v5 offset1:17
	v_add_u32_e32 v5, 0, v203
	ds_read2_b32 v[10:11], v5 offset0:64 offset1:65
	ds_read_b32 v14, v5 offset:4608
	v_mad_u64_u32 v[22:23], s[76:77], v3, s37, v[124:125]
	s_waitcnt lgkmcnt(2)
	v_cvt_f32_f16_e32 v18, v6
	v_cvt_f32_f16_sdwa v19, v6 dst_sel:DWORD dst_unused:UNUSED_PAD src0_sel:WORD_1
	v_cvt_f32_f16_e32 v6, v7
	v_cvt_f32_f16_sdwa v7, v7 dst_sel:DWORD dst_unused:UNUSED_PAD src0_sel:WORD_1
	s_waitcnt lgkmcnt(1)
	v_pk_fma_f32 v[18:19], v[10:11], v[18:19], 0 op_sel_hi:[0,1,0]
	s_waitcnt lgkmcnt(0)
	v_pk_fma_f32 v[6:7], v[14:15], v[6:7], v[18:19] op_sel_hi:[0,1,1]
	v_div_scale_f32 v3, s[76:77], v11, v11, v7
	v_rcp_f32_e32 v5, v3
	v_lshl_add_u32 v14, v22, 7, v94
	v_ashrrev_i32_e32 v15, 31, v14
	v_lshl_add_u64 v[14:15], v[14:15], 3, v[146:147]
	v_fma_f32 v9, -v3, v5, 1.0
	v_fmac_f32_e32 v5, v9, v5
	v_div_scale_f32 v9, vcc, v7, v11, v7
	v_mul_f32_e32 v10, v9, v5
	v_fma_f32 v13, -v3, v10, v9
	v_fmac_f32_e32 v10, v13, v5
	v_fma_f32 v3, -v3, v10, v9
	v_div_scale_f32 v9, s[76:77], v11, v11, v6
	v_rcp_f32_e32 v13, v9
	v_div_fmas_f32 v3, v3, v5, v10
	v_div_fixup_f32 v7, v3, v11, v7
	v_fma_f32 v3, -v9, v13, 1.0
	v_fmac_f32_e32 v13, v3, v13
	v_div_scale_f32 v3, vcc, v6, v11, v6
	v_mul_f32_e32 v5, v3, v13
	v_fma_f32 v10, -v9, v5, v3
	v_fmac_f32_e32 v5, v10, v13
	v_fma_f32 v3, -v9, v5, v3
	v_div_fmas_f32 v3, v3, v13, v5
	v_div_fixup_f32 v6, v3, v11, v6
	v_mov_b32_e32 v5, 0
	global_store_dwordx2 v[14:15], v[6:7], off
.LBB30_403:                             ;   in Loop: Header=BB30_10 Depth=1
	s_or_b64 exec, exec, s[74:75]
	v_cmp_gt_i32_e32 vcc, s97, v5
	s_mov_b64 s[74:75], -1
	s_and_saveexec_b64 s[76:77], vcc
; %bb.404:                              ;   in Loop: Header=BB30_10 Depth=1
	v_cmp_eq_u32_e32 vcc, 0, v5
	s_orn2_b64 s[74:75], vcc, exec
; %bb.405:                              ;   in Loop: Header=BB30_10 Depth=1
	s_or_b64 exec, exec, s[76:77]
	s_and_b64 exec, exec, s[74:75]
	s_cbranch_execz .LBB30_478
; %bb.406:                              ;   in Loop: Header=BB30_10 Depth=1
	v_add_u32_e32 v3, v204, v97
	v_cmp_gt_i32_e32 vcc, s36, v3
	s_and_b64 s[76:77], vcc, s[8:9]
	v_mov_b32_e32 v5, 0x47
	s_and_saveexec_b64 s[74:75], s[76:77]
	s_cbranch_execz .LBB30_408
; %bb.407:                              ;   in Loop: Header=BB30_10 Depth=1
	v_add_u32_e32 v5, v185, v205
	ds_read2st64_b32 v[6:7], v5 offset1:17
	v_add_u32_e32 v5, 0, v205
	ds_read2_b32 v[10:11], v5 offset0:64 offset1:65
	ds_read_b32 v14, v5 offset:4608
	v_mad_u64_u32 v[22:23], s[76:77], v3, s37, v[124:125]
	s_waitcnt lgkmcnt(2)
	v_cvt_f32_f16_e32 v18, v6
	v_cvt_f32_f16_sdwa v19, v6 dst_sel:DWORD dst_unused:UNUSED_PAD src0_sel:WORD_1
	v_cvt_f32_f16_e32 v6, v7
	v_cvt_f32_f16_sdwa v7, v7 dst_sel:DWORD dst_unused:UNUSED_PAD src0_sel:WORD_1
	s_waitcnt lgkmcnt(1)
	v_pk_fma_f32 v[18:19], v[10:11], v[18:19], 0 op_sel_hi:[0,1,0]
	s_waitcnt lgkmcnt(0)
	v_pk_fma_f32 v[6:7], v[14:15], v[6:7], v[18:19] op_sel_hi:[0,1,1]
	v_div_scale_f32 v3, s[76:77], v11, v11, v7
	v_rcp_f32_e32 v5, v3
	v_lshl_add_u32 v14, v22, 7, v94
	v_ashrrev_i32_e32 v15, 31, v14
	v_lshl_add_u64 v[14:15], v[14:15], 3, v[146:147]
	v_fma_f32 v9, -v3, v5, 1.0
	v_fmac_f32_e32 v5, v9, v5
	v_div_scale_f32 v9, vcc, v7, v11, v7
	v_mul_f32_e32 v10, v9, v5
	v_fma_f32 v13, -v3, v10, v9
	v_fmac_f32_e32 v10, v13, v5
	v_fma_f32 v3, -v3, v10, v9
	v_div_scale_f32 v9, s[76:77], v11, v11, v6
	v_rcp_f32_e32 v13, v9
	v_div_fmas_f32 v3, v3, v5, v10
	v_div_fixup_f32 v7, v3, v11, v7
	v_fma_f32 v3, -v9, v13, 1.0
	v_fmac_f32_e32 v13, v3, v13
	v_div_scale_f32 v3, vcc, v6, v11, v6
	v_mul_f32_e32 v5, v3, v13
	v_fma_f32 v10, -v9, v5, v3
	v_fmac_f32_e32 v5, v10, v13
	v_fma_f32 v3, -v9, v5, v3
	v_div_fmas_f32 v3, v3, v13, v5
	v_div_fixup_f32 v6, v3, v11, v6
	v_mov_b32_e32 v5, 0
	global_store_dwordx2 v[14:15], v[6:7], off
.LBB30_408:                             ;   in Loop: Header=BB30_10 Depth=1
	s_or_b64 exec, exec, s[74:75]
	v_cmp_gt_i32_e32 vcc, s97, v5
	s_mov_b64 s[74:75], -1
	s_and_saveexec_b64 s[76:77], vcc
; %bb.409:                              ;   in Loop: Header=BB30_10 Depth=1
	v_cmp_eq_u32_e32 vcc, 0, v5
	s_orn2_b64 s[74:75], vcc, exec
; %bb.410:                              ;   in Loop: Header=BB30_10 Depth=1
	s_or_b64 exec, exec, s[76:77]
	s_and_b64 exec, exec, s[74:75]
	s_cbranch_execz .LBB30_478
; %bb.411:                              ;   in Loop: Header=BB30_10 Depth=1
	v_add_u32_e32 v3, v206, v97
	v_cmp_gt_i32_e32 vcc, s36, v3
	s_and_b64 s[76:77], vcc, s[8:9]
	v_mov_b32_e32 v5, 0x47
	s_and_saveexec_b64 s[74:75], s[76:77]
	s_cbranch_execz .LBB30_413
; %bb.412:                              ;   in Loop: Header=BB30_10 Depth=1
	v_add_u32_e32 v5, v185, v207
	ds_read2st64_b32 v[6:7], v5 offset1:17
	v_add_u32_e32 v5, 0, v207
	ds_read2_b32 v[10:11], v5 offset0:64 offset1:65
	ds_read_b32 v14, v5 offset:4608
	v_mad_u64_u32 v[22:23], s[76:77], v3, s37, v[124:125]
	s_waitcnt lgkmcnt(2)
	v_cvt_f32_f16_e32 v18, v6
	v_cvt_f32_f16_sdwa v19, v6 dst_sel:DWORD dst_unused:UNUSED_PAD src0_sel:WORD_1
	v_cvt_f32_f16_e32 v6, v7
	v_cvt_f32_f16_sdwa v7, v7 dst_sel:DWORD dst_unused:UNUSED_PAD src0_sel:WORD_1
	s_waitcnt lgkmcnt(1)
	v_pk_fma_f32 v[18:19], v[10:11], v[18:19], 0 op_sel_hi:[0,1,0]
	s_waitcnt lgkmcnt(0)
	v_pk_fma_f32 v[6:7], v[14:15], v[6:7], v[18:19] op_sel_hi:[0,1,1]
	v_div_scale_f32 v3, s[76:77], v11, v11, v7
	v_rcp_f32_e32 v5, v3
	v_lshl_add_u32 v14, v22, 7, v94
	v_ashrrev_i32_e32 v15, 31, v14
	v_lshl_add_u64 v[14:15], v[14:15], 3, v[146:147]
	v_fma_f32 v9, -v3, v5, 1.0
	v_fmac_f32_e32 v5, v9, v5
	v_div_scale_f32 v9, vcc, v7, v11, v7
	v_mul_f32_e32 v10, v9, v5
	v_fma_f32 v13, -v3, v10, v9
	v_fmac_f32_e32 v10, v13, v5
	v_fma_f32 v3, -v3, v10, v9
	v_div_scale_f32 v9, s[76:77], v11, v11, v6
	v_rcp_f32_e32 v13, v9
	v_div_fmas_f32 v3, v3, v5, v10
	v_div_fixup_f32 v7, v3, v11, v7
	v_fma_f32 v3, -v9, v13, 1.0
	v_fmac_f32_e32 v13, v3, v13
	v_div_scale_f32 v3, vcc, v6, v11, v6
	v_mul_f32_e32 v5, v3, v13
	v_fma_f32 v10, -v9, v5, v3
	v_fmac_f32_e32 v5, v10, v13
	v_fma_f32 v3, -v9, v5, v3
	v_div_fmas_f32 v3, v3, v13, v5
	v_div_fixup_f32 v6, v3, v11, v6
	v_mov_b32_e32 v5, 0
	global_store_dwordx2 v[14:15], v[6:7], off
.LBB30_413:                             ;   in Loop: Header=BB30_10 Depth=1
	s_or_b64 exec, exec, s[74:75]
	v_cmp_gt_i32_e32 vcc, s97, v5
	s_mov_b64 s[74:75], -1
	s_and_saveexec_b64 s[76:77], vcc
; %bb.414:                              ;   in Loop: Header=BB30_10 Depth=1
	v_cmp_eq_u32_e32 vcc, 0, v5
	s_orn2_b64 s[74:75], vcc, exec
; %bb.415:                              ;   in Loop: Header=BB30_10 Depth=1
	s_or_b64 exec, exec, s[76:77]
	s_and_b64 exec, exec, s[74:75]
	s_cbranch_execz .LBB30_478
; %bb.416:                              ;   in Loop: Header=BB30_10 Depth=1
	v_add_u32_e32 v3, v208, v97
	v_cmp_gt_i32_e32 vcc, s36, v3
	s_and_b64 s[76:77], vcc, s[8:9]
	v_mov_b32_e32 v5, 0x47
	s_and_saveexec_b64 s[74:75], s[76:77]
	s_cbranch_execz .LBB30_418
; %bb.417:                              ;   in Loop: Header=BB30_10 Depth=1
	v_add_u32_e32 v5, v185, v209
	ds_read2st64_b32 v[6:7], v5 offset1:17
	v_add_u32_e32 v5, 0, v209
	ds_read2_b32 v[10:11], v5 offset0:64 offset1:65
	ds_read_b32 v14, v5 offset:4608
	v_mad_u64_u32 v[22:23], s[76:77], v3, s37, v[124:125]
	s_waitcnt lgkmcnt(2)
	v_cvt_f32_f16_e32 v18, v6
	v_cvt_f32_f16_sdwa v19, v6 dst_sel:DWORD dst_unused:UNUSED_PAD src0_sel:WORD_1
	v_cvt_f32_f16_e32 v6, v7
	v_cvt_f32_f16_sdwa v7, v7 dst_sel:DWORD dst_unused:UNUSED_PAD src0_sel:WORD_1
	s_waitcnt lgkmcnt(1)
	v_pk_fma_f32 v[18:19], v[10:11], v[18:19], 0 op_sel_hi:[0,1,0]
	s_waitcnt lgkmcnt(0)
	v_pk_fma_f32 v[6:7], v[14:15], v[6:7], v[18:19] op_sel_hi:[0,1,1]
	v_div_scale_f32 v3, s[76:77], v11, v11, v7
	v_rcp_f32_e32 v5, v3
	v_lshl_add_u32 v14, v22, 7, v94
	v_ashrrev_i32_e32 v15, 31, v14
	v_lshl_add_u64 v[14:15], v[14:15], 3, v[146:147]
	v_fma_f32 v9, -v3, v5, 1.0
	v_fmac_f32_e32 v5, v9, v5
	v_div_scale_f32 v9, vcc, v7, v11, v7
	v_mul_f32_e32 v10, v9, v5
	v_fma_f32 v13, -v3, v10, v9
	v_fmac_f32_e32 v10, v13, v5
	v_fma_f32 v3, -v3, v10, v9
	v_div_scale_f32 v9, s[76:77], v11, v11, v6
	v_rcp_f32_e32 v13, v9
	v_div_fmas_f32 v3, v3, v5, v10
	v_div_fixup_f32 v7, v3, v11, v7
	v_fma_f32 v3, -v9, v13, 1.0
	v_fmac_f32_e32 v13, v3, v13
	v_div_scale_f32 v3, vcc, v6, v11, v6
	v_mul_f32_e32 v5, v3, v13
	v_fma_f32 v10, -v9, v5, v3
	v_fmac_f32_e32 v5, v10, v13
	v_fma_f32 v3, -v9, v5, v3
	v_div_fmas_f32 v3, v3, v13, v5
	v_div_fixup_f32 v6, v3, v11, v6
	v_mov_b32_e32 v5, 0
	global_store_dwordx2 v[14:15], v[6:7], off
.LBB30_418:                             ;   in Loop: Header=BB30_10 Depth=1
	s_or_b64 exec, exec, s[74:75]
	v_cmp_gt_i32_e32 vcc, s97, v5
	s_mov_b64 s[74:75], -1
	s_and_saveexec_b64 s[76:77], vcc
; %bb.419:                              ;   in Loop: Header=BB30_10 Depth=1
	v_cmp_eq_u32_e32 vcc, 0, v5
	s_orn2_b64 s[74:75], vcc, exec
; %bb.420:                              ;   in Loop: Header=BB30_10 Depth=1
	s_or_b64 exec, exec, s[76:77]
	s_and_b64 exec, exec, s[74:75]
	s_cbranch_execz .LBB30_478
; %bb.421:                              ;   in Loop: Header=BB30_10 Depth=1
	v_add_u32_e32 v3, v210, v97
	v_cmp_gt_i32_e32 vcc, s36, v3
	s_and_b64 s[76:77], vcc, s[8:9]
	v_mov_b32_e32 v5, 0x47
	s_and_saveexec_b64 s[74:75], s[76:77]
	s_cbranch_execz .LBB30_423
; %bb.422:                              ;   in Loop: Header=BB30_10 Depth=1
	v_add_u32_e32 v5, v185, v211
	ds_read2st64_b32 v[6:7], v5 offset1:17
	v_add_u32_e32 v5, 0, v211
	ds_read2_b32 v[10:11], v5 offset0:64 offset1:65
	ds_read_b32 v14, v5 offset:4608
	v_mad_u64_u32 v[22:23], s[76:77], v3, s37, v[124:125]
	s_waitcnt lgkmcnt(2)
	v_cvt_f32_f16_e32 v18, v6
	v_cvt_f32_f16_sdwa v19, v6 dst_sel:DWORD dst_unused:UNUSED_PAD src0_sel:WORD_1
	v_cvt_f32_f16_e32 v6, v7
	v_cvt_f32_f16_sdwa v7, v7 dst_sel:DWORD dst_unused:UNUSED_PAD src0_sel:WORD_1
	s_waitcnt lgkmcnt(1)
	v_pk_fma_f32 v[18:19], v[10:11], v[18:19], 0 op_sel_hi:[0,1,0]
	s_waitcnt lgkmcnt(0)
	v_pk_fma_f32 v[6:7], v[14:15], v[6:7], v[18:19] op_sel_hi:[0,1,1]
	v_div_scale_f32 v3, s[76:77], v11, v11, v7
	v_rcp_f32_e32 v5, v3
	v_lshl_add_u32 v14, v22, 7, v94
	v_ashrrev_i32_e32 v15, 31, v14
	v_lshl_add_u64 v[14:15], v[14:15], 3, v[146:147]
	v_fma_f32 v9, -v3, v5, 1.0
	v_fmac_f32_e32 v5, v9, v5
	v_div_scale_f32 v9, vcc, v7, v11, v7
	v_mul_f32_e32 v10, v9, v5
	v_fma_f32 v13, -v3, v10, v9
	v_fmac_f32_e32 v10, v13, v5
	v_fma_f32 v3, -v3, v10, v9
	v_div_scale_f32 v9, s[76:77], v11, v11, v6
	v_rcp_f32_e32 v13, v9
	v_div_fmas_f32 v3, v3, v5, v10
	v_div_fixup_f32 v7, v3, v11, v7
	v_fma_f32 v3, -v9, v13, 1.0
	v_fmac_f32_e32 v13, v3, v13
	v_div_scale_f32 v3, vcc, v6, v11, v6
	v_mul_f32_e32 v5, v3, v13
	v_fma_f32 v10, -v9, v5, v3
	v_fmac_f32_e32 v5, v10, v13
	v_fma_f32 v3, -v9, v5, v3
	v_div_fmas_f32 v3, v3, v13, v5
	v_div_fixup_f32 v6, v3, v11, v6
	v_mov_b32_e32 v5, 0
	global_store_dwordx2 v[14:15], v[6:7], off
.LBB30_423:                             ;   in Loop: Header=BB30_10 Depth=1
	s_or_b64 exec, exec, s[74:75]
	v_cmp_gt_i32_e32 vcc, s97, v5
	s_mov_b64 s[74:75], -1
	s_and_saveexec_b64 s[76:77], vcc
; %bb.424:                              ;   in Loop: Header=BB30_10 Depth=1
	v_cmp_eq_u32_e32 vcc, 0, v5
	s_orn2_b64 s[74:75], vcc, exec
; %bb.425:                              ;   in Loop: Header=BB30_10 Depth=1
	s_or_b64 exec, exec, s[76:77]
	s_and_b64 exec, exec, s[74:75]
	s_cbranch_execz .LBB30_478
; %bb.426:                              ;   in Loop: Header=BB30_10 Depth=1
	v_add_u32_e32 v3, v212, v97
	v_cmp_gt_i32_e32 vcc, s36, v3
	s_and_b64 s[76:77], vcc, s[8:9]
	v_mov_b32_e32 v5, 0x47
	s_and_saveexec_b64 s[74:75], s[76:77]
	s_cbranch_execz .LBB30_428
; %bb.427:                              ;   in Loop: Header=BB30_10 Depth=1
	v_add_u32_e32 v5, v185, v213
	ds_read2st64_b32 v[6:7], v5 offset1:17
	v_add_u32_e32 v5, 0, v213
	ds_read2_b32 v[10:11], v5 offset0:64 offset1:65
	ds_read_b32 v14, v5 offset:4608
	v_mad_u64_u32 v[22:23], s[76:77], v3, s37, v[124:125]
	s_waitcnt lgkmcnt(2)
	v_cvt_f32_f16_e32 v18, v6
	v_cvt_f32_f16_sdwa v19, v6 dst_sel:DWORD dst_unused:UNUSED_PAD src0_sel:WORD_1
	v_cvt_f32_f16_e32 v6, v7
	v_cvt_f32_f16_sdwa v7, v7 dst_sel:DWORD dst_unused:UNUSED_PAD src0_sel:WORD_1
	s_waitcnt lgkmcnt(1)
	v_pk_fma_f32 v[18:19], v[10:11], v[18:19], 0 op_sel_hi:[0,1,0]
	s_waitcnt lgkmcnt(0)
	v_pk_fma_f32 v[6:7], v[14:15], v[6:7], v[18:19] op_sel_hi:[0,1,1]
	v_div_scale_f32 v3, s[76:77], v11, v11, v7
	v_rcp_f32_e32 v5, v3
	v_lshl_add_u32 v14, v22, 7, v94
	v_ashrrev_i32_e32 v15, 31, v14
	v_lshl_add_u64 v[14:15], v[14:15], 3, v[146:147]
	v_fma_f32 v9, -v3, v5, 1.0
	v_fmac_f32_e32 v5, v9, v5
	v_div_scale_f32 v9, vcc, v7, v11, v7
	v_mul_f32_e32 v10, v9, v5
	v_fma_f32 v13, -v3, v10, v9
	v_fmac_f32_e32 v10, v13, v5
	v_fma_f32 v3, -v3, v10, v9
	v_div_scale_f32 v9, s[76:77], v11, v11, v6
	v_rcp_f32_e32 v13, v9
	v_div_fmas_f32 v3, v3, v5, v10
	v_div_fixup_f32 v7, v3, v11, v7
	v_fma_f32 v3, -v9, v13, 1.0
	v_fmac_f32_e32 v13, v3, v13
	v_div_scale_f32 v3, vcc, v6, v11, v6
	v_mul_f32_e32 v5, v3, v13
	v_fma_f32 v10, -v9, v5, v3
	v_fmac_f32_e32 v5, v10, v13
	v_fma_f32 v3, -v9, v5, v3
	v_div_fmas_f32 v3, v3, v13, v5
	v_div_fixup_f32 v6, v3, v11, v6
	v_mov_b32_e32 v5, 0
	global_store_dwordx2 v[14:15], v[6:7], off
.LBB30_428:                             ;   in Loop: Header=BB30_10 Depth=1
	s_or_b64 exec, exec, s[74:75]
	v_cmp_gt_i32_e32 vcc, s97, v5
	s_mov_b64 s[74:75], -1
	s_and_saveexec_b64 s[76:77], vcc
; %bb.429:                              ;   in Loop: Header=BB30_10 Depth=1
	v_cmp_eq_u32_e32 vcc, 0, v5
	s_orn2_b64 s[74:75], vcc, exec
; %bb.430:                              ;   in Loop: Header=BB30_10 Depth=1
	s_or_b64 exec, exec, s[76:77]
	s_and_b64 exec, exec, s[74:75]
	s_cbranch_execz .LBB30_478
; %bb.431:                              ;   in Loop: Header=BB30_10 Depth=1
	v_add_u32_e32 v3, v214, v97
	v_cmp_gt_i32_e32 vcc, s36, v3
	s_and_b64 s[76:77], vcc, s[8:9]
	v_mov_b32_e32 v5, 0x47
	s_and_saveexec_b64 s[74:75], s[76:77]
	s_cbranch_execz .LBB30_433
; %bb.432:                              ;   in Loop: Header=BB30_10 Depth=1
	v_add_u32_e32 v5, v185, v215
	ds_read2st64_b32 v[6:7], v5 offset1:17
	v_add_u32_e32 v5, 0, v215
	ds_read2_b32 v[10:11], v5 offset0:64 offset1:65
	ds_read_b32 v14, v5 offset:4608
	v_mad_u64_u32 v[22:23], s[76:77], v3, s37, v[124:125]
	s_waitcnt lgkmcnt(2)
	v_cvt_f32_f16_e32 v18, v6
	v_cvt_f32_f16_sdwa v19, v6 dst_sel:DWORD dst_unused:UNUSED_PAD src0_sel:WORD_1
	v_cvt_f32_f16_e32 v6, v7
	v_cvt_f32_f16_sdwa v7, v7 dst_sel:DWORD dst_unused:UNUSED_PAD src0_sel:WORD_1
	s_waitcnt lgkmcnt(1)
	v_pk_fma_f32 v[18:19], v[10:11], v[18:19], 0 op_sel_hi:[0,1,0]
	s_waitcnt lgkmcnt(0)
	v_pk_fma_f32 v[6:7], v[14:15], v[6:7], v[18:19] op_sel_hi:[0,1,1]
	v_div_scale_f32 v3, s[76:77], v11, v11, v7
	v_rcp_f32_e32 v5, v3
	v_lshl_add_u32 v14, v22, 7, v94
	v_ashrrev_i32_e32 v15, 31, v14
	v_lshl_add_u64 v[14:15], v[14:15], 3, v[146:147]
	v_fma_f32 v9, -v3, v5, 1.0
	v_fmac_f32_e32 v5, v9, v5
	v_div_scale_f32 v9, vcc, v7, v11, v7
	v_mul_f32_e32 v10, v9, v5
	v_fma_f32 v13, -v3, v10, v9
	v_fmac_f32_e32 v10, v13, v5
	v_fma_f32 v3, -v3, v10, v9
	v_div_scale_f32 v9, s[76:77], v11, v11, v6
	v_rcp_f32_e32 v13, v9
	v_div_fmas_f32 v3, v3, v5, v10
	v_div_fixup_f32 v7, v3, v11, v7
	v_fma_f32 v3, -v9, v13, 1.0
	v_fmac_f32_e32 v13, v3, v13
	v_div_scale_f32 v3, vcc, v6, v11, v6
	v_mul_f32_e32 v5, v3, v13
	v_fma_f32 v10, -v9, v5, v3
	v_fmac_f32_e32 v5, v10, v13
	v_fma_f32 v3, -v9, v5, v3
	v_div_fmas_f32 v3, v3, v13, v5
	v_div_fixup_f32 v6, v3, v11, v6
	v_mov_b32_e32 v5, 0
	global_store_dwordx2 v[14:15], v[6:7], off
.LBB30_433:                             ;   in Loop: Header=BB30_10 Depth=1
	s_or_b64 exec, exec, s[74:75]
	v_cmp_gt_i32_e32 vcc, s97, v5
	s_mov_b64 s[74:75], -1
	s_and_saveexec_b64 s[76:77], vcc
; %bb.434:                              ;   in Loop: Header=BB30_10 Depth=1
	v_cmp_eq_u32_e32 vcc, 0, v5
	s_orn2_b64 s[74:75], vcc, exec
; %bb.435:                              ;   in Loop: Header=BB30_10 Depth=1
	s_or_b64 exec, exec, s[76:77]
	s_and_b64 exec, exec, s[74:75]
	s_cbranch_execz .LBB30_478
; %bb.436:                              ;   in Loop: Header=BB30_10 Depth=1
	scratch_load_dword v3, off, off         ; 4-byte Folded Reload
	v_mov_b32_e32 v5, 0x47
	s_waitcnt vmcnt(0)
	v_add_u32_e32 v3, v3, v97
	v_cmp_gt_i32_e32 vcc, s36, v3
	s_and_b64 s[76:77], vcc, s[8:9]
	s_and_saveexec_b64 s[74:75], s[76:77]
	s_cbranch_execz .LBB30_438
; %bb.437:                              ;   in Loop: Header=BB30_10 Depth=1
	v_add_u32_e32 v5, v185, v217
	ds_read2st64_b32 v[6:7], v5 offset1:17
	v_add_u32_e32 v5, 0, v217
	ds_read2_b32 v[10:11], v5 offset0:64 offset1:65
	ds_read_b32 v14, v5 offset:4608
	v_mad_u64_u32 v[22:23], s[76:77], v3, s37, v[124:125]
	s_waitcnt lgkmcnt(2)
	v_cvt_f32_f16_e32 v18, v6
	v_cvt_f32_f16_sdwa v19, v6 dst_sel:DWORD dst_unused:UNUSED_PAD src0_sel:WORD_1
	v_cvt_f32_f16_e32 v6, v7
	v_cvt_f32_f16_sdwa v7, v7 dst_sel:DWORD dst_unused:UNUSED_PAD src0_sel:WORD_1
	s_waitcnt lgkmcnt(1)
	v_pk_fma_f32 v[18:19], v[10:11], v[18:19], 0 op_sel_hi:[0,1,0]
	s_waitcnt lgkmcnt(0)
	v_pk_fma_f32 v[6:7], v[14:15], v[6:7], v[18:19] op_sel_hi:[0,1,1]
	v_div_scale_f32 v3, s[76:77], v11, v11, v7
	v_rcp_f32_e32 v5, v3
	v_lshl_add_u32 v14, v22, 7, v94
	v_ashrrev_i32_e32 v15, 31, v14
	v_lshl_add_u64 v[14:15], v[14:15], 3, v[146:147]
	v_fma_f32 v9, -v3, v5, 1.0
	v_fmac_f32_e32 v5, v9, v5
	v_div_scale_f32 v9, vcc, v7, v11, v7
	v_mul_f32_e32 v10, v9, v5
	v_fma_f32 v13, -v3, v10, v9
	v_fmac_f32_e32 v10, v13, v5
	v_fma_f32 v3, -v3, v10, v9
	v_div_scale_f32 v9, s[76:77], v11, v11, v6
	v_rcp_f32_e32 v13, v9
	v_div_fmas_f32 v3, v3, v5, v10
	v_div_fixup_f32 v7, v3, v11, v7
	v_fma_f32 v3, -v9, v13, 1.0
	v_fmac_f32_e32 v13, v3, v13
	v_div_scale_f32 v3, vcc, v6, v11, v6
	v_mul_f32_e32 v5, v3, v13
	v_fma_f32 v10, -v9, v5, v3
	v_fmac_f32_e32 v5, v10, v13
	v_fma_f32 v3, -v9, v5, v3
	v_div_fmas_f32 v3, v3, v13, v5
	v_div_fixup_f32 v6, v3, v11, v6
	v_mov_b32_e32 v5, 0
	global_store_dwordx2 v[14:15], v[6:7], off
.LBB30_438:                             ;   in Loop: Header=BB30_10 Depth=1
	s_or_b64 exec, exec, s[74:75]
	v_cmp_gt_i32_e32 vcc, s97, v5
	s_mov_b64 s[74:75], -1
	s_and_saveexec_b64 s[76:77], vcc
; %bb.439:                              ;   in Loop: Header=BB30_10 Depth=1
	v_cmp_eq_u32_e32 vcc, 0, v5
	s_orn2_b64 s[74:75], vcc, exec
; %bb.440:                              ;   in Loop: Header=BB30_10 Depth=1
	s_or_b64 exec, exec, s[76:77]
	s_and_b64 exec, exec, s[74:75]
	s_cbranch_execz .LBB30_478
; %bb.441:                              ;   in Loop: Header=BB30_10 Depth=1
	scratch_load_dword v3, off, off offset:4 ; 4-byte Folded Reload
	v_mov_b32_e32 v5, 0x47
	s_waitcnt vmcnt(0)
	v_add_u32_e32 v3, v3, v97
	v_cmp_gt_i32_e32 vcc, s36, v3
	s_and_b64 s[76:77], vcc, s[8:9]
	s_and_saveexec_b64 s[74:75], s[76:77]
	s_cbranch_execz .LBB30_443
; %bb.442:                              ;   in Loop: Header=BB30_10 Depth=1
	scratch_load_dword v9, off, off offset:8 ; 4-byte Folded Reload
	v_mad_u64_u32 v[22:23], s[76:77], v3, s37, v[124:125]
	s_waitcnt vmcnt(0)
	v_add_u32_e32 v5, v185, v9
	ds_read2st64_b32 v[6:7], v5 offset1:17
	v_add_u32_e32 v5, 0, v9
	ds_read2_b32 v[10:11], v5 offset0:64 offset1:65
	ds_read_b32 v14, v5 offset:4608
	s_waitcnt lgkmcnt(2)
	v_cvt_f32_f16_e32 v18, v6
	v_cvt_f32_f16_sdwa v19, v6 dst_sel:DWORD dst_unused:UNUSED_PAD src0_sel:WORD_1
	v_cvt_f32_f16_e32 v6, v7
	v_cvt_f32_f16_sdwa v7, v7 dst_sel:DWORD dst_unused:UNUSED_PAD src0_sel:WORD_1
	s_waitcnt lgkmcnt(1)
	v_pk_fma_f32 v[18:19], v[10:11], v[18:19], 0 op_sel_hi:[0,1,0]
	s_waitcnt lgkmcnt(0)
	v_pk_fma_f32 v[6:7], v[14:15], v[6:7], v[18:19] op_sel_hi:[0,1,1]
	v_div_scale_f32 v3, s[76:77], v11, v11, v7
	v_rcp_f32_e32 v5, v3
	v_lshl_add_u32 v14, v22, 7, v94
	v_ashrrev_i32_e32 v15, 31, v14
	v_lshl_add_u64 v[14:15], v[14:15], 3, v[146:147]
	v_fma_f32 v9, -v3, v5, 1.0
	v_fmac_f32_e32 v5, v9, v5
	v_div_scale_f32 v9, vcc, v7, v11, v7
	v_mul_f32_e32 v10, v9, v5
	v_fma_f32 v13, -v3, v10, v9
	v_fmac_f32_e32 v10, v13, v5
	v_fma_f32 v3, -v3, v10, v9
	v_div_scale_f32 v9, s[76:77], v11, v11, v6
	v_rcp_f32_e32 v13, v9
	v_div_fmas_f32 v3, v3, v5, v10
	v_div_fixup_f32 v7, v3, v11, v7
	v_fma_f32 v3, -v9, v13, 1.0
	v_fmac_f32_e32 v13, v3, v13
	v_div_scale_f32 v3, vcc, v6, v11, v6
	v_mul_f32_e32 v5, v3, v13
	v_fma_f32 v10, -v9, v5, v3
	v_fmac_f32_e32 v5, v10, v13
	v_fma_f32 v3, -v9, v5, v3
	v_div_fmas_f32 v3, v3, v13, v5
	v_div_fixup_f32 v6, v3, v11, v6
	v_mov_b32_e32 v5, 0
	global_store_dwordx2 v[14:15], v[6:7], off
.LBB30_443:                             ;   in Loop: Header=BB30_10 Depth=1
	s_or_b64 exec, exec, s[74:75]
	v_cmp_gt_i32_e32 vcc, s97, v5
	s_mov_b64 s[74:75], -1
	s_and_saveexec_b64 s[76:77], vcc
; %bb.444:                              ;   in Loop: Header=BB30_10 Depth=1
	v_cmp_eq_u32_e32 vcc, 0, v5
	s_orn2_b64 s[74:75], vcc, exec
; %bb.445:                              ;   in Loop: Header=BB30_10 Depth=1
	s_or_b64 exec, exec, s[76:77]
	s_and_b64 exec, exec, s[74:75]
	s_cbranch_execz .LBB30_478
; %bb.446:                              ;   in Loop: Header=BB30_10 Depth=1
	scratch_load_dword v3, off, off offset:12 ; 4-byte Folded Reload
	v_mov_b32_e32 v5, 0x47
	s_waitcnt vmcnt(0)
	v_add_u32_e32 v3, v3, v97
	v_cmp_gt_i32_e32 vcc, s36, v3
	s_and_b64 s[76:77], vcc, s[8:9]
	s_and_saveexec_b64 s[74:75], s[76:77]
	s_cbranch_execz .LBB30_448
; %bb.447:                              ;   in Loop: Header=BB30_10 Depth=1
	scratch_load_dword v9, off, off offset:16 ; 4-byte Folded Reload
	v_mad_u64_u32 v[22:23], s[76:77], v3, s37, v[124:125]
	s_waitcnt vmcnt(0)
	v_add_u32_e32 v5, v185, v9
	ds_read2st64_b32 v[6:7], v5 offset1:17
	v_add_u32_e32 v5, 0, v9
	ds_read2_b32 v[10:11], v5 offset0:64 offset1:65
	ds_read_b32 v14, v5 offset:4608
	s_waitcnt lgkmcnt(2)
	v_cvt_f32_f16_e32 v18, v6
	v_cvt_f32_f16_sdwa v19, v6 dst_sel:DWORD dst_unused:UNUSED_PAD src0_sel:WORD_1
	v_cvt_f32_f16_e32 v6, v7
	v_cvt_f32_f16_sdwa v7, v7 dst_sel:DWORD dst_unused:UNUSED_PAD src0_sel:WORD_1
	s_waitcnt lgkmcnt(1)
	v_pk_fma_f32 v[18:19], v[10:11], v[18:19], 0 op_sel_hi:[0,1,0]
	s_waitcnt lgkmcnt(0)
	v_pk_fma_f32 v[6:7], v[14:15], v[6:7], v[18:19] op_sel_hi:[0,1,1]
	v_div_scale_f32 v3, s[76:77], v11, v11, v7
	v_rcp_f32_e32 v5, v3
	v_lshl_add_u32 v14, v22, 7, v94
	v_ashrrev_i32_e32 v15, 31, v14
	v_lshl_add_u64 v[14:15], v[14:15], 3, v[146:147]
	v_fma_f32 v9, -v3, v5, 1.0
	v_fmac_f32_e32 v5, v9, v5
	v_div_scale_f32 v9, vcc, v7, v11, v7
	v_mul_f32_e32 v10, v9, v5
	v_fma_f32 v13, -v3, v10, v9
	v_fmac_f32_e32 v10, v13, v5
	v_fma_f32 v3, -v3, v10, v9
	v_div_scale_f32 v9, s[76:77], v11, v11, v6
	v_rcp_f32_e32 v13, v9
	v_div_fmas_f32 v3, v3, v5, v10
	v_div_fixup_f32 v7, v3, v11, v7
	v_fma_f32 v3, -v9, v13, 1.0
	v_fmac_f32_e32 v13, v3, v13
	v_div_scale_f32 v3, vcc, v6, v11, v6
	v_mul_f32_e32 v5, v3, v13
	v_fma_f32 v10, -v9, v5, v3
	v_fmac_f32_e32 v5, v10, v13
	v_fma_f32 v3, -v9, v5, v3
	v_div_fmas_f32 v3, v3, v13, v5
	v_div_fixup_f32 v6, v3, v11, v6
	v_mov_b32_e32 v5, 0
	global_store_dwordx2 v[14:15], v[6:7], off
.LBB30_448:                             ;   in Loop: Header=BB30_10 Depth=1
	s_or_b64 exec, exec, s[74:75]
	v_cmp_gt_i32_e32 vcc, s97, v5
	s_mov_b64 s[74:75], -1
	s_and_saveexec_b64 s[76:77], vcc
; %bb.449:                              ;   in Loop: Header=BB30_10 Depth=1
	v_cmp_eq_u32_e32 vcc, 0, v5
	s_orn2_b64 s[74:75], vcc, exec
; %bb.450:                              ;   in Loop: Header=BB30_10 Depth=1
	s_or_b64 exec, exec, s[76:77]
	s_and_b64 exec, exec, s[74:75]
	s_cbranch_execz .LBB30_478
; %bb.451:                              ;   in Loop: Header=BB30_10 Depth=1
	scratch_load_dword v3, off, off offset:20 ; 4-byte Folded Reload
	v_mov_b32_e32 v5, 0x47
	s_waitcnt vmcnt(0)
	v_add_u32_e32 v3, v3, v97
	v_cmp_gt_i32_e32 vcc, s36, v3
	s_and_b64 s[76:77], vcc, s[8:9]
	s_and_saveexec_b64 s[74:75], s[76:77]
	s_cbranch_execz .LBB30_453
; %bb.452:                              ;   in Loop: Header=BB30_10 Depth=1
	scratch_load_dword v9, off, off offset:24 ; 4-byte Folded Reload
	v_mad_u64_u32 v[22:23], s[76:77], v3, s37, v[124:125]
	s_waitcnt vmcnt(0)
	v_add_u32_e32 v5, v185, v9
	ds_read2st64_b32 v[6:7], v5 offset1:17
	v_add_u32_e32 v5, 0, v9
	ds_read2_b32 v[10:11], v5 offset0:64 offset1:65
	ds_read_b32 v14, v5 offset:4608
	s_waitcnt lgkmcnt(2)
	v_cvt_f32_f16_e32 v18, v6
	v_cvt_f32_f16_sdwa v19, v6 dst_sel:DWORD dst_unused:UNUSED_PAD src0_sel:WORD_1
	v_cvt_f32_f16_e32 v6, v7
	v_cvt_f32_f16_sdwa v7, v7 dst_sel:DWORD dst_unused:UNUSED_PAD src0_sel:WORD_1
	s_waitcnt lgkmcnt(1)
	v_pk_fma_f32 v[18:19], v[10:11], v[18:19], 0 op_sel_hi:[0,1,0]
	s_waitcnt lgkmcnt(0)
	v_pk_fma_f32 v[6:7], v[14:15], v[6:7], v[18:19] op_sel_hi:[0,1,1]
	v_div_scale_f32 v3, s[76:77], v11, v11, v7
	v_rcp_f32_e32 v5, v3
	v_lshl_add_u32 v14, v22, 7, v94
	v_ashrrev_i32_e32 v15, 31, v14
	v_lshl_add_u64 v[14:15], v[14:15], 3, v[146:147]
	v_fma_f32 v9, -v3, v5, 1.0
	v_fmac_f32_e32 v5, v9, v5
	v_div_scale_f32 v9, vcc, v7, v11, v7
	v_mul_f32_e32 v10, v9, v5
	v_fma_f32 v13, -v3, v10, v9
	v_fmac_f32_e32 v10, v13, v5
	v_fma_f32 v3, -v3, v10, v9
	v_div_scale_f32 v9, s[76:77], v11, v11, v6
	v_rcp_f32_e32 v13, v9
	v_div_fmas_f32 v3, v3, v5, v10
	v_div_fixup_f32 v7, v3, v11, v7
	v_fma_f32 v3, -v9, v13, 1.0
	v_fmac_f32_e32 v13, v3, v13
	v_div_scale_f32 v3, vcc, v6, v11, v6
	v_mul_f32_e32 v5, v3, v13
	v_fma_f32 v10, -v9, v5, v3
	v_fmac_f32_e32 v5, v10, v13
	v_fma_f32 v3, -v9, v5, v3
	v_div_fmas_f32 v3, v3, v13, v5
	v_div_fixup_f32 v6, v3, v11, v6
	v_mov_b32_e32 v5, 0
	global_store_dwordx2 v[14:15], v[6:7], off
.LBB30_453:                             ;   in Loop: Header=BB30_10 Depth=1
	s_or_b64 exec, exec, s[74:75]
	v_cmp_gt_i32_e32 vcc, s97, v5
	s_mov_b64 s[74:75], -1
	s_and_saveexec_b64 s[76:77], vcc
; %bb.454:                              ;   in Loop: Header=BB30_10 Depth=1
	v_cmp_eq_u32_e32 vcc, 0, v5
	s_orn2_b64 s[74:75], vcc, exec
; %bb.455:                              ;   in Loop: Header=BB30_10 Depth=1
	s_or_b64 exec, exec, s[76:77]
	s_and_b64 exec, exec, s[74:75]
	s_cbranch_execz .LBB30_478
; %bb.456:                              ;   in Loop: Header=BB30_10 Depth=1
	scratch_load_dword v3, off, off offset:28 ; 4-byte Folded Reload
	v_mov_b32_e32 v5, 0x47
	s_waitcnt vmcnt(0)
	v_add_u32_e32 v3, v3, v97
	v_cmp_gt_i32_e32 vcc, s36, v3
	s_and_b64 s[76:77], vcc, s[8:9]
	s_and_saveexec_b64 s[74:75], s[76:77]
	s_cbranch_execz .LBB30_458
; %bb.457:                              ;   in Loop: Header=BB30_10 Depth=1
	scratch_load_dword v9, off, off offset:32 ; 4-byte Folded Reload
	v_mad_u64_u32 v[22:23], s[76:77], v3, s37, v[124:125]
	s_waitcnt vmcnt(0)
	v_add_u32_e32 v5, v185, v9
	ds_read2st64_b32 v[6:7], v5 offset1:17
	v_add_u32_e32 v5, 0, v9
	ds_read2_b32 v[10:11], v5 offset0:64 offset1:65
	ds_read_b32 v14, v5 offset:4608
	s_waitcnt lgkmcnt(2)
	v_cvt_f32_f16_e32 v18, v6
	v_cvt_f32_f16_sdwa v19, v6 dst_sel:DWORD dst_unused:UNUSED_PAD src0_sel:WORD_1
	v_cvt_f32_f16_e32 v6, v7
	v_cvt_f32_f16_sdwa v7, v7 dst_sel:DWORD dst_unused:UNUSED_PAD src0_sel:WORD_1
	s_waitcnt lgkmcnt(1)
	v_pk_fma_f32 v[18:19], v[10:11], v[18:19], 0 op_sel_hi:[0,1,0]
	s_waitcnt lgkmcnt(0)
	v_pk_fma_f32 v[6:7], v[14:15], v[6:7], v[18:19] op_sel_hi:[0,1,1]
	v_div_scale_f32 v3, s[76:77], v11, v11, v7
	v_rcp_f32_e32 v5, v3
	v_lshl_add_u32 v14, v22, 7, v94
	v_ashrrev_i32_e32 v15, 31, v14
	v_lshl_add_u64 v[14:15], v[14:15], 3, v[146:147]
	v_fma_f32 v9, -v3, v5, 1.0
	v_fmac_f32_e32 v5, v9, v5
	v_div_scale_f32 v9, vcc, v7, v11, v7
	v_mul_f32_e32 v10, v9, v5
	v_fma_f32 v13, -v3, v10, v9
	v_fmac_f32_e32 v10, v13, v5
	v_fma_f32 v3, -v3, v10, v9
	v_div_scale_f32 v9, s[76:77], v11, v11, v6
	v_rcp_f32_e32 v13, v9
	v_div_fmas_f32 v3, v3, v5, v10
	v_div_fixup_f32 v7, v3, v11, v7
	v_fma_f32 v3, -v9, v13, 1.0
	v_fmac_f32_e32 v13, v3, v13
	v_div_scale_f32 v3, vcc, v6, v11, v6
	v_mul_f32_e32 v5, v3, v13
	v_fma_f32 v10, -v9, v5, v3
	v_fmac_f32_e32 v5, v10, v13
	v_fma_f32 v3, -v9, v5, v3
	v_div_fmas_f32 v3, v3, v13, v5
	v_div_fixup_f32 v6, v3, v11, v6
	v_mov_b32_e32 v5, 0
	global_store_dwordx2 v[14:15], v[6:7], off
.LBB30_458:                             ;   in Loop: Header=BB30_10 Depth=1
	s_or_b64 exec, exec, s[74:75]
	v_cmp_gt_i32_e32 vcc, s97, v5
	s_mov_b64 s[74:75], -1
	s_and_saveexec_b64 s[76:77], vcc
; %bb.459:                              ;   in Loop: Header=BB30_10 Depth=1
	v_cmp_eq_u32_e32 vcc, 0, v5
	s_orn2_b64 s[74:75], vcc, exec
; %bb.460:                              ;   in Loop: Header=BB30_10 Depth=1
	s_or_b64 exec, exec, s[76:77]
	s_and_b64 exec, exec, s[74:75]
	s_cbranch_execz .LBB30_478
; %bb.461:                              ;   in Loop: Header=BB30_10 Depth=1
	scratch_load_dword v3, off, off offset:36 ; 4-byte Folded Reload
	v_mov_b32_e32 v5, 0x47
	s_waitcnt vmcnt(0)
	v_add_u32_e32 v3, v3, v97
	v_cmp_gt_i32_e32 vcc, s36, v3
	s_and_b64 s[76:77], vcc, s[8:9]
	s_and_saveexec_b64 s[74:75], s[76:77]
	s_cbranch_execz .LBB30_463
; %bb.462:                              ;   in Loop: Header=BB30_10 Depth=1
	scratch_load_dword v9, off, off offset:40 ; 4-byte Folded Reload
	v_mad_u64_u32 v[22:23], s[76:77], v3, s37, v[124:125]
	s_waitcnt vmcnt(0)
	v_add_u32_e32 v5, v185, v9
	ds_read2st64_b32 v[6:7], v5 offset1:17
	v_add_u32_e32 v5, 0, v9
	ds_read2_b32 v[10:11], v5 offset0:64 offset1:65
	ds_read_b32 v14, v5 offset:4608
	s_waitcnt lgkmcnt(2)
	v_cvt_f32_f16_e32 v18, v6
	v_cvt_f32_f16_sdwa v19, v6 dst_sel:DWORD dst_unused:UNUSED_PAD src0_sel:WORD_1
	v_cvt_f32_f16_e32 v6, v7
	v_cvt_f32_f16_sdwa v7, v7 dst_sel:DWORD dst_unused:UNUSED_PAD src0_sel:WORD_1
	s_waitcnt lgkmcnt(1)
	v_pk_fma_f32 v[18:19], v[10:11], v[18:19], 0 op_sel_hi:[0,1,0]
	s_waitcnt lgkmcnt(0)
	v_pk_fma_f32 v[6:7], v[14:15], v[6:7], v[18:19] op_sel_hi:[0,1,1]
	v_div_scale_f32 v3, s[76:77], v11, v11, v7
	v_rcp_f32_e32 v5, v3
	v_lshl_add_u32 v14, v22, 7, v94
	v_ashrrev_i32_e32 v15, 31, v14
	v_lshl_add_u64 v[14:15], v[14:15], 3, v[146:147]
	v_fma_f32 v9, -v3, v5, 1.0
	v_fmac_f32_e32 v5, v9, v5
	v_div_scale_f32 v9, vcc, v7, v11, v7
	v_mul_f32_e32 v10, v9, v5
	v_fma_f32 v13, -v3, v10, v9
	v_fmac_f32_e32 v10, v13, v5
	v_fma_f32 v3, -v3, v10, v9
	v_div_scale_f32 v9, s[76:77], v11, v11, v6
	v_rcp_f32_e32 v13, v9
	v_div_fmas_f32 v3, v3, v5, v10
	v_div_fixup_f32 v7, v3, v11, v7
	v_fma_f32 v3, -v9, v13, 1.0
	v_fmac_f32_e32 v13, v3, v13
	v_div_scale_f32 v3, vcc, v6, v11, v6
	v_mul_f32_e32 v5, v3, v13
	v_fma_f32 v10, -v9, v5, v3
	v_fmac_f32_e32 v5, v10, v13
	v_fma_f32 v3, -v9, v5, v3
	v_div_fmas_f32 v3, v3, v13, v5
	v_div_fixup_f32 v6, v3, v11, v6
	v_mov_b32_e32 v5, 0
	global_store_dwordx2 v[14:15], v[6:7], off
.LBB30_463:                             ;   in Loop: Header=BB30_10 Depth=1
	s_or_b64 exec, exec, s[74:75]
	v_cmp_gt_i32_e32 vcc, s97, v5
	s_mov_b64 s[74:75], -1
	s_and_saveexec_b64 s[76:77], vcc
; %bb.464:                              ;   in Loop: Header=BB30_10 Depth=1
	v_cmp_eq_u32_e32 vcc, 0, v5
	s_orn2_b64 s[74:75], vcc, exec
; %bb.465:                              ;   in Loop: Header=BB30_10 Depth=1
	s_or_b64 exec, exec, s[76:77]
	s_and_b64 exec, exec, s[74:75]
	s_cbranch_execz .LBB30_478
; %bb.466:                              ;   in Loop: Header=BB30_10 Depth=1
	scratch_load_dword v3, off, off offset:44 ; 4-byte Folded Reload
	v_mov_b32_e32 v5, 0x47
	s_waitcnt vmcnt(0)
	v_add_u32_e32 v3, v3, v97
	v_cmp_gt_i32_e32 vcc, s36, v3
	s_and_b64 s[76:77], vcc, s[8:9]
	s_and_saveexec_b64 s[74:75], s[76:77]
	s_cbranch_execz .LBB30_468
; %bb.467:                              ;   in Loop: Header=BB30_10 Depth=1
	scratch_load_dword v9, off, off offset:48 ; 4-byte Folded Reload
	v_mad_u64_u32 v[22:23], s[76:77], v3, s37, v[124:125]
	s_waitcnt vmcnt(0)
	v_add_u32_e32 v5, v185, v9
	ds_read2st64_b32 v[6:7], v5 offset1:17
	v_add_u32_e32 v5, 0, v9
	ds_read2_b32 v[10:11], v5 offset0:64 offset1:65
	ds_read_b32 v14, v5 offset:4608
	s_waitcnt lgkmcnt(2)
	v_cvt_f32_f16_e32 v18, v6
	v_cvt_f32_f16_sdwa v19, v6 dst_sel:DWORD dst_unused:UNUSED_PAD src0_sel:WORD_1
	v_cvt_f32_f16_e32 v6, v7
	v_cvt_f32_f16_sdwa v7, v7 dst_sel:DWORD dst_unused:UNUSED_PAD src0_sel:WORD_1
	s_waitcnt lgkmcnt(1)
	v_pk_fma_f32 v[18:19], v[10:11], v[18:19], 0 op_sel_hi:[0,1,0]
	s_waitcnt lgkmcnt(0)
	v_pk_fma_f32 v[6:7], v[14:15], v[6:7], v[18:19] op_sel_hi:[0,1,1]
	v_div_scale_f32 v3, s[76:77], v11, v11, v7
	v_rcp_f32_e32 v5, v3
	v_lshl_add_u32 v14, v22, 7, v94
	v_ashrrev_i32_e32 v15, 31, v14
	v_lshl_add_u64 v[14:15], v[14:15], 3, v[146:147]
	v_fma_f32 v9, -v3, v5, 1.0
	v_fmac_f32_e32 v5, v9, v5
	v_div_scale_f32 v9, vcc, v7, v11, v7
	v_mul_f32_e32 v10, v9, v5
	v_fma_f32 v13, -v3, v10, v9
	v_fmac_f32_e32 v10, v13, v5
	v_fma_f32 v3, -v3, v10, v9
	v_div_scale_f32 v9, s[76:77], v11, v11, v6
	v_rcp_f32_e32 v13, v9
	v_div_fmas_f32 v3, v3, v5, v10
	v_div_fixup_f32 v7, v3, v11, v7
	v_fma_f32 v3, -v9, v13, 1.0
	v_fmac_f32_e32 v13, v3, v13
	v_div_scale_f32 v3, vcc, v6, v11, v6
	v_mul_f32_e32 v5, v3, v13
	v_fma_f32 v10, -v9, v5, v3
	v_fmac_f32_e32 v5, v10, v13
	v_fma_f32 v3, -v9, v5, v3
	v_div_fmas_f32 v3, v3, v13, v5
	v_div_fixup_f32 v6, v3, v11, v6
	v_mov_b32_e32 v5, 0
	global_store_dwordx2 v[14:15], v[6:7], off
.LBB30_468:                             ;   in Loop: Header=BB30_10 Depth=1
	s_or_b64 exec, exec, s[74:75]
	v_cmp_gt_i32_e32 vcc, s97, v5
	s_mov_b64 s[74:75], -1
	s_and_saveexec_b64 s[76:77], vcc
; %bb.469:                              ;   in Loop: Header=BB30_10 Depth=1
	v_cmp_eq_u32_e32 vcc, 0, v5
	s_orn2_b64 s[74:75], vcc, exec
; %bb.470:                              ;   in Loop: Header=BB30_10 Depth=1
	s_or_b64 exec, exec, s[76:77]
	s_and_b64 exec, exec, s[74:75]
	s_cbranch_execz .LBB30_478
; %bb.471:                              ;   in Loop: Header=BB30_10 Depth=1
	scratch_load_dword v3, off, off offset:52 ; 4-byte Folded Reload
	v_mov_b32_e32 v5, 0x47
	s_waitcnt vmcnt(0)
	v_add_u32_e32 v3, v3, v97
	v_cmp_gt_i32_e32 vcc, s36, v3
	s_and_b64 s[76:77], vcc, s[8:9]
	s_and_saveexec_b64 s[74:75], s[76:77]
	s_cbranch_execz .LBB30_473
; %bb.472:                              ;   in Loop: Header=BB30_10 Depth=1
	scratch_load_dword v9, off, off offset:56 ; 4-byte Folded Reload
	v_mad_u64_u32 v[22:23], s[76:77], v3, s37, v[124:125]
	s_waitcnt vmcnt(0)
	v_add_u32_e32 v5, v185, v9
	ds_read2st64_b32 v[6:7], v5 offset1:17
	v_add_u32_e32 v5, 0, v9
	ds_read2_b32 v[10:11], v5 offset0:64 offset1:65
	ds_read_b32 v14, v5 offset:4608
	s_waitcnt lgkmcnt(2)
	v_cvt_f32_f16_e32 v18, v6
	v_cvt_f32_f16_sdwa v19, v6 dst_sel:DWORD dst_unused:UNUSED_PAD src0_sel:WORD_1
	v_cvt_f32_f16_e32 v6, v7
	v_cvt_f32_f16_sdwa v7, v7 dst_sel:DWORD dst_unused:UNUSED_PAD src0_sel:WORD_1
	s_waitcnt lgkmcnt(1)
	v_pk_fma_f32 v[18:19], v[10:11], v[18:19], 0 op_sel_hi:[0,1,0]
	s_waitcnt lgkmcnt(0)
	v_pk_fma_f32 v[6:7], v[14:15], v[6:7], v[18:19] op_sel_hi:[0,1,1]
	v_div_scale_f32 v3, s[76:77], v11, v11, v7
	v_rcp_f32_e32 v5, v3
	v_lshl_add_u32 v14, v22, 7, v94
	v_ashrrev_i32_e32 v15, 31, v14
	v_lshl_add_u64 v[14:15], v[14:15], 3, v[146:147]
	v_fma_f32 v9, -v3, v5, 1.0
	v_fmac_f32_e32 v5, v9, v5
	v_div_scale_f32 v9, vcc, v7, v11, v7
	v_mul_f32_e32 v10, v9, v5
	v_fma_f32 v13, -v3, v10, v9
	v_fmac_f32_e32 v10, v13, v5
	v_fma_f32 v3, -v3, v10, v9
	v_div_scale_f32 v9, s[76:77], v11, v11, v6
	v_rcp_f32_e32 v13, v9
	v_div_fmas_f32 v3, v3, v5, v10
	v_div_fixup_f32 v7, v3, v11, v7
	v_fma_f32 v3, -v9, v13, 1.0
	v_fmac_f32_e32 v13, v3, v13
	v_div_scale_f32 v3, vcc, v6, v11, v6
	v_mul_f32_e32 v5, v3, v13
	v_fma_f32 v10, -v9, v5, v3
	v_fmac_f32_e32 v5, v10, v13
	v_fma_f32 v3, -v9, v5, v3
	v_div_fmas_f32 v3, v3, v13, v5
	v_div_fixup_f32 v6, v3, v11, v6
	v_mov_b32_e32 v5, 0
	global_store_dwordx2 v[14:15], v[6:7], off
.LBB30_473:                             ;   in Loop: Header=BB30_10 Depth=1
	s_or_b64 exec, exec, s[74:75]
	v_cmp_gt_i32_e32 vcc, s97, v5
	s_mov_b64 s[74:75], -1
	s_and_saveexec_b64 s[76:77], vcc
; %bb.474:                              ;   in Loop: Header=BB30_10 Depth=1
	v_cmp_eq_u32_e32 vcc, 0, v5
	s_orn2_b64 s[74:75], vcc, exec
; %bb.475:                              ;   in Loop: Header=BB30_10 Depth=1
	s_or_b64 exec, exec, s[76:77]
	s_and_b64 exec, exec, s[74:75]
	s_cbranch_execz .LBB30_478
; %bb.476:                              ;   in Loop: Header=BB30_10 Depth=1
	scratch_load_dword v3, off, off offset:60 ; 4-byte Folded Reload
	s_waitcnt vmcnt(0)
	v_add_u32_e32 v3, v3, v97
	v_cmp_gt_i32_e32 vcc, s36, v3
	s_and_b64 s[8:9], vcc, s[8:9]
	s_and_b64 exec, exec, s[8:9]
	s_cbranch_execz .LBB30_478
; %bb.477:                              ;   in Loop: Header=BB30_10 Depth=1
	scratch_load_dword v9, off, off offset:64 ; 4-byte Folded Reload
	v_mad_u64_u32 v[22:23], s[8:9], v3, s37, v[124:125]
	s_waitcnt vmcnt(0)
	v_add_u32_e32 v5, v185, v9
	ds_read2st64_b32 v[6:7], v5 offset1:17
	v_add_u32_e32 v5, 0, v9
	ds_read2_b32 v[10:11], v5 offset0:64 offset1:65
	ds_read_b32 v14, v5 offset:4608
	s_waitcnt lgkmcnt(2)
	v_cvt_f32_f16_e32 v18, v6
	v_cvt_f32_f16_sdwa v19, v6 dst_sel:DWORD dst_unused:UNUSED_PAD src0_sel:WORD_1
	v_cvt_f32_f16_e32 v6, v7
	v_cvt_f32_f16_sdwa v7, v7 dst_sel:DWORD dst_unused:UNUSED_PAD src0_sel:WORD_1
	s_waitcnt lgkmcnt(1)
	v_pk_fma_f32 v[18:19], v[10:11], v[18:19], 0 op_sel_hi:[0,1,0]
	s_waitcnt lgkmcnt(0)
	v_pk_fma_f32 v[6:7], v[14:15], v[6:7], v[18:19] op_sel_hi:[0,1,1]
	v_div_scale_f32 v3, s[8:9], v11, v11, v7
	v_rcp_f32_e32 v5, v3
	v_lshl_add_u32 v14, v22, 7, v94
	v_ashrrev_i32_e32 v15, 31, v14
	v_lshl_add_u64 v[14:15], v[14:15], 3, v[146:147]
	v_fma_f32 v9, -v3, v5, 1.0
	v_fmac_f32_e32 v5, v9, v5
	v_div_scale_f32 v9, vcc, v7, v11, v7
	v_mul_f32_e32 v10, v9, v5
	v_fma_f32 v13, -v3, v10, v9
	v_fmac_f32_e32 v10, v13, v5
	v_fma_f32 v3, -v3, v10, v9
	v_div_scale_f32 v9, s[8:9], v11, v11, v6
	v_rcp_f32_e32 v13, v9
	v_div_fmas_f32 v3, v3, v5, v10
	v_div_fixup_f32 v7, v3, v11, v7
	v_fma_f32 v3, -v9, v13, 1.0
	v_fmac_f32_e32 v13, v3, v13
	v_div_scale_f32 v3, vcc, v6, v11, v6
	v_mul_f32_e32 v5, v3, v13
	v_fma_f32 v10, -v9, v5, v3
	v_fmac_f32_e32 v5, v10, v13
	v_fma_f32 v3, -v9, v5, v3
	v_div_fmas_f32 v3, v3, v13, v5
	v_div_fixup_f32 v6, v3, v11, v6
	global_store_dwordx2 v[14:15], v[6:7], off
.LBB30_478:                             ;   in Loop: Header=BB30_10 Depth=1
	s_or_b64 exec, exec, s[12:13]
	s_barrier
	ds_write2_b32 v2, v56, v4 offset1:1
	ds_write2_b32 v2, v45, v8 offset0:8 offset1:9
	ds_write2_b32 v2, v44, v12 offset0:16 offset1:17
	;; [unrolled: 1-line block ×7, first 2 shown]
	s_waitcnt lgkmcnt(0)
	s_barrier
	s_and_saveexec_b64 s[12:13], s[0:1]
	s_cbranch_execz .LBB30_8
; %bb.479:                              ;   in Loop: Header=BB30_10 Depth=1
	v_add_u32_e32 v2, v232, v97
	v_or_b32_e32 v3, v124, v127
	v_cmp_gt_i32_e32 vcc, s36, v2
	v_cmp_gt_i32_e64 s[8:9], s78, v3
	s_and_b64 s[76:77], vcc, s[8:9]
	v_mov_b32_e32 v3, 0x47
	s_and_saveexec_b64 s[74:75], s[76:77]
	s_cbranch_execz .LBB30_481
; %bb.480:                              ;   in Loop: Header=BB30_10 Depth=1
	v_add_u32_e32 v3, v185, v203
	ds_read2st64_b32 v[4:5], v3 offset1:17
	v_add_u32_e32 v3, 0, v203
	ds_read2_b32 v[6:7], v3 offset0:64 offset1:65
	ds_read_b32 v8, v3 offset:4608
	v_mad_u64_u32 v[2:3], s[76:77], v2, s37, v[124:125]
	s_waitcnt lgkmcnt(2)
	v_cvt_f32_f16_e32 v10, v4
	v_cvt_f32_f16_sdwa v11, v4 dst_sel:DWORD dst_unused:UNUSED_PAD src0_sel:WORD_1
	v_cvt_f32_f16_e32 v4, v5
	v_cvt_f32_f16_sdwa v5, v5 dst_sel:DWORD dst_unused:UNUSED_PAD src0_sel:WORD_1
	v_lshl_add_u32 v2, v2, 7, v239
	s_waitcnt lgkmcnt(1)
	v_pk_fma_f32 v[10:11], v[6:7], v[10:11], 0 op_sel_hi:[0,1,0]
	v_ashrrev_i32_e32 v3, 31, v2
	s_waitcnt lgkmcnt(0)
	v_pk_fma_f32 v[4:5], v[8:9], v[4:5], v[10:11] op_sel_hi:[0,1,1]
	v_div_scale_f32 v6, s[76:77], v7, v7, v5
	v_rcp_f32_e32 v8, v6
	v_lshl_add_u64 v[2:3], v[2:3], 3, v[146:147]
	v_fma_f32 v9, -v6, v8, 1.0
	v_fmac_f32_e32 v8, v9, v8
	v_div_scale_f32 v9, vcc, v5, v7, v5
	v_mul_f32_e32 v10, v9, v8
	v_fma_f32 v11, -v6, v10, v9
	v_fmac_f32_e32 v10, v11, v8
	v_fma_f32 v6, -v6, v10, v9
	v_div_scale_f32 v9, s[76:77], v7, v7, v4
	v_rcp_f32_e32 v11, v9
	v_div_fmas_f32 v6, v6, v8, v10
	v_div_fixup_f32 v5, v6, v7, v5
	v_fma_f32 v6, -v9, v11, 1.0
	v_fmac_f32_e32 v11, v6, v11
	v_div_scale_f32 v6, vcc, v4, v7, v4
	v_mul_f32_e32 v8, v6, v11
	v_fma_f32 v10, -v9, v8, v6
	v_fmac_f32_e32 v8, v10, v11
	v_fma_f32 v6, -v9, v8, v6
	v_div_fmas_f32 v6, v6, v11, v8
	v_div_fixup_f32 v4, v6, v7, v4
	global_store_dwordx2 v[2:3], v[4:5], off
	v_mov_b32_e32 v3, 0
.LBB30_481:                             ;   in Loop: Header=BB30_10 Depth=1
	s_or_b64 exec, exec, s[74:75]
	v_cmp_gt_i32_e32 vcc, s97, v3
	s_mov_b64 s[74:75], -1
	s_and_saveexec_b64 s[76:77], vcc
; %bb.482:                              ;   in Loop: Header=BB30_10 Depth=1
	v_cmp_eq_u32_e32 vcc, 0, v3
	s_orn2_b64 s[74:75], vcc, exec
; %bb.483:                              ;   in Loop: Header=BB30_10 Depth=1
	s_or_b64 exec, exec, s[76:77]
	s_and_b64 exec, exec, s[74:75]
	s_cbranch_execz .LBB30_8
; %bb.484:                              ;   in Loop: Header=BB30_10 Depth=1
	v_add_u32_e32 v2, v204, v97
	v_cmp_gt_i32_e32 vcc, s36, v2
	s_and_b64 s[76:77], vcc, s[8:9]
	v_mov_b32_e32 v3, 0x47
	s_and_saveexec_b64 s[74:75], s[76:77]
	s_cbranch_execz .LBB30_486
; %bb.485:                              ;   in Loop: Header=BB30_10 Depth=1
	v_add_u32_e32 v3, v185, v205
	ds_read2st64_b32 v[4:5], v3 offset1:17
	v_add_u32_e32 v3, 0, v205
	ds_read2_b32 v[6:7], v3 offset0:64 offset1:65
	ds_read_b32 v8, v3 offset:4608
	v_mad_u64_u32 v[2:3], s[76:77], v2, s37, v[124:125]
	s_waitcnt lgkmcnt(2)
	v_cvt_f32_f16_e32 v10, v4
	v_cvt_f32_f16_sdwa v11, v4 dst_sel:DWORD dst_unused:UNUSED_PAD src0_sel:WORD_1
	v_cvt_f32_f16_e32 v4, v5
	v_cvt_f32_f16_sdwa v5, v5 dst_sel:DWORD dst_unused:UNUSED_PAD src0_sel:WORD_1
	v_lshl_add_u32 v2, v2, 7, v239
	s_waitcnt lgkmcnt(1)
	v_pk_fma_f32 v[10:11], v[6:7], v[10:11], 0 op_sel_hi:[0,1,0]
	v_ashrrev_i32_e32 v3, 31, v2
	s_waitcnt lgkmcnt(0)
	v_pk_fma_f32 v[4:5], v[8:9], v[4:5], v[10:11] op_sel_hi:[0,1,1]
	v_div_scale_f32 v6, s[76:77], v7, v7, v5
	v_rcp_f32_e32 v8, v6
	v_lshl_add_u64 v[2:3], v[2:3], 3, v[146:147]
	v_fma_f32 v9, -v6, v8, 1.0
	v_fmac_f32_e32 v8, v9, v8
	v_div_scale_f32 v9, vcc, v5, v7, v5
	v_mul_f32_e32 v10, v9, v8
	v_fma_f32 v11, -v6, v10, v9
	v_fmac_f32_e32 v10, v11, v8
	v_fma_f32 v6, -v6, v10, v9
	v_div_scale_f32 v9, s[76:77], v7, v7, v4
	v_rcp_f32_e32 v11, v9
	v_div_fmas_f32 v6, v6, v8, v10
	v_div_fixup_f32 v5, v6, v7, v5
	v_fma_f32 v6, -v9, v11, 1.0
	v_fmac_f32_e32 v11, v6, v11
	v_div_scale_f32 v6, vcc, v4, v7, v4
	v_mul_f32_e32 v8, v6, v11
	v_fma_f32 v10, -v9, v8, v6
	v_fmac_f32_e32 v8, v10, v11
	v_fma_f32 v6, -v9, v8, v6
	v_div_fmas_f32 v6, v6, v11, v8
	v_div_fixup_f32 v4, v6, v7, v4
	global_store_dwordx2 v[2:3], v[4:5], off
	v_mov_b32_e32 v3, 0
.LBB30_486:                             ;   in Loop: Header=BB30_10 Depth=1
	s_or_b64 exec, exec, s[74:75]
	v_cmp_gt_i32_e32 vcc, s97, v3
	s_mov_b64 s[74:75], -1
	s_and_saveexec_b64 s[76:77], vcc
; %bb.487:                              ;   in Loop: Header=BB30_10 Depth=1
	v_cmp_eq_u32_e32 vcc, 0, v3
	s_orn2_b64 s[74:75], vcc, exec
; %bb.488:                              ;   in Loop: Header=BB30_10 Depth=1
	s_or_b64 exec, exec, s[76:77]
	s_and_b64 exec, exec, s[74:75]
	s_cbranch_execz .LBB30_8
; %bb.489:                              ;   in Loop: Header=BB30_10 Depth=1
	v_add_u32_e32 v2, v206, v97
	v_cmp_gt_i32_e32 vcc, s36, v2
	;; [unrolled: 62-line block ×6, first 2 shown]
	s_and_b64 s[76:77], vcc, s[8:9]
	v_mov_b32_e32 v3, 0x47
	s_and_saveexec_b64 s[74:75], s[76:77]
	s_cbranch_execz .LBB30_511
; %bb.510:                              ;   in Loop: Header=BB30_10 Depth=1
	v_add_u32_e32 v3, v185, v215
	ds_read2st64_b32 v[4:5], v3 offset1:17
	v_add_u32_e32 v3, 0, v215
	ds_read2_b32 v[6:7], v3 offset0:64 offset1:65
	ds_read_b32 v8, v3 offset:4608
	v_mad_u64_u32 v[2:3], s[76:77], v2, s37, v[124:125]
	s_waitcnt lgkmcnt(2)
	v_cvt_f32_f16_e32 v10, v4
	v_cvt_f32_f16_sdwa v11, v4 dst_sel:DWORD dst_unused:UNUSED_PAD src0_sel:WORD_1
	v_cvt_f32_f16_e32 v4, v5
	v_cvt_f32_f16_sdwa v5, v5 dst_sel:DWORD dst_unused:UNUSED_PAD src0_sel:WORD_1
	v_lshl_add_u32 v2, v2, 7, v239
	s_waitcnt lgkmcnt(1)
	v_pk_fma_f32 v[10:11], v[6:7], v[10:11], 0 op_sel_hi:[0,1,0]
	v_ashrrev_i32_e32 v3, 31, v2
	s_waitcnt lgkmcnt(0)
	v_pk_fma_f32 v[4:5], v[8:9], v[4:5], v[10:11] op_sel_hi:[0,1,1]
	v_div_scale_f32 v6, s[76:77], v7, v7, v5
	v_rcp_f32_e32 v8, v6
	v_lshl_add_u64 v[2:3], v[2:3], 3, v[146:147]
	v_fma_f32 v9, -v6, v8, 1.0
	v_fmac_f32_e32 v8, v9, v8
	v_div_scale_f32 v9, vcc, v5, v7, v5
	v_mul_f32_e32 v10, v9, v8
	v_fma_f32 v11, -v6, v10, v9
	v_fmac_f32_e32 v10, v11, v8
	v_fma_f32 v6, -v6, v10, v9
	v_div_scale_f32 v9, s[76:77], v7, v7, v4
	v_rcp_f32_e32 v11, v9
	v_div_fmas_f32 v6, v6, v8, v10
	v_div_fixup_f32 v5, v6, v7, v5
	v_fma_f32 v6, -v9, v11, 1.0
	v_fmac_f32_e32 v11, v6, v11
	v_div_scale_f32 v6, vcc, v4, v7, v4
	v_mul_f32_e32 v8, v6, v11
	v_fma_f32 v10, -v9, v8, v6
	v_fmac_f32_e32 v8, v10, v11
	v_fma_f32 v6, -v9, v8, v6
	v_div_fmas_f32 v6, v6, v11, v8
	v_div_fixup_f32 v4, v6, v7, v4
	global_store_dwordx2 v[2:3], v[4:5], off
	v_mov_b32_e32 v3, 0
.LBB30_511:                             ;   in Loop: Header=BB30_10 Depth=1
	s_or_b64 exec, exec, s[74:75]
	v_cmp_gt_i32_e32 vcc, s97, v3
	s_mov_b64 s[74:75], -1
	s_and_saveexec_b64 s[76:77], vcc
; %bb.512:                              ;   in Loop: Header=BB30_10 Depth=1
	v_cmp_eq_u32_e32 vcc, 0, v3
	s_orn2_b64 s[74:75], vcc, exec
; %bb.513:                              ;   in Loop: Header=BB30_10 Depth=1
	s_or_b64 exec, exec, s[76:77]
	s_and_b64 exec, exec, s[74:75]
	s_cbranch_execz .LBB30_8
; %bb.514:                              ;   in Loop: Header=BB30_10 Depth=1
	scratch_load_dword v2, off, off         ; 4-byte Folded Reload
	v_mov_b32_e32 v3, 0x47
	s_waitcnt vmcnt(0)
	v_add_u32_e32 v2, v2, v97
	v_cmp_gt_i32_e32 vcc, s36, v2
	s_and_b64 s[76:77], vcc, s[8:9]
	s_and_saveexec_b64 s[74:75], s[76:77]
	s_cbranch_execz .LBB30_516
; %bb.515:                              ;   in Loop: Header=BB30_10 Depth=1
	v_add_u32_e32 v3, v185, v217
	ds_read2st64_b32 v[4:5], v3 offset1:17
	v_add_u32_e32 v3, 0, v217
	ds_read2_b32 v[6:7], v3 offset0:64 offset1:65
	ds_read_b32 v8, v3 offset:4608
	v_mad_u64_u32 v[2:3], s[76:77], v2, s37, v[124:125]
	s_waitcnt lgkmcnt(2)
	v_cvt_f32_f16_e32 v10, v4
	v_cvt_f32_f16_sdwa v11, v4 dst_sel:DWORD dst_unused:UNUSED_PAD src0_sel:WORD_1
	v_cvt_f32_f16_e32 v4, v5
	v_cvt_f32_f16_sdwa v5, v5 dst_sel:DWORD dst_unused:UNUSED_PAD src0_sel:WORD_1
	v_lshl_add_u32 v2, v2, 7, v239
	s_waitcnt lgkmcnt(1)
	v_pk_fma_f32 v[10:11], v[6:7], v[10:11], 0 op_sel_hi:[0,1,0]
	v_ashrrev_i32_e32 v3, 31, v2
	s_waitcnt lgkmcnt(0)
	v_pk_fma_f32 v[4:5], v[8:9], v[4:5], v[10:11] op_sel_hi:[0,1,1]
	v_div_scale_f32 v6, s[76:77], v7, v7, v5
	v_rcp_f32_e32 v8, v6
	v_lshl_add_u64 v[2:3], v[2:3], 3, v[146:147]
	v_fma_f32 v9, -v6, v8, 1.0
	v_fmac_f32_e32 v8, v9, v8
	v_div_scale_f32 v9, vcc, v5, v7, v5
	v_mul_f32_e32 v10, v9, v8
	v_fma_f32 v11, -v6, v10, v9
	v_fmac_f32_e32 v10, v11, v8
	v_fma_f32 v6, -v6, v10, v9
	v_div_scale_f32 v9, s[76:77], v7, v7, v4
	v_rcp_f32_e32 v11, v9
	v_div_fmas_f32 v6, v6, v8, v10
	v_div_fixup_f32 v5, v6, v7, v5
	v_fma_f32 v6, -v9, v11, 1.0
	v_fmac_f32_e32 v11, v6, v11
	v_div_scale_f32 v6, vcc, v4, v7, v4
	v_mul_f32_e32 v8, v6, v11
	v_fma_f32 v10, -v9, v8, v6
	v_fmac_f32_e32 v8, v10, v11
	v_fma_f32 v6, -v9, v8, v6
	v_div_fmas_f32 v6, v6, v11, v8
	v_div_fixup_f32 v4, v6, v7, v4
	global_store_dwordx2 v[2:3], v[4:5], off
	v_mov_b32_e32 v3, 0
.LBB30_516:                             ;   in Loop: Header=BB30_10 Depth=1
	s_or_b64 exec, exec, s[74:75]
	v_cmp_gt_i32_e32 vcc, s97, v3
	s_mov_b64 s[74:75], -1
	s_and_saveexec_b64 s[76:77], vcc
; %bb.517:                              ;   in Loop: Header=BB30_10 Depth=1
	v_cmp_eq_u32_e32 vcc, 0, v3
	s_orn2_b64 s[74:75], vcc, exec
; %bb.518:                              ;   in Loop: Header=BB30_10 Depth=1
	s_or_b64 exec, exec, s[76:77]
	s_and_b64 exec, exec, s[74:75]
	s_cbranch_execz .LBB30_8
; %bb.519:                              ;   in Loop: Header=BB30_10 Depth=1
	scratch_load_dword v2, off, off offset:4 ; 4-byte Folded Reload
	v_mov_b32_e32 v3, 0x47
	s_waitcnt vmcnt(0)
	v_add_u32_e32 v2, v2, v97
	v_cmp_gt_i32_e32 vcc, s36, v2
	s_and_b64 s[76:77], vcc, s[8:9]
	s_and_saveexec_b64 s[74:75], s[76:77]
	s_cbranch_execz .LBB30_521
; %bb.520:                              ;   in Loop: Header=BB30_10 Depth=1
	scratch_load_dword v6, off, off offset:8 ; 4-byte Folded Reload
	s_waitcnt vmcnt(0)
	v_add_u32_e32 v3, v185, v6
	ds_read2st64_b32 v[4:5], v3 offset1:17
	v_add_u32_e32 v3, 0, v6
	ds_read2_b32 v[6:7], v3 offset0:64 offset1:65
	ds_read_b32 v8, v3 offset:4608
	v_mad_u64_u32 v[2:3], s[76:77], v2, s37, v[124:125]
	s_waitcnt lgkmcnt(2)
	v_cvt_f32_f16_e32 v10, v4
	v_cvt_f32_f16_sdwa v11, v4 dst_sel:DWORD dst_unused:UNUSED_PAD src0_sel:WORD_1
	v_cvt_f32_f16_e32 v4, v5
	v_cvt_f32_f16_sdwa v5, v5 dst_sel:DWORD dst_unused:UNUSED_PAD src0_sel:WORD_1
	v_lshl_add_u32 v2, v2, 7, v239
	s_waitcnt lgkmcnt(1)
	v_pk_fma_f32 v[10:11], v[6:7], v[10:11], 0 op_sel_hi:[0,1,0]
	v_ashrrev_i32_e32 v3, 31, v2
	s_waitcnt lgkmcnt(0)
	v_pk_fma_f32 v[4:5], v[8:9], v[4:5], v[10:11] op_sel_hi:[0,1,1]
	v_div_scale_f32 v6, s[76:77], v7, v7, v5
	v_rcp_f32_e32 v8, v6
	v_lshl_add_u64 v[2:3], v[2:3], 3, v[146:147]
	v_fma_f32 v9, -v6, v8, 1.0
	v_fmac_f32_e32 v8, v9, v8
	v_div_scale_f32 v9, vcc, v5, v7, v5
	v_mul_f32_e32 v10, v9, v8
	v_fma_f32 v11, -v6, v10, v9
	v_fmac_f32_e32 v10, v11, v8
	v_fma_f32 v6, -v6, v10, v9
	v_div_scale_f32 v9, s[76:77], v7, v7, v4
	v_rcp_f32_e32 v11, v9
	v_div_fmas_f32 v6, v6, v8, v10
	v_div_fixup_f32 v5, v6, v7, v5
	v_fma_f32 v6, -v9, v11, 1.0
	v_fmac_f32_e32 v11, v6, v11
	v_div_scale_f32 v6, vcc, v4, v7, v4
	v_mul_f32_e32 v8, v6, v11
	v_fma_f32 v10, -v9, v8, v6
	v_fmac_f32_e32 v8, v10, v11
	v_fma_f32 v6, -v9, v8, v6
	v_div_fmas_f32 v6, v6, v11, v8
	v_div_fixup_f32 v4, v6, v7, v4
	global_store_dwordx2 v[2:3], v[4:5], off
	v_mov_b32_e32 v3, 0
.LBB30_521:                             ;   in Loop: Header=BB30_10 Depth=1
	s_or_b64 exec, exec, s[74:75]
	v_cmp_gt_i32_e32 vcc, s97, v3
	s_mov_b64 s[74:75], -1
	s_and_saveexec_b64 s[76:77], vcc
; %bb.522:                              ;   in Loop: Header=BB30_10 Depth=1
	v_cmp_eq_u32_e32 vcc, 0, v3
	s_orn2_b64 s[74:75], vcc, exec
; %bb.523:                              ;   in Loop: Header=BB30_10 Depth=1
	s_or_b64 exec, exec, s[76:77]
	s_and_b64 exec, exec, s[74:75]
	s_cbranch_execz .LBB30_8
; %bb.524:                              ;   in Loop: Header=BB30_10 Depth=1
	scratch_load_dword v2, off, off offset:12 ; 4-byte Folded Reload
	v_mov_b32_e32 v3, 0x47
	s_waitcnt vmcnt(0)
	v_add_u32_e32 v2, v2, v97
	v_cmp_gt_i32_e32 vcc, s36, v2
	s_and_b64 s[76:77], vcc, s[8:9]
	s_and_saveexec_b64 s[74:75], s[76:77]
	s_cbranch_execz .LBB30_526
; %bb.525:                              ;   in Loop: Header=BB30_10 Depth=1
	scratch_load_dword v6, off, off offset:16 ; 4-byte Folded Reload
	s_waitcnt vmcnt(0)
	v_add_u32_e32 v3, v185, v6
	ds_read2st64_b32 v[4:5], v3 offset1:17
	v_add_u32_e32 v3, 0, v6
	ds_read2_b32 v[6:7], v3 offset0:64 offset1:65
	ds_read_b32 v8, v3 offset:4608
	v_mad_u64_u32 v[2:3], s[76:77], v2, s37, v[124:125]
	s_waitcnt lgkmcnt(2)
	v_cvt_f32_f16_e32 v10, v4
	v_cvt_f32_f16_sdwa v11, v4 dst_sel:DWORD dst_unused:UNUSED_PAD src0_sel:WORD_1
	v_cvt_f32_f16_e32 v4, v5
	v_cvt_f32_f16_sdwa v5, v5 dst_sel:DWORD dst_unused:UNUSED_PAD src0_sel:WORD_1
	v_lshl_add_u32 v2, v2, 7, v239
	s_waitcnt lgkmcnt(1)
	v_pk_fma_f32 v[10:11], v[6:7], v[10:11], 0 op_sel_hi:[0,1,0]
	v_ashrrev_i32_e32 v3, 31, v2
	s_waitcnt lgkmcnt(0)
	v_pk_fma_f32 v[4:5], v[8:9], v[4:5], v[10:11] op_sel_hi:[0,1,1]
	v_div_scale_f32 v6, s[76:77], v7, v7, v5
	v_rcp_f32_e32 v8, v6
	v_lshl_add_u64 v[2:3], v[2:3], 3, v[146:147]
	v_fma_f32 v9, -v6, v8, 1.0
	v_fmac_f32_e32 v8, v9, v8
	v_div_scale_f32 v9, vcc, v5, v7, v5
	v_mul_f32_e32 v10, v9, v8
	v_fma_f32 v11, -v6, v10, v9
	v_fmac_f32_e32 v10, v11, v8
	v_fma_f32 v6, -v6, v10, v9
	v_div_scale_f32 v9, s[76:77], v7, v7, v4
	v_rcp_f32_e32 v11, v9
	v_div_fmas_f32 v6, v6, v8, v10
	v_div_fixup_f32 v5, v6, v7, v5
	v_fma_f32 v6, -v9, v11, 1.0
	v_fmac_f32_e32 v11, v6, v11
	v_div_scale_f32 v6, vcc, v4, v7, v4
	v_mul_f32_e32 v8, v6, v11
	v_fma_f32 v10, -v9, v8, v6
	v_fmac_f32_e32 v8, v10, v11
	v_fma_f32 v6, -v9, v8, v6
	v_div_fmas_f32 v6, v6, v11, v8
	v_div_fixup_f32 v4, v6, v7, v4
	global_store_dwordx2 v[2:3], v[4:5], off
	v_mov_b32_e32 v3, 0
.LBB30_526:                             ;   in Loop: Header=BB30_10 Depth=1
	s_or_b64 exec, exec, s[74:75]
	v_cmp_gt_i32_e32 vcc, s97, v3
	s_mov_b64 s[74:75], -1
	s_and_saveexec_b64 s[76:77], vcc
; %bb.527:                              ;   in Loop: Header=BB30_10 Depth=1
	v_cmp_eq_u32_e32 vcc, 0, v3
	s_orn2_b64 s[74:75], vcc, exec
; %bb.528:                              ;   in Loop: Header=BB30_10 Depth=1
	s_or_b64 exec, exec, s[76:77]
	s_and_b64 exec, exec, s[74:75]
	s_cbranch_execz .LBB30_8
; %bb.529:                              ;   in Loop: Header=BB30_10 Depth=1
	scratch_load_dword v2, off, off offset:20 ; 4-byte Folded Reload
	v_mov_b32_e32 v3, 0x47
	s_waitcnt vmcnt(0)
	v_add_u32_e32 v2, v2, v97
	v_cmp_gt_i32_e32 vcc, s36, v2
	s_and_b64 s[76:77], vcc, s[8:9]
	s_and_saveexec_b64 s[74:75], s[76:77]
	s_cbranch_execz .LBB30_531
; %bb.530:                              ;   in Loop: Header=BB30_10 Depth=1
	scratch_load_dword v6, off, off offset:24 ; 4-byte Folded Reload
	s_waitcnt vmcnt(0)
	v_add_u32_e32 v3, v185, v6
	ds_read2st64_b32 v[4:5], v3 offset1:17
	v_add_u32_e32 v3, 0, v6
	ds_read2_b32 v[6:7], v3 offset0:64 offset1:65
	ds_read_b32 v8, v3 offset:4608
	v_mad_u64_u32 v[2:3], s[76:77], v2, s37, v[124:125]
	s_waitcnt lgkmcnt(2)
	v_cvt_f32_f16_e32 v10, v4
	v_cvt_f32_f16_sdwa v11, v4 dst_sel:DWORD dst_unused:UNUSED_PAD src0_sel:WORD_1
	v_cvt_f32_f16_e32 v4, v5
	v_cvt_f32_f16_sdwa v5, v5 dst_sel:DWORD dst_unused:UNUSED_PAD src0_sel:WORD_1
	v_lshl_add_u32 v2, v2, 7, v239
	s_waitcnt lgkmcnt(1)
	v_pk_fma_f32 v[10:11], v[6:7], v[10:11], 0 op_sel_hi:[0,1,0]
	v_ashrrev_i32_e32 v3, 31, v2
	s_waitcnt lgkmcnt(0)
	v_pk_fma_f32 v[4:5], v[8:9], v[4:5], v[10:11] op_sel_hi:[0,1,1]
	v_div_scale_f32 v6, s[76:77], v7, v7, v5
	v_rcp_f32_e32 v8, v6
	v_lshl_add_u64 v[2:3], v[2:3], 3, v[146:147]
	v_fma_f32 v9, -v6, v8, 1.0
	v_fmac_f32_e32 v8, v9, v8
	v_div_scale_f32 v9, vcc, v5, v7, v5
	v_mul_f32_e32 v10, v9, v8
	v_fma_f32 v11, -v6, v10, v9
	v_fmac_f32_e32 v10, v11, v8
	v_fma_f32 v6, -v6, v10, v9
	v_div_scale_f32 v9, s[76:77], v7, v7, v4
	v_rcp_f32_e32 v11, v9
	v_div_fmas_f32 v6, v6, v8, v10
	v_div_fixup_f32 v5, v6, v7, v5
	v_fma_f32 v6, -v9, v11, 1.0
	v_fmac_f32_e32 v11, v6, v11
	v_div_scale_f32 v6, vcc, v4, v7, v4
	v_mul_f32_e32 v8, v6, v11
	v_fma_f32 v10, -v9, v8, v6
	v_fmac_f32_e32 v8, v10, v11
	v_fma_f32 v6, -v9, v8, v6
	v_div_fmas_f32 v6, v6, v11, v8
	v_div_fixup_f32 v4, v6, v7, v4
	global_store_dwordx2 v[2:3], v[4:5], off
	v_mov_b32_e32 v3, 0
.LBB30_531:                             ;   in Loop: Header=BB30_10 Depth=1
	s_or_b64 exec, exec, s[74:75]
	v_cmp_gt_i32_e32 vcc, s97, v3
	s_mov_b64 s[74:75], -1
	s_and_saveexec_b64 s[76:77], vcc
; %bb.532:                              ;   in Loop: Header=BB30_10 Depth=1
	v_cmp_eq_u32_e32 vcc, 0, v3
	s_orn2_b64 s[74:75], vcc, exec
; %bb.533:                              ;   in Loop: Header=BB30_10 Depth=1
	s_or_b64 exec, exec, s[76:77]
	s_and_b64 exec, exec, s[74:75]
	s_cbranch_execz .LBB30_8
; %bb.534:                              ;   in Loop: Header=BB30_10 Depth=1
	scratch_load_dword v2, off, off offset:28 ; 4-byte Folded Reload
	v_mov_b32_e32 v3, 0x47
	s_waitcnt vmcnt(0)
	v_add_u32_e32 v2, v2, v97
	v_cmp_gt_i32_e32 vcc, s36, v2
	s_and_b64 s[76:77], vcc, s[8:9]
	s_and_saveexec_b64 s[74:75], s[76:77]
	s_cbranch_execz .LBB30_536
; %bb.535:                              ;   in Loop: Header=BB30_10 Depth=1
	scratch_load_dword v6, off, off offset:32 ; 4-byte Folded Reload
	s_waitcnt vmcnt(0)
	v_add_u32_e32 v3, v185, v6
	ds_read2st64_b32 v[4:5], v3 offset1:17
	v_add_u32_e32 v3, 0, v6
	ds_read2_b32 v[6:7], v3 offset0:64 offset1:65
	ds_read_b32 v8, v3 offset:4608
	v_mad_u64_u32 v[2:3], s[76:77], v2, s37, v[124:125]
	s_waitcnt lgkmcnt(2)
	v_cvt_f32_f16_e32 v10, v4
	v_cvt_f32_f16_sdwa v11, v4 dst_sel:DWORD dst_unused:UNUSED_PAD src0_sel:WORD_1
	v_cvt_f32_f16_e32 v4, v5
	v_cvt_f32_f16_sdwa v5, v5 dst_sel:DWORD dst_unused:UNUSED_PAD src0_sel:WORD_1
	v_lshl_add_u32 v2, v2, 7, v239
	s_waitcnt lgkmcnt(1)
	v_pk_fma_f32 v[10:11], v[6:7], v[10:11], 0 op_sel_hi:[0,1,0]
	v_ashrrev_i32_e32 v3, 31, v2
	s_waitcnt lgkmcnt(0)
	v_pk_fma_f32 v[4:5], v[8:9], v[4:5], v[10:11] op_sel_hi:[0,1,1]
	v_div_scale_f32 v6, s[76:77], v7, v7, v5
	v_rcp_f32_e32 v8, v6
	v_lshl_add_u64 v[2:3], v[2:3], 3, v[146:147]
	v_fma_f32 v9, -v6, v8, 1.0
	v_fmac_f32_e32 v8, v9, v8
	v_div_scale_f32 v9, vcc, v5, v7, v5
	v_mul_f32_e32 v10, v9, v8
	v_fma_f32 v11, -v6, v10, v9
	v_fmac_f32_e32 v10, v11, v8
	v_fma_f32 v6, -v6, v10, v9
	v_div_scale_f32 v9, s[76:77], v7, v7, v4
	v_rcp_f32_e32 v11, v9
	v_div_fmas_f32 v6, v6, v8, v10
	v_div_fixup_f32 v5, v6, v7, v5
	v_fma_f32 v6, -v9, v11, 1.0
	v_fmac_f32_e32 v11, v6, v11
	v_div_scale_f32 v6, vcc, v4, v7, v4
	v_mul_f32_e32 v8, v6, v11
	v_fma_f32 v10, -v9, v8, v6
	v_fmac_f32_e32 v8, v10, v11
	v_fma_f32 v6, -v9, v8, v6
	v_div_fmas_f32 v6, v6, v11, v8
	v_div_fixup_f32 v4, v6, v7, v4
	global_store_dwordx2 v[2:3], v[4:5], off
	v_mov_b32_e32 v3, 0
.LBB30_536:                             ;   in Loop: Header=BB30_10 Depth=1
	s_or_b64 exec, exec, s[74:75]
	v_cmp_gt_i32_e32 vcc, s97, v3
	s_mov_b64 s[74:75], -1
	s_and_saveexec_b64 s[76:77], vcc
; %bb.537:                              ;   in Loop: Header=BB30_10 Depth=1
	v_cmp_eq_u32_e32 vcc, 0, v3
	s_orn2_b64 s[74:75], vcc, exec
; %bb.538:                              ;   in Loop: Header=BB30_10 Depth=1
	s_or_b64 exec, exec, s[76:77]
	s_and_b64 exec, exec, s[74:75]
	s_cbranch_execz .LBB30_8
; %bb.539:                              ;   in Loop: Header=BB30_10 Depth=1
	scratch_load_dword v2, off, off offset:36 ; 4-byte Folded Reload
	v_mov_b32_e32 v3, 0x47
	s_waitcnt vmcnt(0)
	v_add_u32_e32 v2, v2, v97
	v_cmp_gt_i32_e32 vcc, s36, v2
	s_and_b64 s[76:77], vcc, s[8:9]
	s_and_saveexec_b64 s[74:75], s[76:77]
	s_cbranch_execz .LBB30_541
; %bb.540:                              ;   in Loop: Header=BB30_10 Depth=1
	scratch_load_dword v6, off, off offset:40 ; 4-byte Folded Reload
	s_waitcnt vmcnt(0)
	v_add_u32_e32 v3, v185, v6
	ds_read2st64_b32 v[4:5], v3 offset1:17
	v_add_u32_e32 v3, 0, v6
	ds_read2_b32 v[6:7], v3 offset0:64 offset1:65
	ds_read_b32 v8, v3 offset:4608
	v_mad_u64_u32 v[2:3], s[76:77], v2, s37, v[124:125]
	s_waitcnt lgkmcnt(2)
	v_cvt_f32_f16_e32 v10, v4
	v_cvt_f32_f16_sdwa v11, v4 dst_sel:DWORD dst_unused:UNUSED_PAD src0_sel:WORD_1
	v_cvt_f32_f16_e32 v4, v5
	v_cvt_f32_f16_sdwa v5, v5 dst_sel:DWORD dst_unused:UNUSED_PAD src0_sel:WORD_1
	v_lshl_add_u32 v2, v2, 7, v239
	s_waitcnt lgkmcnt(1)
	v_pk_fma_f32 v[10:11], v[6:7], v[10:11], 0 op_sel_hi:[0,1,0]
	v_ashrrev_i32_e32 v3, 31, v2
	s_waitcnt lgkmcnt(0)
	v_pk_fma_f32 v[4:5], v[8:9], v[4:5], v[10:11] op_sel_hi:[0,1,1]
	v_div_scale_f32 v6, s[76:77], v7, v7, v5
	v_rcp_f32_e32 v8, v6
	v_lshl_add_u64 v[2:3], v[2:3], 3, v[146:147]
	v_fma_f32 v9, -v6, v8, 1.0
	v_fmac_f32_e32 v8, v9, v8
	v_div_scale_f32 v9, vcc, v5, v7, v5
	v_mul_f32_e32 v10, v9, v8
	v_fma_f32 v11, -v6, v10, v9
	v_fmac_f32_e32 v10, v11, v8
	v_fma_f32 v6, -v6, v10, v9
	v_div_scale_f32 v9, s[76:77], v7, v7, v4
	v_rcp_f32_e32 v11, v9
	v_div_fmas_f32 v6, v6, v8, v10
	v_div_fixup_f32 v5, v6, v7, v5
	v_fma_f32 v6, -v9, v11, 1.0
	v_fmac_f32_e32 v11, v6, v11
	v_div_scale_f32 v6, vcc, v4, v7, v4
	v_mul_f32_e32 v8, v6, v11
	v_fma_f32 v10, -v9, v8, v6
	v_fmac_f32_e32 v8, v10, v11
	v_fma_f32 v6, -v9, v8, v6
	v_div_fmas_f32 v6, v6, v11, v8
	v_div_fixup_f32 v4, v6, v7, v4
	global_store_dwordx2 v[2:3], v[4:5], off
	v_mov_b32_e32 v3, 0
.LBB30_541:                             ;   in Loop: Header=BB30_10 Depth=1
	s_or_b64 exec, exec, s[74:75]
	v_cmp_gt_i32_e32 vcc, s97, v3
	s_mov_b64 s[74:75], -1
	s_and_saveexec_b64 s[76:77], vcc
; %bb.542:                              ;   in Loop: Header=BB30_10 Depth=1
	v_cmp_eq_u32_e32 vcc, 0, v3
	s_orn2_b64 s[74:75], vcc, exec
; %bb.543:                              ;   in Loop: Header=BB30_10 Depth=1
	s_or_b64 exec, exec, s[76:77]
	s_and_b64 exec, exec, s[74:75]
	s_cbranch_execz .LBB30_8
; %bb.544:                              ;   in Loop: Header=BB30_10 Depth=1
	scratch_load_dword v2, off, off offset:44 ; 4-byte Folded Reload
	v_mov_b32_e32 v3, 0x47
	s_waitcnt vmcnt(0)
	v_add_u32_e32 v2, v2, v97
	v_cmp_gt_i32_e32 vcc, s36, v2
	s_and_b64 s[76:77], vcc, s[8:9]
	s_and_saveexec_b64 s[74:75], s[76:77]
	s_cbranch_execz .LBB30_546
; %bb.545:                              ;   in Loop: Header=BB30_10 Depth=1
	scratch_load_dword v6, off, off offset:48 ; 4-byte Folded Reload
	s_waitcnt vmcnt(0)
	v_add_u32_e32 v3, v185, v6
	ds_read2st64_b32 v[4:5], v3 offset1:17
	v_add_u32_e32 v3, 0, v6
	ds_read2_b32 v[6:7], v3 offset0:64 offset1:65
	ds_read_b32 v8, v3 offset:4608
	v_mad_u64_u32 v[2:3], s[76:77], v2, s37, v[124:125]
	s_waitcnt lgkmcnt(2)
	v_cvt_f32_f16_e32 v10, v4
	v_cvt_f32_f16_sdwa v11, v4 dst_sel:DWORD dst_unused:UNUSED_PAD src0_sel:WORD_1
	v_cvt_f32_f16_e32 v4, v5
	v_cvt_f32_f16_sdwa v5, v5 dst_sel:DWORD dst_unused:UNUSED_PAD src0_sel:WORD_1
	v_lshl_add_u32 v2, v2, 7, v239
	s_waitcnt lgkmcnt(1)
	v_pk_fma_f32 v[10:11], v[6:7], v[10:11], 0 op_sel_hi:[0,1,0]
	v_ashrrev_i32_e32 v3, 31, v2
	s_waitcnt lgkmcnt(0)
	v_pk_fma_f32 v[4:5], v[8:9], v[4:5], v[10:11] op_sel_hi:[0,1,1]
	v_div_scale_f32 v6, s[76:77], v7, v7, v5
	v_rcp_f32_e32 v8, v6
	v_lshl_add_u64 v[2:3], v[2:3], 3, v[146:147]
	v_fma_f32 v9, -v6, v8, 1.0
	v_fmac_f32_e32 v8, v9, v8
	v_div_scale_f32 v9, vcc, v5, v7, v5
	v_mul_f32_e32 v10, v9, v8
	v_fma_f32 v11, -v6, v10, v9
	v_fmac_f32_e32 v10, v11, v8
	v_fma_f32 v6, -v6, v10, v9
	v_div_scale_f32 v9, s[76:77], v7, v7, v4
	v_rcp_f32_e32 v11, v9
	v_div_fmas_f32 v6, v6, v8, v10
	v_div_fixup_f32 v5, v6, v7, v5
	v_fma_f32 v6, -v9, v11, 1.0
	v_fmac_f32_e32 v11, v6, v11
	v_div_scale_f32 v6, vcc, v4, v7, v4
	v_mul_f32_e32 v8, v6, v11
	v_fma_f32 v10, -v9, v8, v6
	v_fmac_f32_e32 v8, v10, v11
	v_fma_f32 v6, -v9, v8, v6
	v_div_fmas_f32 v6, v6, v11, v8
	v_div_fixup_f32 v4, v6, v7, v4
	global_store_dwordx2 v[2:3], v[4:5], off
	v_mov_b32_e32 v3, 0
.LBB30_546:                             ;   in Loop: Header=BB30_10 Depth=1
	s_or_b64 exec, exec, s[74:75]
	v_cmp_gt_i32_e32 vcc, s97, v3
	s_mov_b64 s[74:75], -1
	s_and_saveexec_b64 s[76:77], vcc
; %bb.547:                              ;   in Loop: Header=BB30_10 Depth=1
	v_cmp_eq_u32_e32 vcc, 0, v3
	s_orn2_b64 s[74:75], vcc, exec
; %bb.548:                              ;   in Loop: Header=BB30_10 Depth=1
	s_or_b64 exec, exec, s[76:77]
	s_and_b64 exec, exec, s[74:75]
	s_cbranch_execz .LBB30_8
; %bb.549:                              ;   in Loop: Header=BB30_10 Depth=1
	scratch_load_dword v2, off, off offset:52 ; 4-byte Folded Reload
	v_mov_b32_e32 v3, 0x47
	s_waitcnt vmcnt(0)
	v_add_u32_e32 v2, v2, v97
	v_cmp_gt_i32_e32 vcc, s36, v2
	s_and_b64 s[76:77], vcc, s[8:9]
	s_and_saveexec_b64 s[74:75], s[76:77]
	s_cbranch_execz .LBB30_551
; %bb.550:                              ;   in Loop: Header=BB30_10 Depth=1
	scratch_load_dword v6, off, off offset:56 ; 4-byte Folded Reload
	s_waitcnt vmcnt(0)
	v_add_u32_e32 v3, v185, v6
	ds_read2st64_b32 v[4:5], v3 offset1:17
	v_add_u32_e32 v3, 0, v6
	ds_read2_b32 v[6:7], v3 offset0:64 offset1:65
	ds_read_b32 v8, v3 offset:4608
	v_mad_u64_u32 v[2:3], s[76:77], v2, s37, v[124:125]
	s_waitcnt lgkmcnt(2)
	v_cvt_f32_f16_e32 v10, v4
	v_cvt_f32_f16_sdwa v11, v4 dst_sel:DWORD dst_unused:UNUSED_PAD src0_sel:WORD_1
	v_cvt_f32_f16_e32 v4, v5
	v_cvt_f32_f16_sdwa v5, v5 dst_sel:DWORD dst_unused:UNUSED_PAD src0_sel:WORD_1
	v_lshl_add_u32 v2, v2, 7, v239
	s_waitcnt lgkmcnt(1)
	v_pk_fma_f32 v[10:11], v[6:7], v[10:11], 0 op_sel_hi:[0,1,0]
	v_ashrrev_i32_e32 v3, 31, v2
	s_waitcnt lgkmcnt(0)
	v_pk_fma_f32 v[4:5], v[8:9], v[4:5], v[10:11] op_sel_hi:[0,1,1]
	v_div_scale_f32 v6, s[76:77], v7, v7, v5
	v_rcp_f32_e32 v8, v6
	v_lshl_add_u64 v[2:3], v[2:3], 3, v[146:147]
	v_fma_f32 v9, -v6, v8, 1.0
	v_fmac_f32_e32 v8, v9, v8
	v_div_scale_f32 v9, vcc, v5, v7, v5
	v_mul_f32_e32 v10, v9, v8
	v_fma_f32 v11, -v6, v10, v9
	v_fmac_f32_e32 v10, v11, v8
	v_fma_f32 v6, -v6, v10, v9
	v_div_scale_f32 v9, s[76:77], v7, v7, v4
	v_rcp_f32_e32 v11, v9
	v_div_fmas_f32 v6, v6, v8, v10
	v_div_fixup_f32 v5, v6, v7, v5
	v_fma_f32 v6, -v9, v11, 1.0
	v_fmac_f32_e32 v11, v6, v11
	v_div_scale_f32 v6, vcc, v4, v7, v4
	v_mul_f32_e32 v8, v6, v11
	v_fma_f32 v10, -v9, v8, v6
	v_fmac_f32_e32 v8, v10, v11
	v_fma_f32 v6, -v9, v8, v6
	v_div_fmas_f32 v6, v6, v11, v8
	v_div_fixup_f32 v4, v6, v7, v4
	global_store_dwordx2 v[2:3], v[4:5], off
	v_mov_b32_e32 v3, 0
.LBB30_551:                             ;   in Loop: Header=BB30_10 Depth=1
	s_or_b64 exec, exec, s[74:75]
	v_cmp_gt_i32_e32 vcc, s97, v3
	s_mov_b64 s[74:75], -1
	s_and_saveexec_b64 s[76:77], vcc
; %bb.552:                              ;   in Loop: Header=BB30_10 Depth=1
	v_cmp_eq_u32_e32 vcc, 0, v3
	s_orn2_b64 s[74:75], vcc, exec
; %bb.553:                              ;   in Loop: Header=BB30_10 Depth=1
	s_or_b64 exec, exec, s[76:77]
	s_and_b64 exec, exec, s[74:75]
	s_cbranch_execz .LBB30_8
; %bb.554:                              ;   in Loop: Header=BB30_10 Depth=1
	scratch_load_dword v2, off, off offset:60 ; 4-byte Folded Reload
	s_waitcnt vmcnt(0)
	v_add_u32_e32 v2, v2, v97
	v_cmp_gt_i32_e32 vcc, s36, v2
	s_and_b64 s[8:9], vcc, s[8:9]
	s_and_b64 exec, exec, s[8:9]
	s_cbranch_execz .LBB30_8
; %bb.555:                              ;   in Loop: Header=BB30_10 Depth=1
	scratch_load_dword v6, off, off offset:64 ; 4-byte Folded Reload
	s_waitcnt vmcnt(0)
	v_add_u32_e32 v3, v185, v6
	ds_read2st64_b32 v[4:5], v3 offset1:17
	v_add_u32_e32 v3, 0, v6
	ds_read2_b32 v[6:7], v3 offset0:64 offset1:65
	ds_read_b32 v8, v3 offset:4608
	v_mad_u64_u32 v[2:3], s[8:9], v2, s37, v[124:125]
	s_waitcnt lgkmcnt(2)
	v_cvt_f32_f16_e32 v10, v4
	v_cvt_f32_f16_sdwa v11, v4 dst_sel:DWORD dst_unused:UNUSED_PAD src0_sel:WORD_1
	v_cvt_f32_f16_e32 v4, v5
	v_cvt_f32_f16_sdwa v5, v5 dst_sel:DWORD dst_unused:UNUSED_PAD src0_sel:WORD_1
	v_lshl_add_u32 v2, v2, 7, v239
	s_waitcnt lgkmcnt(1)
	v_pk_fma_f32 v[10:11], v[6:7], v[10:11], 0 op_sel_hi:[0,1,0]
	v_ashrrev_i32_e32 v3, 31, v2
	s_waitcnt lgkmcnt(0)
	v_pk_fma_f32 v[4:5], v[8:9], v[4:5], v[10:11] op_sel_hi:[0,1,1]
	v_div_scale_f32 v6, s[8:9], v7, v7, v5
	v_rcp_f32_e32 v8, v6
	v_lshl_add_u64 v[2:3], v[2:3], 3, v[146:147]
	v_fma_f32 v9, -v6, v8, 1.0
	v_fmac_f32_e32 v8, v9, v8
	v_div_scale_f32 v9, vcc, v5, v7, v5
	v_mul_f32_e32 v10, v9, v8
	v_fma_f32 v11, -v6, v10, v9
	v_fmac_f32_e32 v10, v11, v8
	v_fma_f32 v6, -v6, v10, v9
	v_div_scale_f32 v9, s[8:9], v7, v7, v4
	v_rcp_f32_e32 v11, v9
	v_div_fmas_f32 v6, v6, v8, v10
	v_div_fixup_f32 v5, v6, v7, v5
	v_fma_f32 v6, -v9, v11, 1.0
	v_fmac_f32_e32 v11, v6, v11
	v_div_scale_f32 v6, vcc, v4, v7, v4
	v_mul_f32_e32 v8, v6, v11
	v_fma_f32 v10, -v9, v8, v6
	v_fmac_f32_e32 v8, v10, v11
	v_fma_f32 v6, -v9, v8, v6
	v_div_fmas_f32 v6, v6, v11, v8
	v_div_fixup_f32 v4, v6, v7, v4
	global_store_dwordx2 v[2:3], v[4:5], off
	s_branch .LBB30_8
.LBB30_556:
	s_andn2_b64 vcc, exec, s[8:9]
	s_cbranch_vccnz .LBB30_681
; %bb.557:
	s_abs_i32 s0, s82
	v_cvt_f32_u32_e32 v2, s0
	s_sub_i32 s5, 0, s0
	s_abs_i32 s4, s56
	s_xor_b32 s1, s56, s82
	v_rcp_iflag_f32_e32 v2, v2
	s_ashr_i32 s1, s1, 31
	v_mov_b32_e32 v32, s98
	v_mul_f32_e32 v2, 0x4f7ffffe, v2
	v_cvt_u32_f32_e32 v2, v2
	s_nop 0
	v_readfirstlane_b32 s6, v2
	s_mul_i32 s5, s5, s6
	s_mul_hi_u32 s5, s6, s5
	s_add_i32 s6, s6, s5
	s_mul_hi_u32 s5, s4, s6
	s_mul_i32 s6, s5, s0
	s_sub_i32 s4, s4, s6
	s_add_i32 s7, s5, 1
	s_sub_i32 s6, s4, s0
	s_cmp_ge_u32 s4, s0
	s_cselect_b32 s5, s7, s5
	s_cselect_b32 s4, s6, s4
	s_add_i32 s6, s5, 1
	s_cmp_ge_u32 s4, s0
	s_cselect_b32 s0, s6, s5
	s_abs_i32 s4, s81
	v_cvt_f32_u32_e32 v2, s4
	s_xor_b32 s0, s0, s1
	s_sub_i32 s5, 0, s4
	s_sub_i32 s8, s0, s1
	v_rcp_iflag_f32_e32 v2, v2
	s_mul_i32 s0, s8, s82
	s_sub_i32 s0, s56, s0
	s_abs_i32 s6, s0
	v_mul_f32_e32 v2, 0x4f7ffffe, v2
	v_cvt_u32_f32_e32 v2, v2
	s_xor_b32 s1, s0, s81
	s_ashr_i32 s1, s1, 31
	v_readfirstlane_b32 s7, v2
	s_mul_i32 s5, s5, s7
	s_mul_hi_u32 s5, s7, s5
	s_add_i32 s7, s7, s5
	s_mul_hi_u32 s5, s6, s7
	s_mul_i32 s7, s5, s4
	s_sub_i32 s6, s6, s7
	s_add_i32 s9, s5, 1
	s_sub_i32 s7, s6, s4
	s_cmp_ge_u32 s6, s4
	s_cselect_b32 s5, s9, s5
	s_cselect_b32 s6, s7, s6
	s_add_i32 s7, s5, 1
	s_cmp_ge_u32 s6, s4
	s_cselect_b32 s4, s7, s5
	s_abs_i32 s5, s80
	v_cvt_f32_u32_e32 v2, s5
	s_xor_b32 s4, s4, s1
	s_sub_i32 s6, 0, s5
	s_sub_i32 s9, s4, s1
	v_rcp_iflag_f32_e32 v2, v2
	s_mul_i32 s1, s9, s81
	s_sub_i32 s1, s0, s1
	s_abs_i32 s4, s1
	v_mul_f32_e32 v2, 0x4f7ffffe, v2
	v_cvt_u32_f32_e32 v2, v2
	s_xor_b32 s0, s1, s80
	s_ashr_i32 s0, s0, 31
	v_readfirstlane_b32 s7, v2
	s_mul_i32 s6, s6, s7
	s_mul_hi_u32 s6, s7, s6
	s_add_i32 s7, s7, s6
	s_mul_hi_u32 s6, s4, s7
	s_mul_i32 s7, s6, s5
	s_sub_i32 s4, s4, s7
	s_add_i32 s10, s6, 1
	s_sub_i32 s7, s4, s5
	s_cmp_ge_u32 s4, s5
	s_cselect_b32 s6, s10, s6
	s_cselect_b32 s4, s7, s4
	s_add_i32 s7, s6, 1
	s_cmp_ge_u32 s4, s5
	s_cselect_b32 s4, s7, s6
	s_xor_b32 s4, s4, s0
	s_sub_i32 s0, s4, s0
	s_mul_i32 s4, s0, s80
	s_sub_i32 s1, s1, s4
	s_ashr_i32 s4, s1, 31
	s_abs_i32 s1, s1
	s_mul_hi_u32 s5, s1, s52
	s_mul_i32 s6, s5, s84
	s_sub_i32 s1, s1, s6
	s_xor_b32 s4, s4, s42
	s_add_i32 s6, s5, 1
	s_sub_i32 s7, s1, s84
	s_cmp_ge_u32 s1, s84
	s_cselect_b32 s5, s6, s5
	s_cselect_b32 s1, s7, s1
	s_add_i32 s6, s5, 1
	s_cmp_ge_u32 s1, s84
	s_cselect_b32 s1, s6, s5
	s_abs_i32 s10, s58
	v_cvt_f32_u32_e32 v2, s10
	s_xor_b32 s1, s1, s4
	s_sub_i32 s1, s1, s4
	s_cmp_eq_u64 s[26:27], 0
	v_rcp_iflag_f32_e32 v2, v2
	s_nop 0
	v_mul_f32_e32 v2, 0x4f7ffffe, v2
	v_cvt_u32_f32_e32 v2, v2
	s_nop 0
	v_readfirstlane_b32 s11, v2
	s_cbranch_scc1 .LBB30_559
; %bb.558:
	s_mul_i32 s4, s8, s79
	s_add_i32 s4, s1, s4
	s_ashr_i32 s5, s4, 31
	s_lshl_b64 s[4:5], s[4:5], 2
	s_add_u32 s4, s26, s4
	s_addc_u32 s5, s27, s5
	v_mov_b32_e32 v2, 0
	global_load_dword v2, v2, s[4:5]
	s_waitcnt vmcnt(0)
	v_ashrrev_i32_e32 v3, 31, v2
	v_lshrrev_b32_e32 v3, 26, v3
	v_add_u32_e32 v2, v2, v3
	v_ashrrev_i32_e32 v2, 6, v2
	v_min_i32_e32 v32, s98, v2
.LBB30_559:
	s_mul_i32 s4, s9, s78
	s_lshl_b32 s5, s0, 2
	s_add_i32 s0, s5, s4
	s_mul_i32 s4, s8, s55
	s_ashr_i32 s6, s4, 31
	s_add_u32 s4, s16, s4
	s_mul_i32 s0, s0, s54
	s_addc_u32 s7, s17, s6
	s_ashr_i32 s12, s0, 31
	s_add_u32 s6, s4, s0
	s_addc_u32 s7, s7, s12
	v_and_b32_e32 v98, 0x3ff, v0
	s_lshl_b32 s12, s1, 4
	v_bfe_u32 v0, v184, 2, 8
	v_add_u32_e32 v2, s12, v0
	v_or_b32_e32 v0, s5, v95
	v_cmp_le_i32_e64 s[0:1], s36, v2
	v_cmp_le_i32_e64 s[4:5], s78, v0
	s_mov_b32 s13, 0x10001
	v_lshl_add_u32 v99, v98, 2, 0
	v_cmp_gt_i32_e32 vcc, s78, v0
	s_or_b64 s[0:1], s[0:1], s[4:5]
	s_and_saveexec_b64 s[4:5], s[0:1]
	s_xor_b64 s[0:1], exec, s[4:5]
; %bb.560:
	s_movk_i32 s4, 0x210
	v_mad_u32_u24 v0, v109, s4, v99
	v_mov_b32_e32 v2, 0
	ds_write2st64_b32 v0, v2, v2 offset1:1
                                        ; implicit-def: $vgpr2
; %bb.561:
	s_or_saveexec_b64 s[0:1], s[0:1]
	v_mul_lo_u32 v0, v183, s13
	s_xor_b64 exec, exec, s[0:1]
	s_cbranch_execz .LBB30_563
; %bb.562:
	v_mul_lo_u32 v2, v2, s57
	v_mul_lo_u32 v3, v95, s61
	v_add3_u32 v2, v2, v3, v98
	v_ashrrev_i32_e32 v3, 31, v2
	v_lshl_add_u64 v[2:3], v[2:3], 3, s[6:7]
	global_load_dwordx2 v[4:5], v[2:3], off
	global_load_dwordx2 v[6:7], v[2:3], off offset:512
	v_mul_u32_u24_e32 v2, 0x210, v109
	v_lshlrev_b32_e32 v3, 2, v98
	v_add3_u32 v2, 0, v2, v3
	s_waitcnt vmcnt(1)
	v_cvt_pk_f16_f32 v3, v4, v5
	s_waitcnt vmcnt(0)
	v_cvt_pk_f16_f32 v4, v6, v7
	v_pk_mul_f16 v3, v3, v0
	v_pk_mul_f16 v4, v4, v0
	ds_write2st64_b32 v2, v3, v4 offset1:1
.LBB30_563:
	s_or_b64 exec, exec, s[0:1]
	v_lshrrev_b32_e32 v2, 2, v182
	v_add_u32_e32 v2, s12, v2
	v_cmp_le_i32_e64 s[0:1], s36, v2
	s_xor_b64 s[4:5], vcc, -1
	s_or_b64 s[0:1], s[0:1], s[4:5]
	s_and_saveexec_b64 s[16:17], s[0:1]
	s_xor_b64 s[0:1], exec, s[16:17]
; %bb.564:
	s_movk_i32 s13, 0x210
	v_mad_u32_u24 v2, v182, s13, v99
	v_mov_b32_e32 v3, 0
	ds_write2st64_b32 v2, v3, v3 offset1:1
                                        ; implicit-def: $vgpr2
                                        ; implicit-def: $vgpr182
; %bb.565:
	s_andn2_saveexec_b64 s[0:1], s[0:1]
	s_cbranch_execz .LBB30_567
; %bb.566:
	v_mul_lo_u32 v2, v2, s57
	v_mul_lo_u32 v3, v95, s61
	v_add3_u32 v2, v2, v3, v98
	v_ashrrev_i32_e32 v3, 31, v2
	v_lshl_add_u64 v[2:3], v[2:3], 3, s[6:7]
	global_load_dwordx2 v[4:5], v[2:3], off
	global_load_dwordx2 v[6:7], v[2:3], off offset:512
	v_mul_u32_u24_e32 v2, 0x210, v182
	v_lshlrev_b32_e32 v3, 2, v98
	v_add3_u32 v2, 0, v2, v3
	s_waitcnt vmcnt(1)
	v_cvt_pk_f16_f32 v3, v4, v5
	s_waitcnt vmcnt(0)
	v_cvt_pk_f16_f32 v4, v6, v7
	v_pk_mul_f16 v3, v3, v0
	v_pk_mul_f16 v4, v4, v0
	ds_write2st64_b32 v2, v3, v4 offset1:1
.LBB30_567:
	s_or_b64 exec, exec, s[0:1]
	v_lshrrev_b32_e32 v2, 2, v181
	v_add_u32_e32 v2, s12, v2
	v_cmp_le_i32_e32 vcc, s36, v2
	s_or_b64 s[0:1], vcc, s[4:5]
	s_and_saveexec_b64 s[16:17], s[0:1]
	s_xor_b64 s[0:1], exec, s[16:17]
; %bb.568:
	s_movk_i32 s13, 0x210
	v_mad_u32_u24 v2, v181, s13, v99
	v_mov_b32_e32 v3, 0
	ds_write2st64_b32 v2, v3, v3 offset1:1
                                        ; implicit-def: $vgpr2
                                        ; implicit-def: $vgpr181
; %bb.569:
	s_andn2_saveexec_b64 s[0:1], s[0:1]
	s_cbranch_execz .LBB30_571
; %bb.570:
	v_mul_lo_u32 v2, v2, s57
	v_mul_lo_u32 v3, v95, s61
	v_add3_u32 v2, v2, v3, v98
	v_ashrrev_i32_e32 v3, 31, v2
	v_lshl_add_u64 v[2:3], v[2:3], 3, s[6:7]
	global_load_dwordx2 v[4:5], v[2:3], off
	global_load_dwordx2 v[6:7], v[2:3], off offset:512
	v_mul_u32_u24_e32 v2, 0x210, v181
	v_lshlrev_b32_e32 v3, 2, v98
	v_add3_u32 v2, 0, v2, v3
	s_waitcnt vmcnt(1)
	v_cvt_pk_f16_f32 v3, v4, v5
	s_waitcnt vmcnt(0)
	v_cvt_pk_f16_f32 v4, v6, v7
	v_pk_mul_f16 v3, v3, v0
	v_pk_mul_f16 v4, v4, v0
	ds_write2st64_b32 v2, v3, v4 offset1:1
.LBB30_571:
	s_or_b64 exec, exec, s[0:1]
	v_lshrrev_b32_e32 v2, 2, v180
	v_add_u32_e32 v2, s12, v2
	v_cmp_le_i32_e32 vcc, s36, v2
	s_or_b64 s[0:1], vcc, s[4:5]
	s_and_saveexec_b64 s[16:17], s[0:1]
	s_xor_b64 s[0:1], exec, s[16:17]
; %bb.572:
	s_movk_i32 s13, 0x210
	v_mad_u32_u24 v2, v180, s13, v99
	v_mov_b32_e32 v3, 0
	ds_write2st64_b32 v2, v3, v3 offset1:1
                                        ; implicit-def: $vgpr2
                                        ; implicit-def: $vgpr180
; %bb.573:
	s_andn2_saveexec_b64 s[0:1], s[0:1]
	s_cbranch_execz .LBB30_575
; %bb.574:
	v_mul_lo_u32 v2, v2, s57
	v_mul_lo_u32 v3, v95, s61
	v_add3_u32 v2, v2, v3, v98
	v_ashrrev_i32_e32 v3, 31, v2
	v_lshl_add_u64 v[2:3], v[2:3], 3, s[6:7]
	global_load_dwordx2 v[4:5], v[2:3], off
	global_load_dwordx2 v[6:7], v[2:3], off offset:512
	v_mul_u32_u24_e32 v2, 0x210, v180
	v_lshlrev_b32_e32 v3, 2, v98
	v_add3_u32 v2, 0, v2, v3
	s_waitcnt vmcnt(1)
	v_cvt_pk_f16_f32 v3, v4, v5
	s_waitcnt vmcnt(0)
	v_cvt_pk_f16_f32 v4, v6, v7
	v_pk_mul_f16 v3, v3, v0
	v_pk_mul_f16 v4, v4, v0
	ds_write2st64_b32 v2, v3, v4 offset1:1
.LBB30_575:
	s_or_b64 exec, exec, s[0:1]
	v_lshrrev_b32_e32 v2, 2, v179
	v_add_u32_e32 v2, s12, v2
	v_cmp_le_i32_e32 vcc, s36, v2
	s_or_b64 s[0:1], vcc, s[4:5]
	s_and_saveexec_b64 s[16:17], s[0:1]
	s_xor_b64 s[0:1], exec, s[16:17]
; %bb.576:
	s_movk_i32 s13, 0x210
	v_mad_u32_u24 v2, v179, s13, v99
	v_mov_b32_e32 v3, 0
	ds_write2st64_b32 v2, v3, v3 offset1:1
                                        ; implicit-def: $vgpr2
                                        ; implicit-def: $vgpr179
; %bb.577:
	s_andn2_saveexec_b64 s[0:1], s[0:1]
	s_cbranch_execz .LBB30_579
; %bb.578:
	v_mul_lo_u32 v2, v2, s57
	v_mul_lo_u32 v3, v95, s61
	v_add3_u32 v2, v2, v3, v98
	v_ashrrev_i32_e32 v3, 31, v2
	v_lshl_add_u64 v[2:3], v[2:3], 3, s[6:7]
	global_load_dwordx2 v[4:5], v[2:3], off
	global_load_dwordx2 v[6:7], v[2:3], off offset:512
	v_mul_u32_u24_e32 v2, 0x210, v179
	v_lshlrev_b32_e32 v3, 2, v98
	v_add3_u32 v2, 0, v2, v3
	s_waitcnt vmcnt(1)
	v_cvt_pk_f16_f32 v3, v4, v5
	s_waitcnt vmcnt(0)
	v_cvt_pk_f16_f32 v4, v6, v7
	v_pk_mul_f16 v3, v3, v0
	v_pk_mul_f16 v4, v4, v0
	ds_write2st64_b32 v2, v3, v4 offset1:1
.LBB30_579:
	s_or_b64 exec, exec, s[0:1]
	v_lshrrev_b32_e32 v2, 2, v178
	v_add_u32_e32 v2, s12, v2
	v_cmp_le_i32_e32 vcc, s36, v2
	s_sub_i32 s13, 0, s10
	s_or_b64 s[0:1], vcc, s[4:5]
	s_and_saveexec_b64 s[16:17], s[0:1]
	s_xor_b64 s[0:1], exec, s[16:17]
; %bb.580:
	s_movk_i32 s16, 0x210
	v_mad_u32_u24 v2, v178, s16, v99
	v_mov_b32_e32 v3, 0
	ds_write2st64_b32 v2, v3, v3 offset1:1
                                        ; implicit-def: $vgpr2
                                        ; implicit-def: $vgpr178
; %bb.581:
	s_or_saveexec_b64 s[0:1], s[0:1]
	s_mul_i32 s13, s13, s11
	s_xor_b64 exec, exec, s[0:1]
	s_cbranch_execz .LBB30_583
; %bb.582:
	v_mul_lo_u32 v2, v2, s57
	v_mul_lo_u32 v3, v95, s61
	v_add3_u32 v2, v2, v3, v98
	v_ashrrev_i32_e32 v3, 31, v2
	v_lshl_add_u64 v[2:3], v[2:3], 3, s[6:7]
	global_load_dwordx2 v[4:5], v[2:3], off
	global_load_dwordx2 v[6:7], v[2:3], off offset:512
	v_mul_u32_u24_e32 v2, 0x210, v178
	v_lshlrev_b32_e32 v3, 2, v98
	v_add3_u32 v2, 0, v2, v3
	s_waitcnt vmcnt(1)
	v_cvt_pk_f16_f32 v3, v4, v5
	s_waitcnt vmcnt(0)
	v_cvt_pk_f16_f32 v4, v6, v7
	v_pk_mul_f16 v3, v3, v0
	v_pk_mul_f16 v4, v4, v0
	ds_write2st64_b32 v2, v3, v4 offset1:1
.LBB30_583:
	s_or_b64 exec, exec, s[0:1]
	v_lshrrev_b32_e32 v2, 2, v125
	v_add_u32_e32 v2, s12, v2
	v_cmp_le_i32_e32 vcc, s36, v2
	s_mul_hi_u32 s16, s11, s13
	s_or_b64 s[0:1], vcc, s[4:5]
	s_and_saveexec_b64 s[24:25], s[0:1]
	s_xor_b64 s[0:1], exec, s[24:25]
; %bb.584:
	s_movk_i32 s13, 0x210
	v_mad_u32_u24 v2, v125, s13, v99
	v_mov_b32_e32 v3, 0
	ds_write2st64_b32 v2, v3, v3 offset1:1
                                        ; implicit-def: $vgpr2
                                        ; implicit-def: $vgpr125
; %bb.585:
	s_or_saveexec_b64 s[0:1], s[0:1]
	s_abs_i32 s13, s8
	s_add_i32 s11, s11, s16
	s_xor_b64 exec, exec, s[0:1]
	s_cbranch_execz .LBB30_587
; %bb.586:
	v_mul_lo_u32 v2, v2, s57
	v_mul_lo_u32 v3, v95, s61
	v_add3_u32 v2, v2, v3, v98
	v_ashrrev_i32_e32 v3, 31, v2
	v_lshl_add_u64 v[2:3], v[2:3], 3, s[6:7]
	global_load_dwordx2 v[4:5], v[2:3], off
	global_load_dwordx2 v[6:7], v[2:3], off offset:512
	v_mul_u32_u24_e32 v2, 0x210, v125
	v_lshlrev_b32_e32 v3, 2, v98
	v_add3_u32 v2, 0, v2, v3
	s_waitcnt vmcnt(1)
	v_cvt_pk_f16_f32 v3, v4, v5
	s_waitcnt vmcnt(0)
	v_cvt_pk_f16_f32 v4, v6, v7
	v_pk_mul_f16 v3, v3, v0
	v_pk_mul_f16 v4, v4, v0
	ds_write2st64_b32 v2, v3, v4 offset1:1
.LBB30_587:
	s_or_b64 exec, exec, s[0:1]
	v_lshrrev_b32_e32 v2, 2, v1
	v_add_u32_e32 v2, s12, v2
	v_cmp_le_i32_e32 vcc, s36, v2
	s_mul_hi_u32 s11, s13, s11
	s_or_b64 s[0:1], vcc, s[4:5]
	s_and_saveexec_b64 s[4:5], s[0:1]
	s_xor_b64 s[0:1], exec, s[4:5]
; %bb.588:
	s_movk_i32 s4, 0x210
	v_mad_u32_u24 v0, v1, s4, v99
	v_mov_b32_e32 v1, 0
	ds_write2st64_b32 v0, v1, v1 offset1:1
                                        ; implicit-def: $vgpr2
                                        ; implicit-def: $vgpr95
                                        ; implicit-def: $vgpr1
                                        ; implicit-def: $vgpr0
; %bb.589:
	s_or_saveexec_b64 s[0:1], s[0:1]
	s_ashr_i32 s16, s8, 31
	s_xor_b64 exec, exec, s[0:1]
	s_cbranch_execz .LBB30_591
; %bb.590:
	v_mul_lo_u32 v2, v2, s57
	v_mul_lo_u32 v3, v95, s61
	v_add3_u32 v2, v2, v3, v98
	v_ashrrev_i32_e32 v3, 31, v2
	v_lshl_add_u64 v[2:3], v[2:3], 3, s[6:7]
	global_load_dwordx2 v[4:5], v[2:3], off
	global_load_dwordx2 v[6:7], v[2:3], off offset:512
	v_mul_u32_u24_e32 v1, 0x210, v1
	v_lshlrev_b32_e32 v2, 2, v98
	v_add3_u32 v1, 0, v1, v2
	s_waitcnt vmcnt(1)
	v_cvt_pk_f16_f32 v2, v4, v5
	s_waitcnt vmcnt(0)
	v_cvt_pk_f16_f32 v3, v6, v7
	v_pk_mul_f16 v2, v2, v0
	v_pk_mul_f16 v0, v3, v0
	ds_write2st64_b32 v1, v2, v0 offset1:1
.LBB30_591:
	s_or_b64 exec, exec, s[0:1]
	s_mul_hi_u32 s0, s40, s8
	s_mul_i32 s1, s40, s16
	s_add_i32 s0, s0, s1
	s_mul_i32 s1, s41, s8
	s_add_i32 s0, s0, s1
	s_mul_i32 s1, s40, s8
	s_add_u32 s1, s18, s1
	s_addc_u32 s4, s19, s0
	s_mul_i32 s0, s9, s53
	s_ashr_i32 s5, s0, 31
	s_add_u32 s0, s1, s0
	s_mul_i32 s11, s11, s10
	s_addc_u32 s1, s4, s5
	s_sub_i32 s4, s13, s11
	s_sub_i32 s5, s4, s10
	s_cmp_ge_u32 s4, s10
	s_cselect_b32 s4, s5, s4
	s_sub_i32 s5, s4, s10
	s_cmp_ge_u32 s4, s10
	s_cselect_b32 s4, s5, s4
	s_xor_b32 s4, s4, s16
	s_sub_i32 s4, s4, s16
	s_ashr_i32 s5, s4, 31
	s_mul_i32 s5, s50, s5
	s_mul_hi_u32 s6, s50, s4
	s_add_i32 s5, s6, s5
	s_mul_i32 s6, s51, s4
	s_add_i32 s5, s5, s6
	s_mul_i32 s4, s50, s4
	s_add_u32 s4, s22, s4
	s_mul_hi_u32 s6, s48, s8
	s_mul_i32 s7, s48, s16
	s_addc_u32 s5, s23, s5
	s_add_i32 s6, s6, s7
	s_mul_i32 s7, s49, s8
	s_add_i32 s6, s6, s7
	s_mul_i32 s7, s48, s8
	s_add_u32 s7, s20, s7
	s_mul_i32 s9, s9, s43
	s_addc_u32 s6, s21, s6
	s_ashr_i32 s8, s9, 31
	s_add_u32 s10, s7, s9
	v_lshrrev_b32_e32 v1, 3, v98
	s_addc_u32 s11, s6, s8
	v_and_b32_e32 v35, 0x1ff0, v121
	s_movk_i32 s6, 0x210
	v_and_b32_e32 v100, 15, v98
	v_and_b32_e32 v1, 0x7e, v1
	v_mad_u32_u24 v0, v35, s6, 0
	v_mul_u32_u24_e32 v128, 0x210, v100
	v_lshlrev_b32_e32 v101, 2, v1
	v_add3_u32 v0, v0, v128, v101
	s_waitcnt lgkmcnt(0)
	s_barrier
	ds_read2_b64 v[28:31], v0 offset1:4
	ds_read2_b64 v[24:27], v0 offset0:8 offset1:12
	ds_read2_b64 v[20:23], v0 offset0:16 offset1:20
	;; [unrolled: 1-line block ×7, first 2 shown]
	v_add_u32_e32 v136, -1, v32
	v_lshrrev_b32_e32 v32, 5, v98
	v_lshl_add_u32 v34, v109, 1, v32
	v_add_u32_e32 v32, s12, v34
	v_mul_hi_u32 v33, s46, v32
	v_add_u32_e32 v33, v32, v33
	v_lshrrev_b32_e32 v33, s47, v33
	v_cmp_lt_i32_e32 vcc, s74, v136
	v_mul_lo_u32 v33, v33, s36
	v_sub_u32_e32 v36, v32, v33
	s_waitcnt lgkmcnt(0)
	s_barrier
	s_cbranch_vccnz .LBB30_595
; %bb.592:
	v_lshlrev_b32_e32 v32, 1, v98
	v_and_b32_e32 v70, 62, v32
	v_lshlrev_b32_e32 v32, 2, v98
	v_mul_lo_u32 v76, s38, v34
	s_lshl_b32 s7, s38, 4
	v_and_b32_e32 v72, 0x7c, v32
	v_mov_b32_e32 v32, 0x2100
	v_add_u32_e32 v78, s7, v76
	v_mad_u32_u24 v130, v34, s6, v32
	v_mov_b32_e32 v32, 0x4200
	v_add_u32_e32 v80, s7, v78
	v_lshlrev_b32_e32 v102, 4, v109
	v_mov_b32_e32 v71, 0
	s_ashr_i32 s39, s38, 31
	v_mad_u32_u24 v131, v34, s6, v32
	v_mov_b32_e32 v32, 0x6300
	v_add_u32_e32 v82, s7, v80
	v_and_b32_e32 v125, 16, v102
	v_mad_i64_i32 v[74:75], s[8:9], v36, s44, 0
	v_mul_u32_u24_e32 v129, 0x210, v34
	v_mov_b32_e32 v73, v71
	v_ashrrev_i32_e32 v77, 31, v76
	v_add_u32_e32 v118, 16, v34
	v_ashrrev_i32_e32 v79, 31, v78
	v_add_u32_e32 v122, 32, v34
	;; [unrolled: 2-line block ×3, first 2 shown]
	v_mad_u32_u24 v132, v34, s6, v32
	v_ashrrev_i32_e32 v83, 31, v82
	v_mul_u32_u24_e32 v134, 0x210, v125
	s_mov_b64 s[6:7], 0
	v_mov_b64_e32 v[32:33], s[38:39]
	s_branch .LBB30_596
.LBB30_593:
                                        ; implicit-def: $sgpr56_sgpr57
	s_load_dwordx2 s[54:55], s[0:1], 0x74
	v_cvt_f32_u32_e32 v1, s33
	s_branch .LBB30_2
.LBB30_594:
                                        ; implicit-def: $sgpr60_sgpr61
	s_load_dwordx2 s[46:47], s[0:1], 0x5c
	s_branch .LBB30_5
.LBB30_595:
	s_mov_b64 s[6:7], -1
                                        ; implicit-def: $vgpr70
                                        ; implicit-def: $vgpr74_vgpr75
                                        ; implicit-def: $vgpr32_vgpr33
                                        ; implicit-def: $vgpr129
                                        ; implicit-def: $vgpr72
                                        ; implicit-def: $vgpr76_vgpr77
                                        ; implicit-def: $vgpr118
                                        ; implicit-def: $vgpr130
                                        ; implicit-def: $vgpr78_vgpr79
                                        ; implicit-def: $vgpr122
                                        ; implicit-def: $vgpr131
                                        ; implicit-def: $vgpr80_vgpr81
                                        ; implicit-def: $vgpr124
                                        ; implicit-def: $vgpr132
                                        ; implicit-def: $vgpr82_vgpr83
                                        ; implicit-def: $vgpr102
                                        ; implicit-def: $vgpr125
                                        ; implicit-def: $vgpr134
.LBB30_596:
	v_mul_lo_u32 v68, s34, v34
	v_mul_u32_u24_e32 v135, 0x90, v34
	s_andn2_b64 vcc, exec, s[6:7]
	v_lshrrev_b32_e32 v123, 2, v98
	v_and_or_b32 v127, v98, 12, v35
	v_mbcnt_lo_u32_b32 v126, -1, 0
	v_ashrrev_i32_e32 v69, 31, v68
	v_and_b32_e32 v120, 8, v121
	v_lshlrev_b32_e32 v119, 1, v100
	s_cbranch_vccnz .LBB30_632
; %bb.597:
	v_lshlrev_b32_e32 v32, 1, v98
	v_and_b32_e32 v70, 62, v32
	v_mad_i64_i32 v[74:75], s[6:7], v36, s44, 0
	v_mov_b32_e32 v85, 0
	v_lshlrev_b32_e32 v84, 1, v70
	v_lshl_add_u64 v[32:33], v[74:75], 1, s[4:5]
	v_lshl_add_u64 v[86:87], v[32:33], 0, v[84:85]
	v_lshlrev_b32_e32 v33, 2, v98
	v_and_b32_e32 v72, 0x7c, v33
	v_add_u32_e32 v35, 0, v135
	v_mul_u32_u24_e32 v32, 0x180, v34
	v_lshlrev_b32_e32 v33, 2, v72
	s_movk_i32 s6, 0x210
	v_add3_u32 v138, v35, v32, v33
	v_mov_b32_e32 v32, 0x2100
	v_mad_u32_u24 v130, v34, s6, v32
	v_mov_b32_e32 v32, 0x4200
	v_mad_u32_u24 v131, v34, s6, v32
	v_mov_b32_e32 v32, 0x6300
	v_lshlrev_b32_e32 v102, 4, v109
	v_add_u32_e32 v137, v35, v84
	v_mad_u32_u24 v132, v34, s6, v32
	v_and_b32_e32 v125, 16, v102
	v_and_b32_e32 v33, 0xfc, v123
	v_lshrrev_b32_e32 v35, 2, v127
	s_movk_i32 s6, 0x90
	v_mul_u32_u24_e32 v129, 0x210, v34
	v_mul_lo_u32 v76, s38, v34
	v_add_u32_e32 v118, 16, v34
	v_add_u32_e32 v122, 32, v34
	;; [unrolled: 1-line block ×4, first 2 shown]
	v_mad_u32_u24 v35, v35, s6, 0
	v_add_u16_e32 v36, v33, v125
	v_lshl_add_u32 v34, v34, 1, v35
	v_lshrrev_b16_e32 v36, 1, v36
	v_add_u32_e32 v142, 64, v34
	v_add_u32_e32 v143, 0x44, v34
	v_mbcnt_hi_u32_b32 v34, -1, v126
	v_lshl_add_u32 v36, v36, 2, v35
	v_and_b32_e32 v35, 64, v34
	v_add_u32_e32 v35, 64, v35
	v_xor_b32_e32 v37, 32, v34
	v_cmp_lt_i32_e32 vcc, v37, v35
	s_lshl_b32 s6, s34, 4
	s_lshl_b32 s7, s38, 4
	v_cndmask_b32_e32 v37, v34, v37, vcc
	v_lshlrev_b32_e32 v144, 2, v37
	v_xor_b32_e32 v37, 16, v34
	v_cmp_lt_i32_e32 vcc, v37, v35
	v_add_u32_e32 v88, s6, v68
	v_add_u32_e32 v78, s7, v76
	v_cndmask_b32_e32 v34, v34, v37, vcc
	v_add_u32_e32 v90, s6, v88
	v_add_u32_e32 v80, s7, v78
	v_lshlrev_b32_e32 v145, 2, v34
	v_add_u32_e32 v92, s6, v90
	v_or_b32_e32 v34, 3, v123
	s_movk_i32 s6, 0x420
	v_add_u32_e32 v82, s7, v80
	v_add3_u32 v32, 0, v128, v101
	v_mul_u32_u24_e32 v134, 0x210, v125
	v_mul_u32_u24_e32 v33, 0x210, v33
	;; [unrolled: 1-line block ×3, first 2 shown]
	v_mad_u32_u24 v35, v120, s6, 0
	v_mov_b32_e32 v71, v85
	s_ashr_i32 s39, s38, 31
	v_mov_b32_e32 v73, v85
	v_ashrrev_i32_e32 v77, 31, v76
	v_add_u32_e32 v139, 0x2100, v138
	v_ashrrev_i32_e32 v79, 31, v78
	v_add_u32_e32 v140, 0x4200, v138
	;; [unrolled: 2-line block ×3, first 2 shown]
	v_ashrrev_i32_e32 v83, 31, v82
	v_ashrrev_i32_e32 v89, 31, v88
	;; [unrolled: 1-line block ×4, first 2 shown]
	v_add3_u32 v146, v35, v33, v119
	v_add3_u32 v147, v35, v34, v119
	s_lshl_b32 s6, s74, 6
	v_mov_b32_e32 v46, 0xfeffffff
	v_lshlrev_b32_e32 v84, 2, v72
	v_add_u32_e32 v148, v32, v134
	s_mov_b32 s12, 0x3f200000
	s_mov_b32 s13, 0x3fb8aa3b
	;; [unrolled: 1-line block ×4, first 2 shown]
	v_mov_b32_e32 v149, 0x3ca908c9
	s_brev_b32 s18, -2
	v_add_u32_e32 v150, 0x8400, v36
	s_mov_b32 s19, 0xc1a00000
	s_mov_b32 s20, 0x5040100
	v_mov_b32_e32 v151, 0x7f800000
	v_mov_b32_e32 v152, v85
	;; [unrolled: 1-line block ×34, first 2 shown]
                                        ; implicit-def: $vgpr32
                                        ; implicit-def: $vgpr32
	;; [unrolled: 1-line block ×3, first 2 shown]
.LBB30_598:                             ; =>This Inner Loop Header: Depth=1
	s_mul_hi_i32 s9, s6, s38
	s_mul_i32 s8, s6, s38
	s_ashr_i32 s7, s6, 31
	s_lshl_b64 s[8:9], s[8:9], 2
	s_add_u32 s8, s0, s8
	s_addc_u32 s9, s1, s9
	v_lshl_add_u64 v[32:33], s[6:7], 1, v[86:87]
	v_lshl_add_u64 v[34:35], v[78:79], 2, s[8:9]
	global_load_dword v47, v[32:33], off
	v_lshl_add_u64 v[32:33], v[76:77], 2, s[8:9]
	v_lshl_add_u64 v[36:37], v[34:35], 0, v[84:85]
	;; [unrolled: 1-line block ×7, first 2 shown]
	global_load_dwordx4 v[32:35], v[32:33], off
	s_nop 0
	global_load_dwordx4 v[36:39], v[36:37], off
	s_nop 0
	global_load_dwordx4 v[94:97], v[54:55], off
	global_load_dwordx4 v[154:157], v[58:59], off
	s_waitcnt vmcnt(4)
	ds_write_b32 v137, v47 offset:33792
	s_waitcnt vmcnt(3)
	ds_write_b128 v138, v[32:35]
	s_waitcnt vmcnt(2)
	ds_write_b128 v139, v[36:39]
	;; [unrolled: 2-line block ×4, first 2 shown]
	v_add_u32_e32 v47, 0x4000, v148
	s_waitcnt lgkmcnt(0)
	s_barrier
	ds_read2_b64 v[32:35], v148 offset1:4
	ds_read2_b64 v[94:97], v47 offset0:64 offset1:68
	s_waitcnt lgkmcnt(1)
	v_mfma_f32_16x16x16_f16 v[36:39], v[32:33], v[28:29], 0
	s_waitcnt lgkmcnt(0)
	v_mfma_f32_16x16x16_f16 v[154:157], v[94:95], v[28:29], 0
	v_mfma_f32_16x16x16_f16 v[32:35], v[34:35], v[30:31], v[36:39]
	;; [unrolled: 1-line block ×3, first 2 shown]
	ds_read2_b64 v[94:97], v148 offset0:8 offset1:12
	s_nop 4
	ds_read2_b64 v[154:157], v47 offset0:72 offset1:76
	s_waitcnt lgkmcnt(1)
	v_mfma_f32_16x16x16_f16 v[32:35], v[94:95], v[24:25], v[32:35]
	s_waitcnt lgkmcnt(0)
	v_mfma_f32_16x16x16_f16 v[36:39], v[154:155], v[24:25], v[36:39]
	v_mfma_f32_16x16x16_f16 v[32:35], v[96:97], v[26:27], v[32:35]
	ds_read2_b64 v[94:97], v148 offset0:16 offset1:20
	v_mfma_f32_16x16x16_f16 v[36:39], v[156:157], v[26:27], v[36:39]
	ds_read2_b64 v[154:157], v47 offset0:80 offset1:84
	s_waitcnt lgkmcnt(1)
	v_mfma_f32_16x16x16_f16 v[32:35], v[94:95], v[20:21], v[32:35]
	s_waitcnt lgkmcnt(0)
	v_mfma_f32_16x16x16_f16 v[36:39], v[154:155], v[20:21], v[36:39]
	v_mfma_f32_16x16x16_f16 v[32:35], v[96:97], v[22:23], v[32:35]
	ds_read2_b64 v[94:97], v148 offset0:24 offset1:28
	v_mfma_f32_16x16x16_f16 v[36:39], v[156:157], v[22:23], v[36:39]
	;; [unrolled: 8-line block ×6, first 2 shown]
	ds_read2_b64 v[154:157], v47 offset0:120 offset1:124
	s_waitcnt lgkmcnt(0)
	s_barrier
	v_mfma_f32_16x16x16_f16 v[32:35], v[94:95], v[0:1], v[32:35]
                                        ; implicit-def: $vgpr47
	v_mfma_f32_16x16x16_f16 v[36:39], v[154:155], v[0:1], v[36:39]
	v_mfma_f32_16x16x16_f16 v[32:35], v[96:97], v[2:3], v[32:35]
	;; [unrolled: 1-line block ×3, first 2 shown]
	s_nop 6
	v_cmp_nlt_f32_e64 s[8:9], |v32|, s12
	s_and_saveexec_b64 s[22:23], s[8:9]
	s_xor_b64 s[8:9], exec, s[22:23]
	s_cbranch_execz .LBB30_600
; %bb.599:                              ;   in Loop: Header=BB30_598 Depth=1
	v_add_f32_e64 v47, |v32|, |v32|
	v_mul_f32_e32 v54, 0x3fb8aa3b, v47
	v_rndne_f32_e32 v55, v54
	v_sub_f32_e32 v58, v54, v55
	v_fma_f32 v54, v47, s13, -v54
	v_fmac_f32_e32 v54, 0x32a5705f, v47
	v_add_f32_e32 v54, v58, v54
	v_cvt_i32_f32_e32 v55, v55
	v_exp_f32_e32 v54, v54
	v_cmp_ngt_f32_e32 vcc, s16, v47
	v_ldexp_f32 v54, v54, v55
	s_nop 0
	v_cndmask_b32_e32 v54, 0, v54, vcc
	v_cmp_nlt_f32_e32 vcc, s17, v47
	s_nop 1
	v_cndmask_b32_e32 v47, v151, v54, vcc
	v_add_f32_e32 v47, 1.0, v47
	v_rcp_f32_e32 v47, v47
	s_nop 0
	v_fma_f32 v47, v47, -2.0, 1.0
.LBB30_600:                             ;   in Loop: Header=BB30_598 Depth=1
	s_andn2_saveexec_b64 s[8:9], s[8:9]
; %bb.601:                              ;   in Loop: Header=BB30_598 Depth=1
	v_mul_f32_e32 v47, v32, v32
	v_fmamk_f32 v54, v47, 0xbbbac73d, v149
	v_fmaak_f32 v54, v47, v54, 0xbd5c1c4e
	v_fmaak_f32 v54, v47, v54, 0x3e088382
	;; [unrolled: 1-line block ×3, first 2 shown]
	v_mul_f32_e64 v54, |v32|, v54
	v_fma_f32 v47, v47, v54, |v32|
; %bb.602:                              ;   in Loop: Header=BB30_598 Depth=1
	s_or_b64 exec, exec, s[8:9]
	v_cmp_nlt_f32_e64 s[8:9], |v33|, s12
                                        ; implicit-def: $vgpr54
	s_and_saveexec_b64 s[22:23], s[8:9]
	s_xor_b64 s[8:9], exec, s[22:23]
	s_cbranch_execz .LBB30_604
; %bb.603:                              ;   in Loop: Header=BB30_598 Depth=1
	v_add_f32_e64 v54, |v33|, |v33|
	v_mul_f32_e32 v55, 0x3fb8aa3b, v54
	v_rndne_f32_e32 v58, v55
	v_sub_f32_e32 v59, v55, v58
	v_fma_f32 v55, v54, s13, -v55
	v_fmac_f32_e32 v55, 0x32a5705f, v54
	v_add_f32_e32 v55, v59, v55
	v_cvt_i32_f32_e32 v58, v58
	v_exp_f32_e32 v55, v55
	v_cmp_ngt_f32_e32 vcc, s16, v54
	v_ldexp_f32 v55, v55, v58
	s_nop 0
	v_cndmask_b32_e32 v55, 0, v55, vcc
	v_cmp_nlt_f32_e32 vcc, s17, v54
	s_nop 1
	v_cndmask_b32_e32 v54, v151, v55, vcc
	v_add_f32_e32 v54, 1.0, v54
	v_rcp_f32_e32 v54, v54
	s_nop 0
	v_fma_f32 v54, v54, -2.0, 1.0
.LBB30_604:                             ;   in Loop: Header=BB30_598 Depth=1
	s_andn2_saveexec_b64 s[8:9], s[8:9]
; %bb.605:                              ;   in Loop: Header=BB30_598 Depth=1
	v_mul_f32_e32 v54, v33, v33
	v_fmamk_f32 v55, v54, 0xbbbac73d, v149
	v_fmaak_f32 v55, v54, v55, 0xbd5c1c4e
	v_fmaak_f32 v55, v54, v55, 0x3e088382
	;; [unrolled: 1-line block ×3, first 2 shown]
	v_mul_f32_e64 v55, |v33|, v55
	v_fma_f32 v54, v54, v55, |v33|
; %bb.606:                              ;   in Loop: Header=BB30_598 Depth=1
	s_or_b64 exec, exec, s[8:9]
	v_cmp_nlt_f32_e64 s[8:9], |v34|, s12
                                        ; implicit-def: $vgpr55
	s_and_saveexec_b64 s[22:23], s[8:9]
	s_xor_b64 s[8:9], exec, s[22:23]
	s_cbranch_execz .LBB30_608
; %bb.607:                              ;   in Loop: Header=BB30_598 Depth=1
	v_add_f32_e64 v55, |v34|, |v34|
	v_mul_f32_e32 v58, 0x3fb8aa3b, v55
	v_rndne_f32_e32 v59, v58
	v_sub_f32_e32 v62, v58, v59
	v_fma_f32 v58, v55, s13, -v58
	v_fmac_f32_e32 v58, 0x32a5705f, v55
	v_add_f32_e32 v58, v62, v58
	v_cvt_i32_f32_e32 v59, v59
	v_exp_f32_e32 v58, v58
	v_cmp_ngt_f32_e32 vcc, s16, v55
	v_ldexp_f32 v58, v58, v59
	s_nop 0
	v_cndmask_b32_e32 v58, 0, v58, vcc
	v_cmp_nlt_f32_e32 vcc, s17, v55
	s_nop 1
	v_cndmask_b32_e32 v55, v151, v58, vcc
	v_add_f32_e32 v55, 1.0, v55
	v_rcp_f32_e32 v55, v55
	s_nop 0
	v_fma_f32 v55, v55, -2.0, 1.0
.LBB30_608:                             ;   in Loop: Header=BB30_598 Depth=1
	s_andn2_saveexec_b64 s[8:9], s[8:9]
; %bb.609:                              ;   in Loop: Header=BB30_598 Depth=1
	v_mul_f32_e32 v55, v34, v34
	v_fmamk_f32 v58, v55, 0xbbbac73d, v149
	v_fmaak_f32 v58, v55, v58, 0xbd5c1c4e
	v_fmaak_f32 v58, v55, v58, 0x3e088382
	;; [unrolled: 1-line block ×3, first 2 shown]
	v_mul_f32_e64 v58, |v34|, v58
	v_fma_f32 v55, v55, v58, |v34|
; %bb.610:                              ;   in Loop: Header=BB30_598 Depth=1
	s_or_b64 exec, exec, s[8:9]
	v_cmp_nlt_f32_e64 s[8:9], |v35|, s12
                                        ; implicit-def: $vgpr58
	s_and_saveexec_b64 s[22:23], s[8:9]
	s_xor_b64 s[8:9], exec, s[22:23]
	s_cbranch_execz .LBB30_612
; %bb.611:                              ;   in Loop: Header=BB30_598 Depth=1
	v_add_f32_e64 v58, |v35|, |v35|
	v_mul_f32_e32 v59, 0x3fb8aa3b, v58
	v_rndne_f32_e32 v62, v59
	v_sub_f32_e32 v63, v59, v62
	v_fma_f32 v59, v58, s13, -v59
	v_fmac_f32_e32 v59, 0x32a5705f, v58
	v_add_f32_e32 v59, v63, v59
	v_cvt_i32_f32_e32 v62, v62
	v_exp_f32_e32 v59, v59
	v_cmp_ngt_f32_e32 vcc, s16, v58
	v_ldexp_f32 v59, v59, v62
	s_nop 0
	v_cndmask_b32_e32 v59, 0, v59, vcc
	v_cmp_nlt_f32_e32 vcc, s17, v58
	s_nop 1
	v_cndmask_b32_e32 v58, v151, v59, vcc
	v_add_f32_e32 v58, 1.0, v58
	v_rcp_f32_e32 v58, v58
	s_nop 0
	v_fma_f32 v58, v58, -2.0, 1.0
.LBB30_612:                             ;   in Loop: Header=BB30_598 Depth=1
	s_andn2_saveexec_b64 s[8:9], s[8:9]
; %bb.613:                              ;   in Loop: Header=BB30_598 Depth=1
	v_mul_f32_e32 v58, v35, v35
	v_fmamk_f32 v59, v58, 0xbbbac73d, v149
	v_fmaak_f32 v59, v58, v59, 0xbd5c1c4e
	v_fmaak_f32 v59, v58, v59, 0x3e088382
	;; [unrolled: 1-line block ×3, first 2 shown]
	v_mul_f32_e64 v59, |v35|, v59
	v_fma_f32 v58, v58, v59, |v35|
; %bb.614:                              ;   in Loop: Header=BB30_598 Depth=1
	s_or_b64 exec, exec, s[8:9]
	v_cmp_nlt_f32_e64 s[8:9], |v36|, s12
                                        ; implicit-def: $vgpr59
	s_and_saveexec_b64 s[22:23], s[8:9]
	s_xor_b64 s[8:9], exec, s[22:23]
	s_cbranch_execz .LBB30_616
; %bb.615:                              ;   in Loop: Header=BB30_598 Depth=1
	v_add_f32_e64 v59, |v36|, |v36|
	v_mul_f32_e32 v62, 0x3fb8aa3b, v59
	v_rndne_f32_e32 v63, v62
	v_sub_f32_e32 v66, v62, v63
	v_fma_f32 v62, v59, s13, -v62
	v_fmac_f32_e32 v62, 0x32a5705f, v59
	v_add_f32_e32 v62, v66, v62
	v_cvt_i32_f32_e32 v63, v63
	v_exp_f32_e32 v62, v62
	v_cmp_ngt_f32_e32 vcc, s16, v59
	v_ldexp_f32 v62, v62, v63
	s_nop 0
	v_cndmask_b32_e32 v62, 0, v62, vcc
	v_cmp_nlt_f32_e32 vcc, s17, v59
	s_nop 1
	v_cndmask_b32_e32 v59, v151, v62, vcc
	v_add_f32_e32 v59, 1.0, v59
	v_rcp_f32_e32 v59, v59
	s_nop 0
	v_fma_f32 v59, v59, -2.0, 1.0
.LBB30_616:                             ;   in Loop: Header=BB30_598 Depth=1
	s_andn2_saveexec_b64 s[8:9], s[8:9]
; %bb.617:                              ;   in Loop: Header=BB30_598 Depth=1
	v_mul_f32_e32 v59, v36, v36
	v_fmamk_f32 v62, v59, 0xbbbac73d, v149
	v_fmaak_f32 v62, v59, v62, 0xbd5c1c4e
	v_fmaak_f32 v62, v59, v62, 0x3e088382
	;; [unrolled: 1-line block ×3, first 2 shown]
	v_mul_f32_e64 v62, |v36|, v62
	v_fma_f32 v59, v59, v62, |v36|
; %bb.618:                              ;   in Loop: Header=BB30_598 Depth=1
	s_or_b64 exec, exec, s[8:9]
	v_cmp_nlt_f32_e64 s[8:9], |v37|, s12
                                        ; implicit-def: $vgpr62
	s_and_saveexec_b64 s[22:23], s[8:9]
	s_xor_b64 s[8:9], exec, s[22:23]
	s_cbranch_execz .LBB30_620
; %bb.619:                              ;   in Loop: Header=BB30_598 Depth=1
	v_add_f32_e64 v62, |v37|, |v37|
	v_mul_f32_e32 v63, 0x3fb8aa3b, v62
	v_rndne_f32_e32 v66, v63
	v_sub_f32_e32 v67, v63, v66
	v_fma_f32 v63, v62, s13, -v63
	v_fmac_f32_e32 v63, 0x32a5705f, v62
	v_add_f32_e32 v63, v67, v63
	v_cvt_i32_f32_e32 v66, v66
	v_exp_f32_e32 v63, v63
	v_cmp_ngt_f32_e32 vcc, s16, v62
	v_ldexp_f32 v63, v63, v66
	s_nop 0
	v_cndmask_b32_e32 v63, 0, v63, vcc
	v_cmp_nlt_f32_e32 vcc, s17, v62
	s_nop 1
	v_cndmask_b32_e32 v62, v151, v63, vcc
	v_add_f32_e32 v62, 1.0, v62
	v_rcp_f32_e32 v62, v62
	s_nop 0
	v_fma_f32 v62, v62, -2.0, 1.0
.LBB30_620:                             ;   in Loop: Header=BB30_598 Depth=1
	s_andn2_saveexec_b64 s[8:9], s[8:9]
; %bb.621:                              ;   in Loop: Header=BB30_598 Depth=1
	v_mul_f32_e32 v62, v37, v37
	v_fmamk_f32 v63, v62, 0xbbbac73d, v149
	v_fmaak_f32 v63, v62, v63, 0xbd5c1c4e
	v_fmaak_f32 v63, v62, v63, 0x3e088382
	v_fmaak_f32 v63, v62, v63, 0xbeaaaa99
	v_mul_f32_e64 v63, |v37|, v63
	v_fma_f32 v62, v62, v63, |v37|
; %bb.622:                              ;   in Loop: Header=BB30_598 Depth=1
	s_or_b64 exec, exec, s[8:9]
	v_cmp_nlt_f32_e64 s[8:9], |v38|, s12
                                        ; implicit-def: $vgpr63
	s_and_saveexec_b64 s[22:23], s[8:9]
	s_xor_b64 s[8:9], exec, s[22:23]
	s_cbranch_execz .LBB30_624
; %bb.623:                              ;   in Loop: Header=BB30_598 Depth=1
	v_add_f32_e64 v63, |v38|, |v38|
	v_mul_f32_e32 v66, 0x3fb8aa3b, v63
	v_rndne_f32_e32 v67, v66
	v_sub_f32_e32 v94, v66, v67
	v_fma_f32 v66, v63, s13, -v66
	v_fmac_f32_e32 v66, 0x32a5705f, v63
	v_add_f32_e32 v66, v94, v66
	v_cvt_i32_f32_e32 v67, v67
	v_exp_f32_e32 v66, v66
	v_cmp_ngt_f32_e32 vcc, s16, v63
	v_ldexp_f32 v66, v66, v67
	s_nop 0
	v_cndmask_b32_e32 v66, 0, v66, vcc
	v_cmp_nlt_f32_e32 vcc, s17, v63
	s_nop 1
	v_cndmask_b32_e32 v63, v151, v66, vcc
	v_add_f32_e32 v63, 1.0, v63
	v_rcp_f32_e32 v63, v63
	s_nop 0
	v_fma_f32 v63, v63, -2.0, 1.0
.LBB30_624:                             ;   in Loop: Header=BB30_598 Depth=1
	s_andn2_saveexec_b64 s[8:9], s[8:9]
; %bb.625:                              ;   in Loop: Header=BB30_598 Depth=1
	v_mul_f32_e32 v63, v38, v38
	v_fmamk_f32 v66, v63, 0xbbbac73d, v149
	v_fmaak_f32 v66, v63, v66, 0xbd5c1c4e
	v_fmaak_f32 v66, v63, v66, 0x3e088382
	;; [unrolled: 1-line block ×3, first 2 shown]
	v_mul_f32_e64 v66, |v38|, v66
	v_fma_f32 v63, v63, v66, |v38|
; %bb.626:                              ;   in Loop: Header=BB30_598 Depth=1
	s_or_b64 exec, exec, s[8:9]
	v_cmp_nlt_f32_e64 s[8:9], |v39|, s12
                                        ; implicit-def: $vgpr66
	s_and_saveexec_b64 s[22:23], s[8:9]
	s_xor_b64 s[8:9], exec, s[22:23]
	s_cbranch_execz .LBB30_628
; %bb.627:                              ;   in Loop: Header=BB30_598 Depth=1
	v_add_f32_e64 v66, |v39|, |v39|
	v_mul_f32_e32 v67, 0x3fb8aa3b, v66
	v_rndne_f32_e32 v94, v67
	v_sub_f32_e32 v95, v67, v94
	v_fma_f32 v67, v66, s13, -v67
	v_fmac_f32_e32 v67, 0x32a5705f, v66
	v_add_f32_e32 v67, v95, v67
	v_cvt_i32_f32_e32 v94, v94
	v_exp_f32_e32 v67, v67
	v_cmp_ngt_f32_e32 vcc, s16, v66
	v_ldexp_f32 v67, v67, v94
	s_nop 0
	v_cndmask_b32_e32 v67, 0, v67, vcc
	v_cmp_nlt_f32_e32 vcc, s17, v66
	s_nop 1
	v_cndmask_b32_e32 v66, v151, v67, vcc
	v_add_f32_e32 v66, 1.0, v66
	v_rcp_f32_e32 v66, v66
	s_nop 0
	v_fma_f32 v66, v66, -2.0, 1.0
.LBB30_628:                             ;   in Loop: Header=BB30_598 Depth=1
	s_andn2_saveexec_b64 s[8:9], s[8:9]
; %bb.629:                              ;   in Loop: Header=BB30_598 Depth=1
	v_mul_f32_e32 v66, v39, v39
	v_fmamk_f32 v67, v66, 0xbbbac73d, v149
	v_fmaak_f32 v67, v66, v67, 0xbd5c1c4e
	v_fmaak_f32 v67, v66, v67, 0x3e088382
	;; [unrolled: 1-line block ×3, first 2 shown]
	v_mul_f32_e64 v67, |v39|, v67
	v_fma_f32 v66, v66, v67, |v39|
; %bb.630:                              ;   in Loop: Header=BB30_598 Depth=1
	s_or_b64 exec, exec, s[8:9]
	v_bfi_b32 v47, s18, v47, v32
	v_bfi_b32 v54, s18, v54, v33
	ds_read2_b32 v[32:33], v150 offset1:1
	v_bfi_b32 v35, s18, v58, v35
	v_bfi_b32 v34, s18, v55, v34
	ds_read_b32 v55, v142 offset:33792
	ds_read_b32 v58, v143 offset:33792
	v_bfi_b32 v36, s18, v59, v36
	v_bfi_b32 v37, s18, v62, v37
	s_waitcnt lgkmcnt(2)
	v_fma_mix_f32 v47, s3, v47, v32 op_sel_hi:[0,0,1]
	v_fma_mix_f32 v32, s3, v54, v32 op_sel:[0,0,1] op_sel_hi:[0,0,1]
	v_bfi_b32 v38, s18, v63, v38
	v_fma_mix_f32 v34, s3, v34, v33 op_sel_hi:[0,0,1]
	v_fma_mix_f32 v33, s3, v35, v33 op_sel:[0,0,1] op_sel_hi:[0,0,1]
	s_waitcnt lgkmcnt(1)
	v_fma_mix_f32 v35, s3, v36, v55 op_sel_hi:[0,0,1]
	v_fma_mix_f32 v62, s3, v37, v55 op_sel:[0,0,1] op_sel_hi:[0,0,1]
	v_add_f32_e32 v36, 0x40051340, v47
	v_add_f32_e32 v37, 0x40051340, v32
	v_bfi_b32 v39, s18, v66, v39
	s_waitcnt lgkmcnt(0)
	v_fma_mix_f32 v63, s3, v38, v58 op_sel_hi:[0,0,1]
	v_max3_f32 v36, v46, v36, v37
	v_add_f32_e32 v37, 0x40051340, v34
	v_add_f32_e32 v38, 0x40051340, v33
	v_fma_mix_f32 v66, s3, v39, v58 op_sel:[0,0,1] op_sel_hi:[0,0,1]
	v_max3_f32 v36, v36, v37, v38
	v_add_f32_e32 v37, 0x40051340, v35
	v_add_f32_e32 v38, 0x40051340, v62
	v_max3_f32 v36, v36, v37, v38
	v_add_f32_e32 v37, 0x40051340, v63
	v_add_f32_e32 v38, 0x40051340, v66
	v_max3_f32 v36, v36, v37, v38
	ds_bpermute_b32 v37, v144, v36
	s_mul_hi_i32 s9, s6, s34
	s_mul_i32 s8, s6, s34
	s_lshl_b64 s[8:9], s[8:9], 2
	s_add_u32 s8, s10, s8
	s_waitcnt lgkmcnt(0)
	v_max_f32_e32 v37, v37, v37
	v_max_f32_e32 v36, v36, v37
	ds_bpermute_b32 v37, v145, v36
	s_addc_u32 s9, s11, s9
	s_add_i32 s74, s74, 1
	s_add_i32 s6, s6, 64
	s_waitcnt lgkmcnt(0)
	v_max_f32_e32 v37, v37, v37
	v_max_f32_e32 v133, v36, v37
	v_sub_f32_e32 v36, v47, v133
	v_mul_f32_e32 v37, 0x3fb8aa3b, v36
	v_fma_f32 v38, v36, s13, -v37
	v_rndne_f32_e32 v39, v37
	v_fmac_f32_e32 v38, 0x32a5705f, v36
	v_sub_f32_e32 v37, v37, v39
	v_add_f32_e32 v37, v37, v38
	v_exp_f32_e32 v37, v37
	v_cvt_i32_f32_e32 v38, v39
	v_sub_f32_e32 v32, v32, v133
	v_cmp_ngt_f32_e32 vcc, s16, v36
	v_sub_f32_e32 v34, v34, v133
	v_ldexp_f32 v37, v37, v38
	v_mul_f32_e32 v38, 0x3fb8aa3b, v32
	v_fma_f32 v39, v32, s13, -v38
	v_rndne_f32_e32 v47, v38
	v_fmac_f32_e32 v39, 0x32a5705f, v32
	v_sub_f32_e32 v38, v38, v47
	v_add_f32_e32 v38, v38, v39
	v_exp_f32_e32 v38, v38
	v_cvt_i32_f32_e32 v39, v47
	v_cndmask_b32_e32 v37, 0, v37, vcc
	v_cmp_nlt_f32_e32 vcc, s17, v36
	v_sub_f32_e32 v47, v33, v133
	v_ldexp_f32 v36, v38, v39
	v_cndmask_b32_e32 v153, v151, v37, vcc
	v_mul_f32_e32 v37, 0x3fb8aa3b, v34
	v_fma_f32 v38, v34, s13, -v37
	v_rndne_f32_e32 v39, v37
	v_fmac_f32_e32 v38, 0x32a5705f, v34
	v_sub_f32_e32 v37, v37, v39
	v_add_f32_e32 v37, v37, v38
	v_exp_f32_e32 v37, v37
	v_cvt_i32_f32_e32 v38, v39
	v_cmp_ngt_f32_e32 vcc, s16, v32
	v_mul_f32_e32 v33, 0x3fb8aa3b, v47
	v_sub_f32_e32 v157, v35, v133
	v_cndmask_b32_e32 v36, 0, v36, vcc
	v_cmp_nlt_f32_e32 vcc, s17, v32
	v_ldexp_f32 v32, v37, v38
	v_rndne_f32_e32 v37, v33
	v_cndmask_b32_e32 v154, v151, v36, vcc
	v_fma_f32 v36, v47, s13, -v33
	v_fmac_f32_e32 v36, 0x32a5705f, v47
	v_sub_f32_e32 v33, v33, v37
	v_add_f32_e32 v33, v33, v36
	v_exp_f32_e32 v33, v33
	v_cvt_i32_f32_e32 v36, v37
	v_cmp_ngt_f32_e32 vcc, s16, v34
	v_mul_f32_e32 v156, 0x3fb8aa3b, v157
	v_fma_f32 v158, v157, s13, -v156
	v_cndmask_b32_e32 v32, 0, v32, vcc
	v_cmp_nlt_f32_e32 vcc, s17, v34
	v_lshl_add_u64 v[34:35], v[88:89], 2, s[8:9]
	v_ldexp_f32 v67, v33, v36
	v_cndmask_b32_e32 v155, v151, v32, vcc
	v_lshl_add_u64 v[32:33], v[68:69], 2, s[8:9]
	v_lshl_add_u64 v[36:37], v[34:35], 0, v[84:85]
	;; [unrolled: 1-line block ×7, first 2 shown]
	global_load_dwordx4 v[32:35], v[32:33], off
	s_nop 0
	global_load_dwordx4 v[36:39], v[36:37], off
	s_nop 0
	global_load_dwordx4 v[94:97], v[54:55], off
	global_load_dwordx4 v[164:167], v[58:59], off
	v_rndne_f32_e32 v54, v156
	v_fmac_f32_e32 v158, 0x32a5705f, v157
	v_sub_f32_e32 v55, v156, v54
	v_add_f32_e32 v55, v55, v158
	v_exp_f32_e32 v55, v55
	v_cvt_i32_f32_e32 v54, v54
	v_cmp_ngt_f32_e32 vcc, s16, v47
	v_sub_f32_e32 v46, v46, v133
	s_waitcnt vmcnt(3)
	ds_write_b128 v138, v[32:35]
	s_waitcnt vmcnt(2)
	ds_write_b128 v139, v[36:39]
	;; [unrolled: 2-line block ×4, first 2 shown]
	v_cndmask_b32_e32 v58, 0, v67, vcc
	v_cmp_nlt_f32_e32 vcc, s17, v47
	v_ldexp_f32 v47, v55, v54
	v_sub_f32_e32 v54, v62, v133
	v_mul_f32_e32 v55, 0x3fb8aa3b, v54
	v_cndmask_b32_e32 v156, v151, v58, vcc
	v_fma_f32 v58, v54, s13, -v55
	v_rndne_f32_e32 v59, v55
	v_fmac_f32_e32 v58, 0x32a5705f, v54
	v_sub_f32_e32 v55, v55, v59
	v_add_f32_e32 v55, v55, v58
	v_exp_f32_e32 v55, v55
	v_cvt_i32_f32_e32 v58, v59
	v_cmp_ngt_f32_e32 vcc, s16, v157
	s_waitcnt lgkmcnt(0)
	s_barrier
	v_cndmask_b32_e32 v47, 0, v47, vcc
	v_cmp_nlt_f32_e32 vcc, s17, v157
	v_cvt_pk_f16_f32 v95, v155, v156
	s_nop 0
	v_cndmask_b32_e32 v157, v151, v47, vcc
	v_ldexp_f32 v47, v55, v58
	v_sub_f32_e32 v55, v63, v133
	v_mul_f32_e32 v58, 0x3fb8aa3b, v55
	v_fma_f32 v59, v55, s13, -v58
	v_rndne_f32_e32 v62, v58
	v_fmac_f32_e32 v59, 0x32a5705f, v55
	v_sub_f32_e32 v58, v58, v62
	v_add_f32_e32 v58, v58, v59
	v_exp_f32_e32 v58, v58
	v_cvt_i32_f32_e32 v59, v62
	v_cmp_ngt_f32_e32 vcc, s16, v54
	v_cvt_pk_f16_f32 v94, v153, v154
	s_nop 0
	v_cndmask_b32_e32 v47, 0, v47, vcc
	v_cmp_nlt_f32_e32 vcc, s17, v54
	v_sub_f32_e32 v54, v66, v133
	s_nop 0
	v_cndmask_b32_e32 v158, v151, v47, vcc
	v_ldexp_f32 v47, v58, v59
	v_mul_f32_e32 v58, 0x3fb8aa3b, v54
	v_fma_f32 v59, v54, s13, -v58
	v_rndne_f32_e32 v62, v58
	v_fmac_f32_e32 v59, 0x32a5705f, v54
	v_sub_f32_e32 v58, v58, v62
	v_add_f32_e32 v58, v58, v59
	v_cvt_i32_f32_e32 v59, v62
	v_mul_f32_e32 v62, 0x3fb8aa3b, v46
	v_fma_f32 v63, v46, s13, -v62
	v_rndne_f32_e32 v66, v62
	v_fmac_f32_e32 v63, 0x32a5705f, v46
	v_sub_f32_e32 v62, v62, v66
	v_add_f32_e32 v62, v62, v63
	v_exp_f32_e32 v62, v62
	v_cvt_i32_f32_e32 v63, v66
	v_cmp_ngt_f32_e32 vcc, s16, v55
	v_exp_f32_e32 v58, v58
	v_cvt_pk_f16_f32 v96, v157, v158
	v_cndmask_b32_e32 v47, 0, v47, vcc
	v_cmp_nlt_f32_e32 vcc, s17, v55
	v_ldexp_f32 v55, v62, v63
	s_nop 0
	v_cndmask_b32_e32 v159, v151, v47, vcc
	v_cmp_ngt_f32_e32 vcc, s16, v46
	v_ldexp_f32 v47, v58, v59
	s_nop 0
	v_cndmask_b32_e32 v55, 0, v55, vcc
	v_cmp_nlt_f32_e32 vcc, s17, v46
	s_nop 1
	v_cndmask_b32_e32 v55, v151, v55, vcc
	v_cmp_le_f32_e32 vcc, s19, v46
	s_nop 1
	v_cndmask_b32_e32 v160, 0, v55, vcc
	v_cvt_f16_f32_e32 v46, v160
	v_cmp_ngt_f32_e32 vcc, s16, v54
	v_mul_u32_u24_e32 v162, 0x10001, v46
	s_nop 0
	v_cndmask_b32_e32 v47, 0, v47, vcc
	v_cmp_nlt_f32_e32 vcc, s17, v54
	v_pk_mul_f16 v45, v45, v162
	v_pk_mul_f16 v44, v44, v162
	v_cndmask_b32_e32 v161, v151, v47, vcc
	v_cvt_f32_f16_e32 v32, v45
	v_cvt_f32_f16_sdwa v33, v45 dst_sel:DWORD dst_unused:UNUSED_PAD src0_sel:WORD_1
	ds_read_u16 v35, v146 offset:1056
	ds_read_u16 v39, v146 offset:1088
	;; [unrolled: 1-line block ×8, first 2 shown]
	ds_read_u16 v36, v147
	ds_read_u16 v46, v147 offset:32
	ds_read_u16 v55, v147 offset:64
	;; [unrolled: 1-line block ×7, first 2 shown]
	s_waitcnt lgkmcnt(7)
	v_perm_b32 v37, v36, v35, s20
	ds_read_u16 v35, v146
	ds_read_u16 v165, v146 offset:32
	ds_read_u16 v166, v146 offset:64
	;; [unrolled: 1-line block ×15, first 2 shown]
	s_waitcnt lgkmcnt(7)
	v_perm_b32 v36, v36, v35, s20
	v_cvt_f32_f16_e32 v34, v44
	v_cvt_f32_f16_sdwa v35, v44 dst_sel:DWORD dst_unused:UNUSED_PAD src0_sel:WORD_1
	v_pk_mul_f16 v38, v43, v162
	v_pk_mul_f16 v206, v42, v162
	v_mfma_f32_16x16x16_f16 v[32:35], v[36:37], v[94:95], v[32:35]
	ds_read_u16 v36, v146 offset:17952
	ds_read_u16 v44, v146 offset:17984
	;; [unrolled: 1-line block ×16, first 2 shown]
	s_waitcnt lgkmcnt(7)
	v_perm_b32 v37, v37, v36, s20
	ds_read_u16 v36, v146 offset:16896
	ds_read_u16 v192, v146 offset:16928
	;; [unrolled: 1-line block ×16, first 2 shown]
	v_cvt_f16_f32_e32 v32, v32
	v_cvt_f16_f32_e32 v33, v33
	;; [unrolled: 1-line block ×4, first 2 shown]
	s_waitcnt lgkmcnt(7)
	v_perm_b32 v36, v43, v36, s20
	v_cvt_f32_f16_e32 v32, v32
	v_cvt_f32_f16_e32 v33, v33
	;; [unrolled: 1-line block ×4, first 2 shown]
	v_cvt_pk_f16_f32 v97, v159, v161
	v_perm_b32 v43, v46, v39, s20
	v_perm_b32 v42, v172, v165, s20
	v_mfma_f32_16x16x16_f16 v[32:35], v[36:37], v[96:97], v[32:35]
	v_cvt_f32_f16_e32 v36, v38
	v_cvt_f32_f16_sdwa v37, v38 dst_sel:DWORD dst_unused:UNUSED_PAD src0_sel:WORD_1
	v_cvt_f32_f16_e32 v38, v206
	v_cvt_f32_f16_sdwa v39, v206 dst_sel:DWORD dst_unused:UNUSED_PAD src0_sel:WORD_1
	v_pk_mul_f16 v41, v41, v162
	v_pk_mul_f16 v46, v40, v162
	v_mfma_f32_16x16x16_f16 v[36:39], v[42:43], v[94:95], v[36:39]
	v_perm_b32 v43, v185, v44, s20
	s_waitcnt lgkmcnt(6)
	v_perm_b32 v42, v199, v192, s20
	v_perm_b32 v45, v55, v45, s20
	;; [unrolled: 1-line block ×3, first 2 shown]
	s_nop 2
	v_cvt_f16_f32_e32 v36, v36
	v_cvt_f16_f32_e32 v37, v37
	;; [unrolled: 1-line block ×4, first 2 shown]
	v_cvt_f32_f16_e32 v36, v36
	v_cvt_f32_f16_e32 v37, v37
	;; [unrolled: 1-line block ×5, first 2 shown]
	v_cvt_f32_f16_sdwa v41, v41 dst_sel:DWORD dst_unused:UNUSED_PAD src0_sel:WORD_1
	v_mfma_f32_16x16x16_f16 v[36:39], v[42:43], v[96:97], v[36:39]
	v_cvt_f32_f16_e32 v42, v46
	v_cvt_f32_f16_sdwa v43, v46 dst_sel:DWORD dst_unused:UNUSED_PAD src0_sel:WORD_1
	v_pk_mul_f16 v46, v51, v162
	v_pk_mul_f16 v55, v50, v162
	v_mfma_f32_16x16x16_f16 v[40:43], v[44:45], v[94:95], v[40:43]
	v_perm_b32 v45, v186, v179, s20
	s_waitcnt lgkmcnt(5)
	v_perm_b32 v44, v200, v193, s20
	v_perm_b32 v51, v59, v47, s20
	;; [unrolled: 1-line block ×3, first 2 shown]
	s_nop 2
	v_cvt_f16_f32_e32 v40, v40
	v_cvt_f16_f32_e32 v41, v41
	;; [unrolled: 1-line block ×4, first 2 shown]
	v_cvt_f32_f16_e32 v40, v40
	v_cvt_f32_f16_e32 v41, v41
	;; [unrolled: 1-line block ×4, first 2 shown]
	v_cvt_f32_f16_sdwa v47, v55 dst_sel:DWORD dst_unused:UNUSED_PAD src0_sel:WORD_1
	v_pk_mul_f16 v49, v49, v162
	v_mfma_f32_16x16x16_f16 v[40:43], v[44:45], v[96:97], v[40:43]
	v_cvt_f32_f16_e32 v44, v46
	v_cvt_f32_f16_sdwa v45, v46 dst_sel:DWORD dst_unused:UNUSED_PAD src0_sel:WORD_1
	v_cvt_f32_f16_e32 v46, v55
	v_pk_mul_f16 v59, v48, v162
	v_perm_b32 v55, v63, v54, s20
	v_mfma_f32_16x16x16_f16 v[44:47], v[50:51], v[94:95], v[44:47]
	v_perm_b32 v51, v187, v180, s20
	s_waitcnt lgkmcnt(4)
	v_perm_b32 v50, v201, v194, s20
	v_perm_b32 v54, v175, v168, s20
	v_cvt_f32_f16_e32 v48, v49
	s_nop 2
	v_cvt_f16_f32_e32 v44, v44
	v_cvt_f16_f32_e32 v45, v45
	v_cvt_f16_f32_e32 v46, v46
	v_cvt_f16_f32_e32 v47, v47
	v_cvt_f32_f16_e32 v44, v44
	v_cvt_f32_f16_e32 v45, v45
	v_cvt_f32_f16_e32 v46, v46
	v_cvt_f32_f16_e32 v47, v47
	v_cvt_f32_f16_sdwa v49, v49 dst_sel:DWORD dst_unused:UNUSED_PAD src0_sel:WORD_1
	v_pk_mul_f16 v53, v53, v162
	v_mfma_f32_16x16x16_f16 v[44:47], v[50:51], v[96:97], v[44:47]
	v_cvt_f32_f16_e32 v50, v59
	v_cvt_f32_f16_sdwa v51, v59 dst_sel:DWORD dst_unused:UNUSED_PAD src0_sel:WORD_1
	v_pk_mul_f16 v63, v52, v162
	v_perm_b32 v59, v67, v58, s20
	v_mfma_f32_16x16x16_f16 v[48:51], v[54:55], v[94:95], v[48:51]
	v_perm_b32 v55, v188, v181, s20
	s_waitcnt lgkmcnt(3)
	v_perm_b32 v54, v202, v195, s20
	v_perm_b32 v58, v176, v169, s20
	v_cvt_f32_f16_e32 v52, v53
	s_nop 2
	v_cvt_f16_f32_e32 v48, v48
	v_cvt_f16_f32_e32 v49, v49
	v_cvt_f16_f32_e32 v50, v50
	v_cvt_f16_f32_e32 v51, v51
	v_cvt_f32_f16_e32 v48, v48
	v_cvt_f32_f16_e32 v49, v49
	v_cvt_f32_f16_e32 v50, v50
	v_cvt_f32_f16_e32 v51, v51
	v_cvt_f32_f16_sdwa v53, v53 dst_sel:DWORD dst_unused:UNUSED_PAD src0_sel:WORD_1
	v_pk_mul_f16 v57, v57, v162
	v_mfma_f32_16x16x16_f16 v[48:51], v[54:55], v[96:97], v[48:51]
	v_cvt_f32_f16_e32 v54, v63
	v_cvt_f32_f16_sdwa v55, v63 dst_sel:DWORD dst_unused:UNUSED_PAD src0_sel:WORD_1
	;; [unrolled: 22-line block ×4, first 2 shown]
	v_pk_mul_f16 v163, v64, v162
	v_cvt_f32_f16_e32 v64, v65
	v_mfma_f32_16x16x16_f16 v[60:63], v[66:67], v[94:95], v[60:63]
	v_perm_b32 v67, v191, v184, s20
	s_waitcnt lgkmcnt(0)
	v_perm_b32 v66, v205, v198, s20
	v_cvt_f32_f16_sdwa v65, v65 dst_sel:DWORD dst_unused:UNUSED_PAD src0_sel:WORD_1
	v_pk_mul_f16 v117, v117, v162
	s_nop 2
	v_cvt_f16_f32_e32 v60, v60
	v_cvt_f16_f32_e32 v61, v61
	;; [unrolled: 1-line block ×4, first 2 shown]
	v_cvt_f32_f16_e32 v60, v60
	v_cvt_f32_f16_e32 v61, v61
	;; [unrolled: 1-line block ×4, first 2 shown]
	v_pk_mul_f16 v115, v115, v162
	v_pk_mul_f16 v113, v113, v162
	v_mfma_f32_16x16x16_f16 v[60:63], v[66:67], v[96:97], v[60:63]
	ds_read_u16 v67, v146 offset:1312
	ds_read_u16 v168, v146 offset:1344
	;; [unrolled: 1-line block ×16, first 2 shown]
	s_waitcnt lgkmcnt(7)
	v_perm_b32 v165, v164, v67, s20
	ds_read_u16 v67, v146 offset:256
	ds_read_u16 v170, v146 offset:288
	;; [unrolled: 1-line block ×16, first 2 shown]
	s_waitcnt lgkmcnt(7)
	v_perm_b32 v164, v164, v67, s20
	v_cvt_f32_f16_e32 v66, v163
	v_cvt_f32_f16_sdwa v67, v163 dst_sel:DWORD dst_unused:UNUSED_PAD src0_sel:WORD_1
	v_pk_mul_f16 v111, v111, v162
	v_pk_mul_f16 v108, v108, v162
	v_mfma_f32_16x16x16_f16 v[64:67], v[164:165], v[94:95], v[64:67]
	ds_read_u16 v163, v146 offset:18208
	ds_read_u16 v196, v146 offset:18240
	ds_read_u16 v197, v146 offset:18272
	ds_read_u16 v198, v146 offset:18304
	ds_read_u16 v199, v146 offset:18336
	ds_read_u16 v200, v146 offset:18368
	ds_read_u16 v201, v146 offset:18400
	ds_read_u16 v202, v146 offset:18432
	ds_read_u16 v164, v147 offset:17152
	ds_read_u16 v203, v147 offset:17184
	ds_read_u16 v204, v147 offset:17216
	ds_read_u16 v205, v147 offset:17248
	ds_read_u16 v206, v147 offset:17280
	ds_read_u16 v207, v147 offset:17312
	ds_read_u16 v208, v147 offset:17344
	ds_read_u16 v209, v147 offset:17376
	s_waitcnt lgkmcnt(7)
	v_perm_b32 v165, v164, v163, s20
	ds_read_u16 v163, v146 offset:17152
	ds_read_u16 v210, v146 offset:17184
	;; [unrolled: 1-line block ×16, first 2 shown]
	v_cvt_f16_f32_e32 v64, v64
	v_cvt_f16_f32_e32 v65, v65
	;; [unrolled: 1-line block ×4, first 2 shown]
	s_waitcnt lgkmcnt(7)
	v_perm_b32 v164, v164, v163, s20
	v_cvt_f32_f16_e32 v64, v64
	v_cvt_f32_f16_e32 v65, v65
	;; [unrolled: 1-line block ×4, first 2 shown]
	v_pk_mul_f16 v163, v116, v162
	v_perm_b32 v116, v171, v170, s20
	v_mfma_f32_16x16x16_f16 v[164:167], v[164:165], v[96:97], v[64:67]
	v_pk_mul_f16 v107, v107, v162
	v_perm_b32 v177, v179, v177, s20
	s_nop 0
	v_cvt_f32_f16_e32 v64, v117
	v_cvt_f32_f16_sdwa v65, v117 dst_sel:DWORD dst_unused:UNUSED_PAD src0_sel:WORD_1
	v_perm_b32 v117, v169, v168, s20
	v_cvt_f32_f16_e32 v66, v163
	v_cvt_f32_f16_sdwa v67, v163 dst_sel:DWORD dst_unused:UNUSED_PAD src0_sel:WORD_1
	v_pk_mul_f16 v163, v114, v162
	v_perm_b32 v114, v190, v182, s20
	v_mfma_f32_16x16x16_f16 v[64:67], v[116:117], v[94:95], v[64:67]
	v_perm_b32 v117, v203, v196, s20
	s_waitcnt lgkmcnt(6)
	v_perm_b32 v116, v217, v210, s20
	v_pk_mul_f16 v106, v106, v162
	v_pk_mul_f16 v105, v105, v162
	s_nop 2
	v_cvt_f16_f32_e32 v64, v64
	v_cvt_f16_f32_e32 v65, v65
	;; [unrolled: 1-line block ×4, first 2 shown]
	v_cvt_f32_f16_e32 v64, v64
	v_cvt_f32_f16_e32 v65, v65
	v_cvt_f32_f16_e32 v66, v66
	v_cvt_f32_f16_e32 v67, v67
	v_pk_mul_f16 v104, v104, v162
	v_pk_mul_f16 v103, v103, v162
	v_mfma_f32_16x16x16_f16 v[168:171], v[116:117], v[96:97], v[64:67]
	v_cmp_lt_i32_e32 vcc, s74, v136
	v_cvt_pk_f16_f32 v61, v60, v61
	s_nop 0
	v_cvt_f32_f16_e32 v64, v115
	v_cvt_f32_f16_sdwa v65, v115 dst_sel:DWORD dst_unused:UNUSED_PAD src0_sel:WORD_1
	v_perm_b32 v115, v174, v172, s20
	v_cvt_f32_f16_e32 v66, v163
	v_cvt_f32_f16_sdwa v67, v163 dst_sel:DWORD dst_unused:UNUSED_PAD src0_sel:WORD_1
	v_pk_mul_f16 v163, v112, v162
	v_perm_b32 v112, v191, v183, s20
	v_mfma_f32_16x16x16_f16 v[64:67], v[114:115], v[94:95], v[64:67]
	v_perm_b32 v115, v204, v197, s20
	s_waitcnt lgkmcnt(5)
	v_perm_b32 v114, v218, v211, s20
	v_cvt_pk_f16_f32 v60, v62, v63
	v_cvt_pk_f16_f32 v57, v56, v57
	s_nop 2
	v_cvt_f16_f32_e32 v64, v64
	v_cvt_f16_f32_e32 v65, v65
	v_cvt_f16_f32_e32 v66, v66
	v_cvt_f16_f32_e32 v67, v67
	v_cvt_f32_f16_e32 v64, v64
	v_cvt_f32_f16_e32 v65, v65
	;; [unrolled: 1-line block ×4, first 2 shown]
	v_cvt_pk_f16_f32 v56, v58, v59
	v_cvt_pk_f16_f32 v53, v52, v53
	v_mfma_f32_16x16x16_f16 v[114:117], v[114:115], v[96:97], v[64:67]
	v_cvt_pk_f16_f32 v52, v54, v55
	v_cvt_pk_f16_f32 v49, v48, v49
	s_nop 0
	v_cvt_f32_f16_e32 v64, v113
	v_cvt_f32_f16_sdwa v65, v113 dst_sel:DWORD dst_unused:UNUSED_PAD src0_sel:WORD_1
	v_perm_b32 v113, v175, v173, s20
	v_cvt_f32_f16_e32 v66, v163
	v_cvt_f32_f16_sdwa v67, v163 dst_sel:DWORD dst_unused:UNUSED_PAD src0_sel:WORD_1
	v_pk_mul_f16 v163, v110, v162
	v_perm_b32 v110, v192, v186, s20
	v_mfma_f32_16x16x16_f16 v[64:67], v[112:113], v[94:95], v[64:67]
	v_perm_b32 v113, v205, v198, s20
	s_waitcnt lgkmcnt(4)
	v_perm_b32 v112, v219, v212, s20
	v_cvt_pk_f16_f32 v115, v114, v115
	v_cvt_pk_f16_f32 v114, v116, v117
	s_nop 2
	v_cvt_f16_f32_e32 v64, v64
	v_cvt_f16_f32_e32 v65, v65
	;; [unrolled: 1-line block ×4, first 2 shown]
	v_cvt_f32_f16_e32 v64, v64
	v_cvt_f32_f16_e32 v65, v65
	;; [unrolled: 1-line block ×4, first 2 shown]
	v_cvt_pk_f16_f32 v117, v168, v169
	v_cvt_pk_f16_f32 v116, v170, v171
	v_mfma_f32_16x16x16_f16 v[172:175], v[112:113], v[96:97], v[64:67]
	v_cvt_pk_f16_f32 v48, v50, v51
	v_cvt_pk_f16_f32 v51, v44, v45
	s_nop 0
	v_cvt_f32_f16_e32 v64, v111
	v_cvt_f32_f16_sdwa v65, v111 dst_sel:DWORD dst_unused:UNUSED_PAD src0_sel:WORD_1
	v_perm_b32 v111, v178, v176, s20
	v_cvt_f32_f16_e32 v66, v163
	v_cvt_f32_f16_sdwa v67, v163 dst_sel:DWORD dst_unused:UNUSED_PAD src0_sel:WORD_1
	v_perm_b32 v176, v193, v187, s20
	v_cvt_pk_f16_f32 v50, v46, v47
	v_mfma_f32_16x16x16_f16 v[64:67], v[110:111], v[94:95], v[64:67]
	v_perm_b32 v111, v206, v199, s20
	s_waitcnt lgkmcnt(3)
	v_perm_b32 v110, v220, v213, s20
	v_cvt_pk_f16_f32 v41, v40, v41
	v_cvt_pk_f16_f32 v40, v42, v43
	s_nop 2
	v_cvt_f16_f32_e32 v64, v64
	v_cvt_f16_f32_e32 v65, v65
	;; [unrolled: 1-line block ×4, first 2 shown]
	v_cvt_f32_f16_e32 v64, v64
	v_cvt_f32_f16_e32 v65, v65
	;; [unrolled: 1-line block ×4, first 2 shown]
	v_cvt_pk_f16_f32 v43, v36, v37
	v_cvt_pk_f16_f32 v42, v38, v39
	v_mfma_f32_16x16x16_f16 v[110:113], v[110:111], v[96:97], v[64:67]
	v_cvt_pk_f16_f32 v45, v32, v33
	v_cvt_pk_f16_f32 v44, v34, v35
	s_nop 0
	v_cvt_f32_f16_e32 v64, v108
	v_cvt_f32_f16_sdwa v65, v108 dst_sel:DWORD dst_unused:UNUSED_PAD src0_sel:WORD_1
	v_cvt_f32_f16_e32 v66, v107
	v_cvt_f32_f16_sdwa v67, v107 dst_sel:DWORD dst_unused:UNUSED_PAD src0_sel:WORD_1
	v_perm_b32 v107, v181, v180, s20
	v_cvt_pk_f16_f32 v111, v110, v111
	v_mfma_f32_16x16x16_f16 v[64:67], v[176:177], v[94:95], v[64:67]
	v_perm_b32 v177, v207, v200, s20
	s_waitcnt lgkmcnt(2)
	v_perm_b32 v176, v221, v214, s20
	v_cvt_pk_f16_f32 v110, v112, v113
	v_cvt_pk_f16_f32 v113, v172, v173
	s_nop 2
	v_cvt_f16_f32_e32 v64, v64
	v_cvt_f16_f32_e32 v65, v65
	;; [unrolled: 1-line block ×4, first 2 shown]
	v_cvt_f32_f16_e32 v64, v64
	v_cvt_f32_f16_e32 v65, v65
	;; [unrolled: 1-line block ×4, first 2 shown]
	v_cvt_pk_f16_f32 v112, v174, v175
	s_and_b64 vcc, exec, vcc
	v_mfma_f32_16x16x16_f16 v[176:179], v[176:177], v[96:97], v[64:67]
	s_waitcnt lgkmcnt(0)
	s_barrier
	s_nop 0
	v_cvt_f32_f16_e32 v64, v106
	v_cvt_f32_f16_sdwa v65, v106 dst_sel:DWORD dst_unused:UNUSED_PAD src0_sel:WORD_1
	v_perm_b32 v106, v194, v188, s20
	v_cvt_f32_f16_e32 v66, v105
	v_cvt_f32_f16_sdwa v67, v105 dst_sel:DWORD dst_unused:UNUSED_PAD src0_sel:WORD_1
	v_add_f32_e32 v105, v153, v154
	v_add_f32_e32 v108, v155, v105
	v_mfma_f32_16x16x16_f16 v[64:67], v[106:107], v[94:95], v[64:67]
	v_perm_b32 v107, v208, v201, s20
	v_perm_b32 v106, v222, v215, s20
	;; [unrolled: 1-line block ×3, first 2 shown]
	s_nop 4
	v_cvt_f16_f32_e32 v64, v64
	v_cvt_f16_f32_e32 v65, v65
	;; [unrolled: 1-line block ×4, first 2 shown]
	v_cvt_f32_f16_e32 v64, v64
	v_cvt_f32_f16_e32 v65, v65
	v_cvt_f32_f16_e32 v66, v66
	v_cvt_f32_f16_e32 v67, v67
	s_nop 1
	v_mfma_f32_16x16x16_f16 v[180:183], v[106:107], v[96:97], v[64:67]
	s_nop 2
	v_cvt_f32_f16_e32 v64, v104
	v_cvt_f32_f16_sdwa v65, v104 dst_sel:DWORD dst_unused:UNUSED_PAD src0_sel:WORD_1
	v_perm_b32 v104, v195, v189, s20
	v_cvt_f32_f16_e32 v66, v103
	v_cvt_f32_f16_sdwa v67, v103 dst_sel:DWORD dst_unused:UNUSED_PAD src0_sel:WORD_1
	v_add_f32_e32 v103, v156, v108
	v_add_f32_e32 v103, v157, v103
	v_mfma_f32_16x16x16_f16 v[64:67], v[104:105], v[94:95], v[64:67]
	v_add_f32_e32 v103, v158, v103
	v_cvt_pk_f16_f32 v108, v176, v177
	s_nop 5
	v_cvt_f16_f32_e32 v64, v64
	v_cvt_f16_f32_e32 v65, v65
	;; [unrolled: 1-line block ×4, first 2 shown]
	v_cvt_f32_f16_e32 v104, v64
	v_cvt_f32_f16_e32 v105, v65
	v_perm_b32 v65, v209, v202, s20
	v_perm_b32 v64, v223, v216, s20
	v_cvt_f32_f16_e32 v106, v66
	v_cvt_f32_f16_e32 v107, v67
	v_add_f32_e32 v66, v159, v103
	v_add_f32_e32 v66, v161, v66
	v_mfma_f32_16x16x16_f16 v[94:97], v[64:65], v[96:97], v[104:107]
	v_fmac_f32_e32 v66, v152, v160
	v_cvt_pk_f16_f32 v65, v164, v165
	s_nop 0
	v_cvt_pk_f16_f32 v106, v180, v181
	v_cvt_pk_f16_f32 v105, v182, v183
	s_nop 2
	v_cvt_pk_f16_f32 v104, v94, v95
	v_cvt_pk_f16_f32 v103, v96, v97
	;; [unrolled: 1-line block ×4, first 2 shown]
	s_cbranch_vccz .LBB30_633
; %bb.631:                              ;   in Loop: Header=BB30_598 Depth=1
	v_mov_b32_e32 v152, v66
	v_mov_b32_e32 v46, v133
	s_branch .LBB30_598
.LBB30_632:
	v_mov_b32_e32 v133, 0xfeffffff
	v_mov_b32_e32 v66, 0
	;; [unrolled: 1-line block ×34, first 2 shown]
	s_branch .LBB30_634
.LBB30_633:
	v_mov_b64_e32 v[32:33], s[38:39]
.LBB30_634:
	s_lshl_b32 s6, s74, 6
	s_ashr_i32 s7, s6, 31
	s_lshl_b64 s[8:9], s[6:7], 1
	s_add_u32 s4, s4, s8
	s_addc_u32 s5, s5, s9
	v_lshl_add_u64 v[34:35], v[74:75], 1, s[4:5]
	v_lshl_add_u64 v[34:35], v[70:71], 1, v[34:35]
	global_load_dword v54, v[34:35], off
	v_mul_lo_u32 v34, v32, s7
	v_mul_hi_u32 v35, v32, s6
	v_add_u32_e32 v34, v35, v34
	v_mul_lo_u32 v33, v33, s6
	v_add_u32_e32 v33, v34, v33
	v_mul_lo_u32 v32, v32, s6
	v_lshlrev_b64 v[32:33], 2, v[32:33]
	v_lshl_add_u64 v[34:35], s[0:1], 0, v[32:33]
	v_lshl_add_u64 v[36:37], v[76:77], 2, v[34:35]
	v_lshlrev_b64 v[32:33], 2, v[72:73]
	v_lshl_add_u64 v[36:37], v[36:37], 0, v[32:33]
	v_lshl_add_u64 v[38:39], v[78:79], 2, v[34:35]
	;; [unrolled: 1-line block ×7, first 2 shown]
	global_load_dwordx4 v[74:77], v[36:37], off
	global_load_dwordx4 v[78:81], v[38:39], off
	;; [unrolled: 1-line block ×4, first 2 shown]
	v_lshlrev_b32_e32 v34, 1, v70
	v_lshlrev_b32_e32 v35, 2, v72
	v_add_u32_e32 v46, 0, v128
	v_add3_u32 v34, 0, v135, v34
	v_add3_u32 v36, 0, v129, v35
	;; [unrolled: 1-line block ×6, first 2 shown]
	s_mov_b32 s0, 0x3f200000
	s_waitcnt vmcnt(4)
	ds_write_b32 v34, v54 offset:33792
	s_waitcnt vmcnt(3)
	ds_write_b128 v36, v[74:77]
	s_waitcnt vmcnt(2)
	ds_write_b128 v37, v[78:81]
	;; [unrolled: 2-line block ×4, first 2 shown]
	v_add_u32_e32 v34, 0x4000, v35
	s_waitcnt lgkmcnt(0)
	s_barrier
	ds_read2_b64 v[70:73], v35 offset1:4
	ds_read2_b64 v[78:81], v34 offset0:64 offset1:68
	s_waitcnt lgkmcnt(1)
	v_mfma_f32_16x16x16_f16 v[74:77], v[70:71], v[28:29], 0
	s_waitcnt lgkmcnt(0)
	v_mfma_f32_16x16x16_f16 v[82:85], v[78:79], v[28:29], 0
	v_mfma_f32_16x16x16_f16 v[70:73], v[72:73], v[30:31], v[74:77]
	;; [unrolled: 1-line block ×3, first 2 shown]
	s_nop 3
	ds_read2_b64 v[74:77], v35 offset0:8 offset1:12
	ds_read2_b64 v[78:81], v34 offset0:72 offset1:76
	s_waitcnt lgkmcnt(1)
	v_mfma_f32_16x16x16_f16 v[70:73], v[74:75], v[24:25], v[70:73]
	s_waitcnt lgkmcnt(0)
	v_mfma_f32_16x16x16_f16 v[28:31], v[78:79], v[24:25], v[28:31]
	v_mfma_f32_16x16x16_f16 v[70:73], v[76:77], v[26:27], v[70:73]
	ds_read2_b64 v[74:77], v34 offset0:80 offset1:84
	v_mfma_f32_16x16x16_f16 v[24:27], v[80:81], v[26:27], v[28:31]
	s_nop 4
	ds_read2_b64 v[28:31], v35 offset0:16 offset1:20
	s_waitcnt lgkmcnt(0)
	v_mfma_f32_16x16x16_f16 v[70:73], v[28:29], v[20:21], v[70:73]
	v_mfma_f32_16x16x16_f16 v[24:27], v[74:75], v[20:21], v[24:27]
	v_mfma_f32_16x16x16_f16 v[28:31], v[30:31], v[22:23], v[70:73]
	v_mfma_f32_16x16x16_f16 v[20:23], v[76:77], v[22:23], v[24:27]
	s_nop 4
	ds_read2_b64 v[70:73], v34 offset0:88 offset1:92
	ds_read2_b64 v[24:27], v35 offset0:24 offset1:28
	s_waitcnt lgkmcnt(0)
	v_mfma_f32_16x16x16_f16 v[28:31], v[24:25], v[16:17], v[28:31]
	v_mfma_f32_16x16x16_f16 v[20:23], v[70:71], v[16:17], v[20:23]
	v_mfma_f32_16x16x16_f16 v[24:27], v[26:27], v[18:19], v[28:31]
	v_mfma_f32_16x16x16_f16 v[16:19], v[72:73], v[18:19], v[20:23]
	s_nop 4
	ds_read2_b64 v[28:31], v34 offset0:96 offset1:100
	;; [unrolled: 8-line block ×5, first 2 shown]
	ds_read2_b64 v[8:11], v35 offset0:56 offset1:60
	s_waitcnt lgkmcnt(0)
	v_mfma_f32_16x16x16_f16 v[12:15], v[8:9], v[0:1], v[12:15]
	s_barrier
	v_mfma_f32_16x16x16_f16 v[20:23], v[16:17], v[0:1], v[4:7]
                                        ; implicit-def: $vgpr8
	v_mfma_f32_16x16x16_f16 v[4:7], v[10:11], v[2:3], v[12:15]
	v_mfma_f32_16x16x16_f16 v[0:3], v[18:19], v[2:3], v[20:23]
	s_nop 6
	v_cmp_nlt_f32_e64 s[0:1], |v4|, s0
	s_and_saveexec_b64 s[4:5], s[0:1]
	s_xor_b64 s[0:1], exec, s[4:5]
	s_cbranch_execz .LBB30_636
; %bb.635:
	v_add_f32_e64 v8, |v4|, |v4|
	v_mul_f32_e32 v9, 0x3fb8aa3b, v8
	s_mov_b32 s4, 0x3fb8aa3b
	v_rndne_f32_e32 v10, v9
	v_sub_f32_e32 v11, v9, v10
	v_fma_f32 v9, v8, s4, -v9
	v_fmamk_f32 v9, v8, 0x32a5705f, v9
	v_add_f32_e32 v9, v11, v9
	v_exp_f32_e32 v9, v9
	v_cvt_i32_f32_e32 v10, v10
	s_mov_b32 s4, 0xc2ce8ed0
	v_cmp_ngt_f32_e32 vcc, s4, v8
	s_mov_b32 s4, 0x42b17218
	v_ldexp_f32 v9, v9, v10
	v_cndmask_b32_e32 v9, 0, v9, vcc
	v_mov_b32_e32 v10, 0x7f800000
	v_cmp_nlt_f32_e32 vcc, s4, v8
	s_nop 1
	v_cndmask_b32_e32 v8, v10, v9, vcc
	v_add_f32_e32 v8, 1.0, v8
	v_rcp_f32_e32 v8, v8
	s_nop 0
	v_fma_f32 v8, v8, -2.0, 1.0
.LBB30_636:
	s_andn2_saveexec_b64 s[0:1], s[0:1]
; %bb.637:
	v_mul_f32_e32 v8, v4, v4
	v_mov_b32_e32 v9, 0x3ca908c9
	v_fmac_f32_e32 v9, 0xbbbac73d, v8
	v_fmaak_f32 v9, v8, v9, 0xbd5c1c4e
	v_fmaak_f32 v9, v8, v9, 0x3e088382
	;; [unrolled: 1-line block ×3, first 2 shown]
	v_mul_f32_e64 v9, |v4|, v9
	v_fma_f32 v8, v8, v9, |v4|
; %bb.638:
	s_or_b64 exec, exec, s[0:1]
	s_mov_b32 s0, 0x3f200000
	v_cmp_nlt_f32_e64 s[0:1], |v5|, s0
                                        ; implicit-def: $vgpr9
	s_and_saveexec_b64 s[4:5], s[0:1]
	s_xor_b64 s[0:1], exec, s[4:5]
	s_cbranch_execz .LBB30_640
; %bb.639:
	v_add_f32_e64 v9, |v5|, |v5|
	v_mul_f32_e32 v10, 0x3fb8aa3b, v9
	s_mov_b32 s4, 0x3fb8aa3b
	v_rndne_f32_e32 v11, v10
	v_sub_f32_e32 v12, v10, v11
	v_fma_f32 v10, v9, s4, -v10
	v_fmamk_f32 v10, v9, 0x32a5705f, v10
	v_add_f32_e32 v10, v12, v10
	v_exp_f32_e32 v10, v10
	v_cvt_i32_f32_e32 v11, v11
	s_mov_b32 s4, 0xc2ce8ed0
	v_cmp_ngt_f32_e32 vcc, s4, v9
	s_mov_b32 s4, 0x42b17218
	v_ldexp_f32 v10, v10, v11
	v_cndmask_b32_e32 v10, 0, v10, vcc
	v_mov_b32_e32 v11, 0x7f800000
	v_cmp_nlt_f32_e32 vcc, s4, v9
	s_nop 1
	v_cndmask_b32_e32 v9, v11, v10, vcc
	v_add_f32_e32 v9, 1.0, v9
	v_rcp_f32_e32 v9, v9
	s_nop 0
	v_fma_f32 v9, v9, -2.0, 1.0
.LBB30_640:
	s_andn2_saveexec_b64 s[0:1], s[0:1]
; %bb.641:
	v_mul_f32_e32 v9, v5, v5
	v_mov_b32_e32 v10, 0x3ca908c9
	v_fmac_f32_e32 v10, 0xbbbac73d, v9
	v_fmaak_f32 v10, v9, v10, 0xbd5c1c4e
	v_fmaak_f32 v10, v9, v10, 0x3e088382
	;; [unrolled: 1-line block ×3, first 2 shown]
	v_mul_f32_e64 v10, |v5|, v10
	v_fma_f32 v9, v9, v10, |v5|
; %bb.642:
	s_or_b64 exec, exec, s[0:1]
	s_mov_b32 s0, 0x3f200000
	v_cmp_nlt_f32_e64 s[0:1], |v6|, s0
                                        ; implicit-def: $vgpr10
	s_and_saveexec_b64 s[4:5], s[0:1]
	s_xor_b64 s[0:1], exec, s[4:5]
	s_cbranch_execz .LBB30_644
; %bb.643:
	v_add_f32_e64 v10, |v6|, |v6|
	v_mul_f32_e32 v11, 0x3fb8aa3b, v10
	s_mov_b32 s4, 0x3fb8aa3b
	v_rndne_f32_e32 v12, v11
	v_sub_f32_e32 v13, v11, v12
	v_fma_f32 v11, v10, s4, -v11
	v_fmamk_f32 v11, v10, 0x32a5705f, v11
	v_add_f32_e32 v11, v13, v11
	v_exp_f32_e32 v11, v11
	v_cvt_i32_f32_e32 v12, v12
	s_mov_b32 s4, 0xc2ce8ed0
	v_cmp_ngt_f32_e32 vcc, s4, v10
	s_mov_b32 s4, 0x42b17218
	v_ldexp_f32 v11, v11, v12
	v_cndmask_b32_e32 v11, 0, v11, vcc
	v_mov_b32_e32 v12, 0x7f800000
	v_cmp_nlt_f32_e32 vcc, s4, v10
	s_nop 1
	v_cndmask_b32_e32 v10, v12, v11, vcc
	v_add_f32_e32 v10, 1.0, v10
	v_rcp_f32_e32 v10, v10
	s_nop 0
	v_fma_f32 v10, v10, -2.0, 1.0
.LBB30_644:
	s_andn2_saveexec_b64 s[0:1], s[0:1]
; %bb.645:
	v_mul_f32_e32 v10, v6, v6
	v_mov_b32_e32 v11, 0x3ca908c9
	v_fmac_f32_e32 v11, 0xbbbac73d, v10
	v_fmaak_f32 v11, v10, v11, 0xbd5c1c4e
	v_fmaak_f32 v11, v10, v11, 0x3e088382
	;; [unrolled: 1-line block ×3, first 2 shown]
	v_mul_f32_e64 v11, |v6|, v11
	v_fma_f32 v10, v10, v11, |v6|
; %bb.646:
	s_or_b64 exec, exec, s[0:1]
	s_mov_b32 s0, 0x3f200000
	v_cmp_nlt_f32_e64 s[0:1], |v7|, s0
                                        ; implicit-def: $vgpr11
	s_and_saveexec_b64 s[4:5], s[0:1]
	s_xor_b64 s[0:1], exec, s[4:5]
	s_cbranch_execz .LBB30_648
; %bb.647:
	v_add_f32_e64 v11, |v7|, |v7|
	v_mul_f32_e32 v12, 0x3fb8aa3b, v11
	s_mov_b32 s4, 0x3fb8aa3b
	v_rndne_f32_e32 v13, v12
	v_sub_f32_e32 v14, v12, v13
	v_fma_f32 v12, v11, s4, -v12
	v_fmamk_f32 v12, v11, 0x32a5705f, v12
	v_add_f32_e32 v12, v14, v12
	v_exp_f32_e32 v12, v12
	v_cvt_i32_f32_e32 v13, v13
	s_mov_b32 s4, 0xc2ce8ed0
	v_cmp_ngt_f32_e32 vcc, s4, v11
	s_mov_b32 s4, 0x42b17218
	v_ldexp_f32 v12, v12, v13
	v_cndmask_b32_e32 v12, 0, v12, vcc
	v_mov_b32_e32 v13, 0x7f800000
	v_cmp_nlt_f32_e32 vcc, s4, v11
	s_nop 1
	v_cndmask_b32_e32 v11, v13, v12, vcc
	v_add_f32_e32 v11, 1.0, v11
	v_rcp_f32_e32 v11, v11
	s_nop 0
	v_fma_f32 v11, v11, -2.0, 1.0
.LBB30_648:
	s_andn2_saveexec_b64 s[0:1], s[0:1]
; %bb.649:
	v_mul_f32_e32 v11, v7, v7
	v_mov_b32_e32 v12, 0x3ca908c9
	v_fmac_f32_e32 v12, 0xbbbac73d, v11
	v_fmaak_f32 v12, v11, v12, 0xbd5c1c4e
	v_fmaak_f32 v12, v11, v12, 0x3e088382
	;; [unrolled: 1-line block ×3, first 2 shown]
	v_mul_f32_e64 v12, |v7|, v12
	v_fma_f32 v11, v11, v12, |v7|
; %bb.650:
	s_or_b64 exec, exec, s[0:1]
	s_mov_b32 s0, 0x3f200000
	v_cmp_nlt_f32_e64 s[0:1], |v0|, s0
                                        ; implicit-def: $vgpr12
	s_and_saveexec_b64 s[4:5], s[0:1]
	s_xor_b64 s[0:1], exec, s[4:5]
	s_cbranch_execz .LBB30_652
; %bb.651:
	v_add_f32_e64 v12, |v0|, |v0|
	v_mul_f32_e32 v13, 0x3fb8aa3b, v12
	s_mov_b32 s4, 0x3fb8aa3b
	v_rndne_f32_e32 v14, v13
	v_sub_f32_e32 v15, v13, v14
	v_fma_f32 v13, v12, s4, -v13
	v_fmamk_f32 v13, v12, 0x32a5705f, v13
	v_add_f32_e32 v13, v15, v13
	v_exp_f32_e32 v13, v13
	v_cvt_i32_f32_e32 v14, v14
	s_mov_b32 s4, 0xc2ce8ed0
	v_cmp_ngt_f32_e32 vcc, s4, v12
	s_mov_b32 s4, 0x42b17218
	v_ldexp_f32 v13, v13, v14
	v_cndmask_b32_e32 v13, 0, v13, vcc
	v_mov_b32_e32 v14, 0x7f800000
	v_cmp_nlt_f32_e32 vcc, s4, v12
	s_nop 1
	v_cndmask_b32_e32 v12, v14, v13, vcc
	v_add_f32_e32 v12, 1.0, v12
	v_rcp_f32_e32 v12, v12
	s_nop 0
	v_fma_f32 v12, v12, -2.0, 1.0
.LBB30_652:
	s_andn2_saveexec_b64 s[0:1], s[0:1]
; %bb.653:
	v_mul_f32_e32 v12, v0, v0
	v_mov_b32_e32 v13, 0x3ca908c9
	v_fmac_f32_e32 v13, 0xbbbac73d, v12
	v_fmaak_f32 v13, v12, v13, 0xbd5c1c4e
	v_fmaak_f32 v13, v12, v13, 0x3e088382
	;; [unrolled: 1-line block ×3, first 2 shown]
	v_mul_f32_e64 v13, |v0|, v13
	v_fma_f32 v12, v12, v13, |v0|
; %bb.654:
	s_or_b64 exec, exec, s[0:1]
	s_mov_b32 s0, 0x3f200000
	v_cmp_nlt_f32_e64 s[0:1], |v1|, s0
                                        ; implicit-def: $vgpr13
	s_and_saveexec_b64 s[4:5], s[0:1]
	s_xor_b64 s[0:1], exec, s[4:5]
	s_cbranch_execz .LBB30_656
; %bb.655:
	v_add_f32_e64 v13, |v1|, |v1|
	v_mul_f32_e32 v14, 0x3fb8aa3b, v13
	s_mov_b32 s4, 0x3fb8aa3b
	v_rndne_f32_e32 v15, v14
	v_sub_f32_e32 v16, v14, v15
	v_fma_f32 v14, v13, s4, -v14
	v_fmamk_f32 v14, v13, 0x32a5705f, v14
	v_add_f32_e32 v14, v16, v14
	v_exp_f32_e32 v14, v14
	v_cvt_i32_f32_e32 v15, v15
	s_mov_b32 s4, 0xc2ce8ed0
	v_cmp_ngt_f32_e32 vcc, s4, v13
	s_mov_b32 s4, 0x42b17218
	v_ldexp_f32 v14, v14, v15
	v_cndmask_b32_e32 v14, 0, v14, vcc
	v_mov_b32_e32 v15, 0x7f800000
	v_cmp_nlt_f32_e32 vcc, s4, v13
	s_nop 1
	v_cndmask_b32_e32 v13, v15, v14, vcc
	v_add_f32_e32 v13, 1.0, v13
	v_rcp_f32_e32 v13, v13
	s_nop 0
	v_fma_f32 v13, v13, -2.0, 1.0
.LBB30_656:
	s_andn2_saveexec_b64 s[0:1], s[0:1]
; %bb.657:
	v_mul_f32_e32 v13, v1, v1
	v_mov_b32_e32 v14, 0x3ca908c9
	v_fmac_f32_e32 v14, 0xbbbac73d, v13
	v_fmaak_f32 v14, v13, v14, 0xbd5c1c4e
	v_fmaak_f32 v14, v13, v14, 0x3e088382
	;; [unrolled: 1-line block ×3, first 2 shown]
	v_mul_f32_e64 v14, |v1|, v14
	v_fma_f32 v13, v13, v14, |v1|
; %bb.658:
	s_or_b64 exec, exec, s[0:1]
	s_mov_b32 s0, 0x3f200000
	v_cmp_nlt_f32_e64 s[0:1], |v2|, s0
                                        ; implicit-def: $vgpr14
	s_and_saveexec_b64 s[4:5], s[0:1]
	s_xor_b64 s[0:1], exec, s[4:5]
	s_cbranch_execz .LBB30_660
; %bb.659:
	v_add_f32_e64 v14, |v2|, |v2|
	v_mul_f32_e32 v15, 0x3fb8aa3b, v14
	s_mov_b32 s4, 0x3fb8aa3b
	v_rndne_f32_e32 v16, v15
	v_sub_f32_e32 v17, v15, v16
	v_fma_f32 v15, v14, s4, -v15
	v_fmamk_f32 v15, v14, 0x32a5705f, v15
	v_add_f32_e32 v15, v17, v15
	v_exp_f32_e32 v15, v15
	v_cvt_i32_f32_e32 v16, v16
	s_mov_b32 s4, 0xc2ce8ed0
	v_cmp_ngt_f32_e32 vcc, s4, v14
	s_mov_b32 s4, 0x42b17218
	v_ldexp_f32 v15, v15, v16
	v_cndmask_b32_e32 v15, 0, v15, vcc
	v_mov_b32_e32 v16, 0x7f800000
	v_cmp_nlt_f32_e32 vcc, s4, v14
	s_nop 1
	v_cndmask_b32_e32 v14, v16, v15, vcc
	v_add_f32_e32 v14, 1.0, v14
	v_rcp_f32_e32 v14, v14
	s_nop 0
	v_fma_f32 v14, v14, -2.0, 1.0
.LBB30_660:
	s_andn2_saveexec_b64 s[0:1], s[0:1]
; %bb.661:
	v_mul_f32_e32 v14, v2, v2
	v_mov_b32_e32 v15, 0x3ca908c9
	v_fmac_f32_e32 v15, 0xbbbac73d, v14
	v_fmaak_f32 v15, v14, v15, 0xbd5c1c4e
	v_fmaak_f32 v15, v14, v15, 0x3e088382
	;; [unrolled: 1-line block ×3, first 2 shown]
	v_mul_f32_e64 v15, |v2|, v15
	v_fma_f32 v14, v14, v15, |v2|
; %bb.662:
	s_or_b64 exec, exec, s[0:1]
	s_mov_b32 s0, 0x3f200000
	v_cmp_nlt_f32_e64 s[0:1], |v3|, s0
                                        ; implicit-def: $vgpr15
	s_and_saveexec_b64 s[4:5], s[0:1]
	s_xor_b64 s[0:1], exec, s[4:5]
	s_cbranch_execz .LBB30_664
; %bb.663:
	v_add_f32_e64 v15, |v3|, |v3|
	v_mul_f32_e32 v16, 0x3fb8aa3b, v15
	s_mov_b32 s4, 0x3fb8aa3b
	v_rndne_f32_e32 v17, v16
	v_sub_f32_e32 v18, v16, v17
	v_fma_f32 v16, v15, s4, -v16
	v_fmamk_f32 v16, v15, 0x32a5705f, v16
	v_add_f32_e32 v16, v18, v16
	v_exp_f32_e32 v16, v16
	v_cvt_i32_f32_e32 v17, v17
	s_mov_b32 s4, 0xc2ce8ed0
	v_cmp_ngt_f32_e32 vcc, s4, v15
	s_mov_b32 s4, 0x42b17218
	v_ldexp_f32 v16, v16, v17
	v_cndmask_b32_e32 v16, 0, v16, vcc
	v_mov_b32_e32 v17, 0x7f800000
	v_cmp_nlt_f32_e32 vcc, s4, v15
	s_nop 1
	v_cndmask_b32_e32 v15, v17, v16, vcc
	v_add_f32_e32 v15, 1.0, v15
	v_rcp_f32_e32 v15, v15
	s_nop 0
	v_fma_f32 v15, v15, -2.0, 1.0
.LBB30_664:
	s_andn2_saveexec_b64 s[0:1], s[0:1]
; %bb.665:
	v_mul_f32_e32 v15, v3, v3
	v_mov_b32_e32 v16, 0x3ca908c9
	v_fmac_f32_e32 v16, 0xbbbac73d, v15
	v_fmaak_f32 v16, v15, v16, 0xbd5c1c4e
	v_fmaak_f32 v16, v15, v16, 0x3e088382
	;; [unrolled: 1-line block ×3, first 2 shown]
	v_mul_f32_e64 v16, |v3|, v16
	v_fma_f32 v15, v15, v16, |v3|
; %bb.666:
	s_or_b64 exec, exec, s[0:1]
	s_brev_b32 s0, -2
	v_bfi_b32 v12, s0, v12, v0
	v_and_b32_e32 v26, 0xfc, v123
	v_lshrrev_b32_e32 v0, 2, v127
	v_bfi_b32 v13, s0, v13, v1
	v_mul_u32_u24_e32 v0, 0x90, v0
	v_add_lshl_u32 v1, v125, v26, 1
	v_add3_u32 v0, 0, v0, v1
	v_bfi_b32 v14, s0, v14, v2
	v_add_u32_e32 v2, 0x8400, v0
	ds_read2_b32 v[0:1], v2 offset1:1
	v_bfi_b32 v4, s0, v8, v4
	v_bfi_b32 v8, s0, v15, v3
	ds_read2_b32 v[2:3], v2 offset0:16 offset1:17
	v_bfi_b32 v5, s0, v9, v5
	v_bfi_b32 v7, s0, v11, v7
	;; [unrolled: 1-line block ×3, first 2 shown]
	s_waitcnt lgkmcnt(1)
	v_fma_mix_f32 v4, s3, v4, v0 op_sel_hi:[0,0,1]
	v_fma_mix_f32 v0, s3, v5, v0 op_sel:[0,0,1] op_sel_hi:[0,0,1]
	v_fma_mix_f32 v5, s3, v6, v1 op_sel_hi:[0,0,1]
	v_fma_mix_f32 v1, s3, v7, v1 op_sel:[0,0,1] op_sel_hi:[0,0,1]
	s_waitcnt lgkmcnt(0)
	v_fma_mix_f32 v6, s3, v12, v2 op_sel_hi:[0,0,1]
	v_fma_mix_f32 v27, s3, v13, v2 op_sel:[0,0,1] op_sel_hi:[0,0,1]
	v_fma_mix_f32 v28, s3, v14, v3 op_sel_hi:[0,0,1]
	v_fma_mix_f32 v29, s3, v8, v3 op_sel:[0,0,1] op_sel_hi:[0,0,1]
	v_add_f32_e32 v2, 0x40051340, v4
	v_add_f32_e32 v3, 0x40051340, v0
	v_max3_f32 v2, v133, v2, v3
	v_add_f32_e32 v3, 0x40051340, v5
	v_add_f32_e32 v7, 0x40051340, v1
	v_max3_f32 v2, v2, v3, v7
	;; [unrolled: 3-line block ×4, first 2 shown]
	v_mbcnt_hi_u32_b32 v3, -1, v126
	v_and_b32_e32 v7, 64, v3
	v_add_u32_e32 v7, 64, v7
	v_xor_b32_e32 v8, 32, v3
	v_cmp_lt_i32_e32 vcc, v8, v7
	s_mov_b32 s3, 0x3fb8aa3b
	s_mov_b32 s0, 0xc2ce8ed0
	v_cndmask_b32_e32 v8, v3, v8, vcc
	v_lshlrev_b32_e32 v71, 2, v8
	ds_bpermute_b32 v8, v71, v2
	s_mov_b32 s1, 0x42b17218
	v_mov_b32_e32 v30, 0x7f800000
	s_mul_hi_i32 s5, s6, s34
	s_mul_i32 s4, s6, s34
	s_waitcnt lgkmcnt(0)
	v_max_f32_e32 v8, v8, v8
	v_max_f32_e32 v2, v2, v8
	v_xor_b32_e32 v8, 16, v3
	v_cmp_lt_i32_e32 vcc, v8, v7
	s_lshl_b64 s[4:5], s[4:5], 2
	s_add_u32 s4, s10, s4
	v_cndmask_b32_e32 v3, v3, v8, vcc
	v_lshlrev_b32_e32 v67, 2, v3
	ds_bpermute_b32 v3, v67, v2
	s_addc_u32 s5, s11, s5
	s_waitcnt lgkmcnt(0)
	v_max_f32_e32 v3, v3, v3
	v_max_f32_e32 v70, v2, v3
	v_sub_f32_e32 v2, v4, v70
	v_mul_f32_e32 v3, 0x3fb8aa3b, v2
	v_fma_f32 v4, v2, s3, -v3
	v_rndne_f32_e32 v7, v3
	v_fmac_f32_e32 v4, 0x32a5705f, v2
	v_sub_f32_e32 v3, v3, v7
	v_add_f32_e32 v3, v3, v4
	v_exp_f32_e32 v3, v3
	v_cvt_i32_f32_e32 v4, v7
	v_sub_f32_e32 v0, v0, v70
	v_cmp_ngt_f32_e32 vcc, s0, v2
	v_sub_f32_e32 v31, v1, v70
	v_ldexp_f32 v3, v3, v4
	v_mul_f32_e32 v4, 0x3fb8aa3b, v0
	v_fma_f32 v7, v0, s3, -v4
	v_rndne_f32_e32 v8, v4
	v_fmac_f32_e32 v7, 0x32a5705f, v0
	v_sub_f32_e32 v4, v4, v8
	v_add_f32_e32 v4, v4, v7
	v_exp_f32_e32 v4, v4
	v_cvt_i32_f32_e32 v7, v8
	v_cndmask_b32_e32 v3, 0, v3, vcc
	v_cmp_nlt_f32_e32 vcc, s1, v2
	v_mul_f32_e32 v1, 0x3fb8aa3b, v31
	v_ldexp_f32 v2, v4, v7
	v_cndmask_b32_e32 v24, v30, v3, vcc
	v_sub_f32_e32 v3, v5, v70
	v_mul_f32_e32 v4, 0x3fb8aa3b, v3
	v_fma_f32 v5, v3, s3, -v4
	v_rndne_f32_e32 v7, v4
	v_fmac_f32_e32 v5, 0x32a5705f, v3
	v_sub_f32_e32 v4, v4, v7
	v_add_f32_e32 v4, v4, v5
	v_exp_f32_e32 v4, v4
	v_cvt_i32_f32_e32 v5, v7
	v_cmp_ngt_f32_e32 vcc, s0, v0
	v_sub_f32_e32 v46, v6, v70
	s_nop 0
	v_cndmask_b32_e32 v2, 0, v2, vcc
	v_cmp_nlt_f32_e32 vcc, s1, v0
	v_ldexp_f32 v0, v4, v5
	v_rndne_f32_e32 v4, v1
	v_cndmask_b32_e32 v25, v30, v2, vcc
	v_fma_f32 v2, v31, s3, -v1
	v_fmac_f32_e32 v2, 0x32a5705f, v31
	v_sub_f32_e32 v1, v1, v4
	v_add_f32_e32 v1, v1, v2
	v_exp_f32_e32 v1, v1
	v_cvt_i32_f32_e32 v2, v4
	v_cmp_ngt_f32_e32 vcc, s0, v3
	v_ldexp_f32 v35, v1, v2
	s_nop 0
	v_cndmask_b32_e32 v0, 0, v0, vcc
	v_cmp_nlt_f32_e32 vcc, s1, v3
	s_nop 1
	v_cndmask_b32_e32 v34, v30, v0, vcc
	v_mul_f32_e32 v0, 0x3fb8aa3b, v46
	v_fma_f32 v1, v46, s3, -v0
	v_rndne_f32_e32 v47, v0
	v_fmac_f32_e32 v1, 0x32a5705f, v46
	v_sub_f32_e32 v0, v0, v47
	v_add_f32_e32 v0, v0, v1
	v_exp_f32_e32 v54, v0
	v_lshl_add_u64 v[0:1], v[68:69], 2, s[4:5]
	v_lshl_add_u64 v[16:17], v[0:1], 0, v[32:33]
	v_mul_lo_u32 v0, v118, s34
	v_ashrrev_i32_e32 v1, 31, v0
	v_lshl_add_u64 v[0:1], v[0:1], 2, s[4:5]
	v_lshl_add_u64 v[18:19], v[0:1], 0, v[32:33]
	v_mul_lo_u32 v0, v122, s34
	v_ashrrev_i32_e32 v1, 31, v0
	;; [unrolled: 4-line block ×3, first 2 shown]
	v_lshl_add_u64 v[0:1], v[0:1], 2, s[4:5]
	v_lshl_add_u64 v[22:23], v[0:1], 0, v[32:33]
	global_load_dwordx4 v[0:3], v[16:17], off
	global_load_dwordx4 v[4:7], v[18:19], off
	;; [unrolled: 1-line block ×4, first 2 shown]
	v_cmp_ngt_f32_e32 vcc, s0, v31
	v_cvt_i32_f32_e32 v16, v47
	s_waitcnt vmcnt(3)
	ds_write_b128 v36, v[0:3]
	s_waitcnt vmcnt(2)
	ds_write_b128 v37, v[4:7]
	;; [unrolled: 2-line block ×4, first 2 shown]
	v_cndmask_b32_e32 v17, 0, v35, vcc
	v_cmp_nlt_f32_e32 vcc, s1, v31
	v_ldexp_f32 v16, v54, v16
	s_waitcnt lgkmcnt(0)
	v_cndmask_b32_e32 v32, v30, v17, vcc
	v_sub_f32_e32 v17, v27, v70
	v_mul_f32_e32 v18, 0x3fb8aa3b, v17
	v_fma_f32 v19, v17, s3, -v18
	v_rndne_f32_e32 v20, v18
	v_fmac_f32_e32 v19, 0x32a5705f, v17
	v_sub_f32_e32 v18, v18, v20
	v_add_f32_e32 v18, v18, v19
	v_exp_f32_e32 v18, v18
	v_cvt_i32_f32_e32 v19, v20
	v_cmp_ngt_f32_e32 vcc, s0, v46
	s_barrier
	s_nop 0
	v_cndmask_b32_e32 v16, 0, v16, vcc
	v_cmp_nlt_f32_e32 vcc, s1, v46
	s_nop 1
	v_cndmask_b32_e32 v33, v30, v16, vcc
	v_ldexp_f32 v16, v18, v19
	v_sub_f32_e32 v18, v28, v70
	v_mul_f32_e32 v19, 0x3fb8aa3b, v18
	v_fma_f32 v20, v18, s3, -v19
	v_rndne_f32_e32 v21, v19
	v_fmac_f32_e32 v20, 0x32a5705f, v18
	v_sub_f32_e32 v19, v19, v21
	v_add_f32_e32 v19, v19, v20
	v_exp_f32_e32 v19, v19
	v_cvt_i32_f32_e32 v20, v21
	v_cmp_ngt_f32_e32 vcc, s0, v17
	s_nop 1
	v_cndmask_b32_e32 v16, 0, v16, vcc
	v_cmp_nlt_f32_e32 vcc, s1, v17
	v_sub_f32_e32 v17, v29, v70
	s_nop 0
	v_cndmask_b32_e32 v35, v30, v16, vcc
	v_ldexp_f32 v16, v19, v20
	v_mul_f32_e32 v19, 0x3fb8aa3b, v17
	v_fma_f32 v20, v17, s3, -v19
	v_rndne_f32_e32 v21, v19
	v_fmac_f32_e32 v20, 0x32a5705f, v17
	v_sub_f32_e32 v19, v19, v21
	v_add_f32_e32 v19, v19, v20
	v_cvt_i32_f32_e32 v20, v21
	v_sub_f32_e32 v21, v133, v70
	v_mul_f32_e32 v22, 0x3fb8aa3b, v21
	v_fma_f32 v23, v21, s3, -v22
	v_rndne_f32_e32 v27, v22
	v_fmac_f32_e32 v23, 0x32a5705f, v21
	v_sub_f32_e32 v22, v22, v27
	v_add_f32_e32 v22, v22, v23
	v_exp_f32_e32 v22, v22
	v_cvt_i32_f32_e32 v23, v27
	v_cmp_ngt_f32_e32 vcc, s0, v18
	s_mov_b32 s3, 0xc1a00000
	v_exp_f32_e32 v19, v19
	v_cndmask_b32_e32 v16, 0, v16, vcc
	v_cmp_nlt_f32_e32 vcc, s1, v18
	v_ldexp_f32 v18, v22, v23
	v_cvt_pk_f16_f32 v46, v33, v35
	v_cndmask_b32_e32 v68, v30, v16, vcc
	v_cmp_ngt_f32_e32 vcc, s0, v21
	v_ldexp_f32 v16, v19, v20
	v_or_b32_e32 v19, 3, v123
	v_cndmask_b32_e32 v18, 0, v18, vcc
	v_cmp_nlt_f32_e32 vcc, s1, v21
	v_mul_u32_u24_e32 v19, 0x210, v19
	s_nop 0
	v_cndmask_b32_e32 v18, v30, v18, vcc
	v_cmp_le_f32_e32 vcc, s3, v21
	s_nop 1
	v_cndmask_b32_e32 v69, 0, v18, vcc
	v_cvt_f16_f32_e32 v18, v69
	v_cmp_ngt_f32_e32 vcc, s0, v17
	s_movk_i32 s0, 0x420
	v_mad_u32_u24 v0, v120, s0, 0
	v_cndmask_b32_e32 v16, 0, v16, vcc
	v_cmp_nlt_f32_e32 vcc, s1, v17
	v_mul_u32_u24_e32 v73, 0x10001, v18
	v_mul_u32_u24_e32 v18, 0x210, v26
	v_cndmask_b32_e32 v72, v30, v16, vcc
	v_pk_mul_f16 v16, v45, v73
	v_add3_u32 v4, v0, v18, v119
	v_add3_u32 v5, v0, v19, v119
	v_cvt_f32_f16_e32 v0, v16
	v_cvt_f32_f16_sdwa v1, v16 dst_sel:DWORD dst_unused:UNUSED_PAD src0_sel:WORD_1
	s_mov_b32 s0, 0x5040100
	ds_read_u16 v3, v4 offset:1056
	ds_read_u16 v8, v4 offset:1088
	;; [unrolled: 1-line block ×8, first 2 shown]
	ds_read_u16 v6, v5
	ds_read_u16 v15, v5 offset:32
	ds_read_u16 v16, v5 offset:64
	;; [unrolled: 1-line block ×7, first 2 shown]
	s_waitcnt lgkmcnt(7)
	v_perm_b32 v7, v6, v3, s0
	ds_read_u16 v3, v4
	ds_read_u16 v28, v4 offset:32
	ds_read_u16 v36, v4 offset:64
	ds_read_u16 v54, v4 offset:96
	ds_read_u16 v55, v4 offset:128
	ds_read_u16 v58, v4 offset:160
	ds_read_u16 v59, v4 offset:192
	ds_read_u16 v63, v4 offset:224
	ds_read_u16 v6, v4 offset:528
	ds_read_u16 v29, v4 offset:560
	ds_read_u16 v37, v4 offset:592
	ds_read_u16 v74, v4 offset:624
	ds_read_u16 v75, v4 offset:656
	ds_read_u16 v76, v4 offset:688
	ds_read_u16 v77, v4 offset:720
	ds_read_u16 v78, v4 offset:752
	v_pk_mul_f16 v17, v44, v73
	s_waitcnt lgkmcnt(7)
	v_perm_b32 v6, v6, v3, s0
	v_cvt_f32_f16_e32 v2, v17
	v_cvt_f32_f16_sdwa v3, v17 dst_sel:DWORD dst_unused:UNUSED_PAD src0_sel:WORD_1
	v_cvt_pk_f16_f32 v45, v34, v32
	v_cvt_pk_f16_f32 v44, v24, v25
	v_pk_mul_f16 v17, v43, v73
	v_cvt_pk_f16_f32 v47, v68, v72
	v_mfma_f32_16x16x16_f16 v[0:3], v[6:7], v[44:45], v[0:3]
	ds_read_u16 v6, v4 offset:17952
	ds_read_u16 v30, v4 offset:17984
	;; [unrolled: 1-line block ×16, first 2 shown]
	s_waitcnt lgkmcnt(7)
	v_perm_b32 v7, v7, v6, s0
	ds_read_u16 v6, v4 offset:16896
	ds_read_u16 v88, v4 offset:16928
	;; [unrolled: 1-line block ×16, first 2 shown]
	v_cvt_f16_f32_e32 v0, v0
	v_cvt_f16_f32_e32 v1, v1
	;; [unrolled: 1-line block ×4, first 2 shown]
	s_waitcnt lgkmcnt(7)
	v_perm_b32 v6, v20, v6, s0
	v_cvt_f32_f16_e32 v0, v0
	v_cvt_f32_f16_e32 v1, v1
	;; [unrolled: 1-line block ×4, first 2 shown]
	v_pk_mul_f16 v42, v42, v73
	s_nop 0
	v_mfma_f32_16x16x16_f16 v[20:23], v[6:7], v[46:47], v[0:3]
	v_perm_b32 v7, v15, v8, s0
	v_perm_b32 v6, v29, v28, s0
	s_nop 0
	v_cvt_f32_f16_e32 v0, v17
	v_cvt_f32_f16_sdwa v1, v17 dst_sel:DWORD dst_unused:UNUSED_PAD src0_sel:WORD_1
	v_cvt_f32_f16_e32 v2, v42
	v_cvt_f32_f16_sdwa v3, v42 dst_sel:DWORD dst_unused:UNUSED_PAD src0_sel:WORD_1
	v_pk_mul_f16 v8, v41, v73
	v_pk_mul_f16 v15, v40, v73
	v_mfma_f32_16x16x16_f16 v[0:3], v[6:7], v[44:45], v[0:3]
	v_perm_b32 v7, v31, v30, s0
	s_waitcnt lgkmcnt(6)
	v_perm_b32 v6, v95, v88, s0
	s_nop 4
	v_cvt_f16_f32_e32 v0, v0
	v_cvt_f16_f32_e32 v1, v1
	v_cvt_f16_f32_e32 v2, v2
	v_cvt_f16_f32_e32 v3, v3
	v_cvt_f32_f16_e32 v0, v0
	v_cvt_f32_f16_e32 v1, v1
	v_cvt_f32_f16_e32 v2, v2
	v_cvt_f32_f16_e32 v3, v3
	s_nop 1
	v_mfma_f32_16x16x16_f16 v[28:31], v[6:7], v[46:47], v[0:3]
	v_perm_b32 v7, v16, v9, s0
	v_perm_b32 v6, v37, v36, s0
	s_nop 0
	v_cvt_f32_f16_e32 v0, v8
	v_cvt_f32_f16_sdwa v1, v8 dst_sel:DWORD dst_unused:UNUSED_PAD src0_sel:WORD_1
	v_cvt_f32_f16_e32 v2, v15
	v_cvt_f32_f16_sdwa v3, v15 dst_sel:DWORD dst_unused:UNUSED_PAD src0_sel:WORD_1
	v_pk_mul_f16 v8, v51, v73
	v_pk_mul_f16 v9, v50, v73
	v_mfma_f32_16x16x16_f16 v[0:3], v[6:7], v[44:45], v[0:3]
	v_perm_b32 v7, v39, v38, s0
	s_waitcnt lgkmcnt(5)
	v_perm_b32 v6, v96, v89, s0
	s_nop 4
	v_cvt_f16_f32_e32 v0, v0
	v_cvt_f16_f32_e32 v1, v1
	v_cvt_f16_f32_e32 v2, v2
	v_cvt_f16_f32_e32 v3, v3
	v_cvt_f32_f16_e32 v0, v0
	v_cvt_f32_f16_e32 v1, v1
	v_cvt_f32_f16_e32 v2, v2
	v_cvt_f32_f16_e32 v3, v3
	;; [unrolled: 24-line block ×7, first 2 shown]
	s_nop 1
	v_mfma_f32_16x16x16_f16 v[60:63], v[6:7], v[46:47], v[0:3]
	s_nop 2
	v_cvt_f32_f16_e32 v0, v8
	v_cvt_f32_f16_sdwa v1, v8 dst_sel:DWORD dst_unused:UNUSED_PAD src0_sel:WORD_1
	ds_read_u16 v3, v4 offset:1312
	ds_read_u16 v8, v4 offset:1344
	;; [unrolled: 1-line block ×16, first 2 shown]
	s_waitcnt lgkmcnt(7)
	v_perm_b32 v7, v6, v3, s0
	ds_read_u16 v3, v4 offset:256
	ds_read_u16 v13, v4 offset:288
	;; [unrolled: 1-line block ×16, first 2 shown]
	s_waitcnt lgkmcnt(7)
	v_perm_b32 v6, v6, v3, s0
	v_cvt_f32_f16_e32 v2, v9
	v_cvt_f32_f16_sdwa v3, v9 dst_sel:DWORD dst_unused:UNUSED_PAD src0_sel:WORD_1
	v_perm_b32 v9, v10, v8, s0
	s_waitcnt lgkmcnt(6)
	v_perm_b32 v8, v17, v13, s0
	v_mfma_f32_16x16x16_f16 v[0:3], v[6:7], v[44:45], v[0:3]
	ds_read_u16 v6, v4 offset:18208
	ds_read_u16 v87, v4 offset:18240
	;; [unrolled: 1-line block ×16, first 2 shown]
	s_waitcnt lgkmcnt(7)
	v_perm_b32 v5, v7, v6, s0
	ds_read_u16 v6, v4 offset:17152
	ds_read_u16 v122, v4 offset:17184
	;; [unrolled: 1-line block ×16, first 2 shown]
	v_cvt_f16_f32_e32 v0, v0
	v_cvt_f16_f32_e32 v1, v1
	v_cvt_f16_f32_e32 v2, v2
	v_cvt_f16_f32_e32 v3, v3
	s_waitcnt lgkmcnt(7)
	v_perm_b32 v4, v7, v6, s0
	v_cvt_f32_f16_e32 v0, v0
	v_cvt_f32_f16_e32 v1, v1
	;; [unrolled: 1-line block ×4, first 2 shown]
	v_pk_mul_f16 v6, v117, v73
	v_pk_mul_f16 v7, v116, v73
	v_mfma_f32_16x16x16_f16 v[0:3], v[4:5], v[46:47], v[0:3]
	v_cvt_f32_f16_e32 v4, v6
	v_cvt_f32_f16_sdwa v5, v6 dst_sel:DWORD dst_unused:UNUSED_PAD src0_sel:WORD_1
	v_cvt_f32_f16_e32 v6, v7
	v_cvt_f32_f16_sdwa v7, v7 dst_sel:DWORD dst_unused:UNUSED_PAD src0_sel:WORD_1
	v_pk_mul_f16 v10, v115, v73
	v_pk_mul_f16 v17, v114, v73
	v_mfma_f32_16x16x16_f16 v[4:7], v[8:9], v[44:45], v[4:7]
	v_perm_b32 v9, v94, v87, s0
	s_waitcnt lgkmcnt(6)
	v_perm_b32 v8, v129, v122, s0
	v_perm_b32 v13, v12, v11, s0
	;; [unrolled: 1-line block ×3, first 2 shown]
	s_nop 2
	v_cvt_f16_f32_e32 v4, v4
	v_cvt_f16_f32_e32 v5, v5
	v_cvt_f16_f32_e32 v6, v6
	v_cvt_f16_f32_e32 v7, v7
	v_cvt_f32_f16_e32 v4, v4
	v_cvt_f32_f16_e32 v5, v5
	v_cvt_f32_f16_e32 v6, v6
	v_cvt_f32_f16_e32 v7, v7
	v_cvt_f32_f16_sdwa v11, v17 dst_sel:DWORD dst_unused:UNUSED_PAD src0_sel:WORD_1
	v_pk_mul_f16 v14, v113, v73
	v_mfma_f32_16x16x16_f16 v[4:7], v[8:9], v[46:47], v[4:7]
	v_cvt_f32_f16_e32 v8, v10
	v_cvt_f32_f16_sdwa v9, v10 dst_sel:DWORD dst_unused:UNUSED_PAD src0_sel:WORD_1
	v_cvt_f32_f16_e32 v10, v17
	v_pk_mul_f16 v27, v112, v73
	v_perm_b32 v17, v16, v15, s0
	v_mfma_f32_16x16x16_f16 v[8:11], v[12:13], v[44:45], v[8:11]
	v_perm_b32 v13, v95, v88, s0
	s_waitcnt lgkmcnt(5)
	v_perm_b32 v12, v130, v123, s0
	v_perm_b32 v16, v75, v18, s0
	v_cvt_f32_f16_sdwa v15, v27 dst_sel:DWORD dst_unused:UNUSED_PAD src0_sel:WORD_1
	s_nop 2
	v_cvt_f16_f32_e32 v8, v8
	v_cvt_f16_f32_e32 v9, v9
	;; [unrolled: 1-line block ×4, first 2 shown]
	v_cvt_f32_f16_e32 v8, v8
	v_cvt_f32_f16_e32 v9, v9
	;; [unrolled: 1-line block ×4, first 2 shown]
	v_pk_mul_f16 v18, v111, v73
	v_pk_mul_f16 v75, v110, v73
	v_mfma_f32_16x16x16_f16 v[8:11], v[12:13], v[46:47], v[8:11]
	v_cvt_f32_f16_e32 v12, v14
	v_cvt_f32_f16_sdwa v13, v14 dst_sel:DWORD dst_unused:UNUSED_PAD src0_sel:WORD_1
	v_cvt_f32_f16_e32 v14, v27
	v_perm_b32 v27, v26, v19, s0
	v_perm_b32 v26, v76, v74, s0
	v_mfma_f32_16x16x16_f16 v[12:15], v[16:17], v[44:45], v[12:15]
	v_perm_b32 v17, v96, v89, s0
	s_waitcnt lgkmcnt(4)
	v_perm_b32 v16, v131, v124, s0
	v_cvt_f32_f16_sdwa v19, v75 dst_sel:DWORD dst_unused:UNUSED_PAD src0_sel:WORD_1
	v_pk_mul_f16 v87, v107, v73
	s_nop 2
	v_cvt_f16_f32_e32 v12, v12
	v_cvt_f16_f32_e32 v13, v13
	;; [unrolled: 1-line block ×4, first 2 shown]
	v_cvt_f32_f16_e32 v12, v12
	v_cvt_f32_f16_e32 v13, v13
	;; [unrolled: 1-line block ×5, first 2 shown]
	v_perm_b32 v65, v79, v65, s0
	v_mfma_f32_16x16x16_f16 v[12:15], v[16:17], v[46:47], v[12:15]
	v_cvt_f32_f16_e32 v16, v18
	v_cvt_f32_f16_sdwa v17, v18 dst_sel:DWORD dst_unused:UNUSED_PAD src0_sel:WORD_1
	v_cvt_f32_f16_e32 v18, v75
	v_pk_mul_f16 v75, v108, v73
	s_waitcnt lgkmcnt(0)
	v_mfma_f32_16x16x16_f16 v[16:19], v[26:27], v[44:45], v[16:19]
	v_perm_b32 v27, v97, v90, s0
	v_perm_b32 v26, v132, v125, s0
	v_cvt_f32_f16_e32 v74, v75
	v_cvt_f32_f16_sdwa v75, v75 dst_sel:DWORD dst_unused:UNUSED_PAD src0_sel:WORD_1
	s_nop 3
	v_cvt_f16_f32_e32 v16, v16
	v_cvt_f16_f32_e32 v17, v17
	;; [unrolled: 1-line block ×4, first 2 shown]
	v_cvt_f32_f16_e32 v16, v16
	v_cvt_f32_f16_e32 v17, v17
	;; [unrolled: 1-line block ×4, first 2 shown]
	s_barrier
	s_nop 0
	v_mfma_f32_16x16x16_f16 v[16:19], v[26:27], v[46:47], v[16:19]
	v_perm_b32 v27, v77, v64, s0
	v_perm_b32 v26, v84, v81, s0
	v_cvt_f32_f16_sdwa v77, v87 dst_sel:DWORD dst_unused:UNUSED_PAD src0_sel:WORD_1
	v_add_f32_e32 v81, v24, v25
	v_pk_mul_f16 v84, v105, v73
	v_mfma_f32_16x16x16_f16 v[74:77], v[26:27], v[44:45], v[74:77]
	v_add_f32_e32 v34, v34, v81
	v_add_f32_e32 v32, v32, v34
	;; [unrolled: 1-line block ×4, first 2 shown]
	s_nop 3
	v_cvt_f16_f32_e32 v26, v74
	v_cvt_f16_f32_e32 v27, v75
	;; [unrolled: 1-line block ×4, first 2 shown]
	v_cvt_f32_f16_e32 v74, v26
	v_cvt_f32_f16_e32 v75, v27
	v_perm_b32 v27, v118, v91, s0
	v_perm_b32 v26, v133, v126, s0
	v_cvt_f32_f16_e32 v76, v64
	v_cvt_f32_f16_e32 v77, v77
	v_pk_mul_f16 v64, v106, v73
	v_add_f32_e32 v68, v68, v79
	v_mfma_f32_16x16x16_f16 v[24:27], v[26:27], v[46:47], v[74:77]
	v_add_f32_e32 v68, v72, v68
	v_fmac_f32_e32 v68, v66, v69
	s_nop 0
	v_cvt_f32_f16_e32 v74, v64
	v_cvt_f32_f16_sdwa v75, v64 dst_sel:DWORD dst_unused:UNUSED_PAD src0_sel:WORD_1
	v_perm_b32 v64, v85, v82, s0
	v_cvt_f32_f16_e32 v76, v84
	v_cvt_f32_f16_sdwa v77, v84 dst_sel:DWORD dst_unused:UNUSED_PAD src0_sel:WORD_1
	s_nop 1
	v_mfma_f32_16x16x16_f16 v[74:77], v[64:65], v[44:45], v[74:77]
	s_nop 7
	v_cvt_f16_f32_e32 v32, v74
	v_cvt_f16_f32_e32 v33, v75
	;; [unrolled: 1-line block ×4, first 2 shown]
	v_cvt_f32_f16_e32 v74, v32
	v_cvt_f32_f16_e32 v75, v33
	v_perm_b32 v33, v119, v92, s0
	v_perm_b32 v32, v134, v127, s0
	v_cvt_f32_f16_e32 v76, v64
	v_cvt_f32_f16_e32 v77, v65
	v_pk_mul_f16 v64, v104, v73
	v_pk_mul_f16 v73, v103, v73
	v_mfma_f32_16x16x16_f16 v[32:35], v[32:33], v[46:47], v[74:77]
	v_perm_b32 v65, v80, v78, s0
	s_nop 1
	v_cvt_f32_f16_e32 v74, v64
	v_cvt_f32_f16_sdwa v75, v64 dst_sel:DWORD dst_unused:UNUSED_PAD src0_sel:WORD_1
	v_perm_b32 v64, v86, v83, s0
	v_cvt_f32_f16_e32 v76, v73
	v_cvt_f32_f16_sdwa v77, v73 dst_sel:DWORD dst_unused:UNUSED_PAD src0_sel:WORD_1
	s_nop 1
	v_mfma_f32_16x16x16_f16 v[72:75], v[64:65], v[44:45], v[74:77]
	s_nop 7
	v_cvt_f16_f32_e32 v64, v74
	v_cvt_f16_f32_e32 v44, v72
	;; [unrolled: 1-line block ×4, first 2 shown]
	v_cvt_f32_f16_e32 v74, v64
	ds_bpermute_b32 v64, v71, v68
	v_cvt_f32_f16_e32 v72, v44
	v_cvt_f32_f16_e32 v73, v45
	v_perm_b32 v45, v120, v93, s0
	v_perm_b32 v44, v135, v128, s0
	v_cvt_f32_f16_e32 v75, v65
	s_waitcnt lgkmcnt(0)
	v_add_f32_e32 v64, v68, v64
	ds_bpermute_b32 v65, v67, v64
	v_mfma_f32_16x16x16_f16 v[44:47], v[44:45], v[46:47], v[72:75]
	v_cmp_gt_u32_e64 s[0:1], 16, v98
	s_and_saveexec_b64 s[4:5], s[0:1]
	s_cbranch_execz .LBB30_668
; %bb.667:
	s_waitcnt lgkmcnt(0)
	v_add_f32_e32 v64, v64, v65
	v_or_b32_e32 v65, v102, v98
	s_movk_i32 s3, 0x110
	v_mad_i32_i24 v65, v65, s3, 0
	ds_write2_b32 v65, v70, v64 offset0:64 offset1:65
.LBB30_668:
	s_or_b64 exec, exec, s[4:5]
	v_and_b32_e32 v64, 1, v109
	v_cmp_eq_u32_e32 vcc, 0, v64
	v_cmp_eq_u32_e64 s[4:5], 1, v64
	s_waitcnt lgkmcnt(0)
	s_barrier
	s_and_saveexec_b64 s[6:7], s[4:5]
	s_xor_b64 s[4:5], exec, s[6:7]
	s_cbranch_execz .LBB30_670
; %bb.669:
	s_barrier
                                        ; implicit-def: $vgpr121
                                        ; implicit-def: $vgpr67
.LBB30_670:
	s_andn2_saveexec_b64 s[6:7], s[4:5]
	s_cbranch_execz .LBB30_676
; %bb.671:
	v_and_b32_e32 v64, 31, v98
	v_add_u32_e32 v65, v102, v64
	s_movk_i32 s3, 0x110
	v_mad_i32_i24 v64, v65, s3, 0
	ds_read_b64 v[68:69], v64 offset:256
	s_mov_b32 s3, 0x3fb8aa3b
	s_mov_b32 s8, 0x42b17218
	s_waitcnt lgkmcnt(0)
	s_barrier
	ds_bpermute_b32 v64, v67, v68
	v_max_f32_e32 v66, v68, v68
	s_waitcnt lgkmcnt(0)
	v_max_f32_e32 v64, v64, v64
	v_max_f32_e32 v64, v66, v64
	v_sub_f32_e32 v66, v68, v64
	v_mul_f32_e32 v68, 0x3fb8aa3b, v66
	v_fma_f32 v70, v66, s3, -v68
	v_rndne_f32_e32 v71, v68
	v_fmamk_f32 v70, v66, 0x32a5705f, v70
	v_sub_f32_e32 v68, v68, v71
	v_add_f32_e32 v68, v68, v70
	v_cvt_i32_f32_e32 v71, v71
	v_exp_f32_e32 v68, v68
	s_mov_b32 s3, 0xc2ce8ed0
	v_cmp_ngt_f32_e64 s[4:5], s3, v66
	v_mov_b32_e32 v70, 0x7f800000
	v_ldexp_f32 v68, v68, v71
	v_cndmask_b32_e64 v68, 0, v68, s[4:5]
	v_cmp_nlt_f32_e64 s[4:5], s8, v66
	s_nop 1
	v_cndmask_b32_e64 v66, v70, v68, s[4:5]
	v_mul_f32_e32 v68, v69, v66
	ds_bpermute_b32 v67, v67, v68
	v_cmp_gt_u32_e64 s[4:5], 32, v98
	s_waitcnt lgkmcnt(0)
	v_fmac_f32_e32 v67, v69, v66
	s_and_saveexec_b64 s[8:9], s[4:5]
; %bb.672:
	v_mul_i32_i24_e32 v65, 0x110, v65
	v_add_u32_e32 v65, 0, v65
	ds_write_b64 v65, v[66:67] offset:256
; %bb.673:
	s_or_b64 exec, exec, s[8:9]
	s_and_saveexec_b64 s[4:5], s[0:1]
	s_cbranch_execz .LBB30_675
; %bb.674:
	s_add_i32 s0, s33, s2
	s_lshl_b32 s0, s0, 6
	s_mov_b32 s1, 0
	s_lshl_b64 s[0:1], s[0:1], 3
	s_add_u32 s0, s30, s0
	v_or_b32_e32 v65, v121, v98
	s_addc_u32 s1, s31, s1
	v_lshlrev_b32_e32 v66, 3, v65
	v_mov_b32_e32 v65, v67
	global_store_dwordx2 v66, v[64:65], s[0:1]
.LBB30_675:
	s_or_b64 exec, exec, s[4:5]
.LBB30_676:
	s_or_b64 exec, exec, s[6:7]
	s_mov_b32 s3, 0
	s_lshl_b32 s2, s2, 13
	v_cvt_pk_f16_f32 v22, v22, v23
	v_cvt_pk_f16_f32 v23, v20, v21
	v_or_b32_e32 v20, v102, v100
	s_lshl_b64 s[0:1], s[2:3], 3
	v_mul_i32_i24_e32 v20, 0x110, v20
	s_add_u32 s5, s30, s0
	s_movk_i32 s6, 0x110
	v_add3_u32 v21, 0, v20, v101
	s_addc_u32 s4, s31, s1
	v_lshrrev_b32_e32 v20, 1, v109
	v_cvt_pk_f16_f32 v30, v30, v31
	v_cvt_pk_f16_f32 v28, v28, v29
	;; [unrolled: 1-line block ×14, first 2 shown]
	ds_write2_b32 v21, v23, v22 offset1:1
	ds_write2_b32 v21, v28, v30 offset0:8 offset1:9
	ds_write2_b32 v21, v31, v29 offset0:16 offset1:17
	;; [unrolled: 1-line block ×7, first 2 shown]
	s_waitcnt lgkmcnt(0)
	s_barrier
	s_and_saveexec_b64 s[0:1], vcc
	s_cbranch_execz .LBB30_678
; %bb.677:
	v_bfe_u32 v36, v109, 1, 4
	s_movk_i32 s7, 0x3e0
	v_and_or_b32 v28, v109, s7, v36
	v_mad_u32_u24 v22, v28, s6, v99
	ds_read2st64_b32 v[22:23], v22 offset1:17
	s_load_dword s2, s[14:15], 0x10
	v_mad_u32_u24 v28, v28, s6, 0
	ds_read2st64_b32 v[28:29], v28 offset0:1 offset1:18
	s_movk_i32 s7, 0x7e0
	s_waitcnt lgkmcnt(0)
	v_cvt_f32_f16_e32 v30, v22
	v_cvt_f32_f16_sdwa v31, v22 dst_sel:DWORD dst_unused:UNUSED_PAD src0_sel:WORD_1
	v_cvt_f32_f16_e32 v22, v23
	v_cvt_f32_f16_sdwa v23, v23 dst_sel:DWORD dst_unused:UNUSED_PAD src0_sel:WORD_1
	s_lshr_b32 s2, s2, 16
	s_cmp_lg_u32 s2, 0
	v_pk_fma_f32 v[30:31], v[28:29], v[30:31], 0 op_sel_hi:[0,1,0]
	v_mov_b32_e32 v28, v29
	s_cselect_b64 s[8:9], -1, 0
	v_pk_fma_f32 v[22:23], v[28:29], v[22:23], v[30:31] op_sel_hi:[0,1,1]
	v_add_u32_e32 v30, 4, v20
	s_cmp_lg_u64 s[8:9], 0
	v_lshlrev_b32_e32 v28, 1, v30
	v_and_b32_e32 v29, 15, v30
	s_addc_u32 s2, s33, 0
	v_and_or_b32 v31, v28, s7, v29
	s_lshl_b32 s2, s2, 7
	v_mad_u32_u24 v28, v31, s6, v99
	s_lshl_b64 s[2:3], s[2:3], 3
	ds_read2st64_b32 v[28:29], v28 offset1:17
	s_add_u32 s2, s5, s2
	v_lshlrev_b32_e32 v37, 6, v109
	s_addc_u32 s3, s4, s3
	v_add_lshl_u32 v37, v37, v98, 3
	global_store_dwordx2 v37, v[22:23], s[2:3]
	v_mad_u32_u24 v22, v31, s6, 0
	ds_read2st64_b32 v[22:23], v22 offset0:1 offset1:18
	v_lshlrev_b32_e32 v37, 7, v30
	s_waitcnt lgkmcnt(1)
	v_cvt_f32_f16_e32 v30, v28
	v_cvt_f32_f16_sdwa v31, v28 dst_sel:DWORD dst_unused:UNUSED_PAD src0_sel:WORD_1
	v_cvt_f32_f16_e32 v28, v29
	v_cvt_f32_f16_sdwa v29, v29 dst_sel:DWORD dst_unused:UNUSED_PAD src0_sel:WORD_1
	v_add_lshl_u32 v37, v37, v98, 3
	s_waitcnt lgkmcnt(0)
	v_pk_fma_f32 v[30:31], v[22:23], v[30:31], 0 op_sel_hi:[0,1,0]
	v_mov_b32_e32 v22, v23
	v_pk_fma_f32 v[22:23], v[22:23], v[28:29], v[30:31] op_sel_hi:[0,1,1]
	v_add_u32_e32 v30, 8, v20
	v_lshlrev_b32_e32 v28, 1, v30
	v_and_b32_e32 v29, 15, v30
	v_and_or_b32 v31, v28, s7, v29
	v_mad_u32_u24 v28, v31, s6, v99
	ds_read2st64_b32 v[28:29], v28 offset1:17
	global_store_dwordx2 v37, v[22:23], s[2:3]
	v_mad_u32_u24 v22, v31, s6, 0
	ds_read2st64_b32 v[22:23], v22 offset0:1 offset1:18
	v_lshlrev_b32_e32 v37, 7, v30
	s_waitcnt lgkmcnt(1)
	v_cvt_f32_f16_e32 v30, v28
	v_cvt_f32_f16_sdwa v31, v28 dst_sel:DWORD dst_unused:UNUSED_PAD src0_sel:WORD_1
	v_cvt_f32_f16_e32 v28, v29
	v_cvt_f32_f16_sdwa v29, v29 dst_sel:DWORD dst_unused:UNUSED_PAD src0_sel:WORD_1
	v_add_lshl_u32 v37, v37, v98, 3
	s_waitcnt lgkmcnt(0)
	v_pk_fma_f32 v[30:31], v[22:23], v[30:31], 0 op_sel_hi:[0,1,0]
	v_mov_b32_e32 v22, v23
	v_pk_fma_f32 v[22:23], v[22:23], v[28:29], v[30:31] op_sel_hi:[0,1,1]
	v_add_u32_e32 v30, 12, v20
	v_lshlrev_b32_e32 v28, 1, v30
	v_and_b32_e32 v29, 15, v30
	v_and_or_b32 v31, v28, s7, v29
	v_mad_u32_u24 v28, v31, s6, v99
	ds_read2st64_b32 v[28:29], v28 offset1:17
	global_store_dwordx2 v37, v[22:23], s[2:3]
	v_mad_u32_u24 v22, v31, s6, 0
	ds_read2st64_b32 v[22:23], v22 offset0:1 offset1:18
	v_lshlrev_b32_e32 v37, 7, v30
	s_waitcnt lgkmcnt(1)
	v_cvt_f32_f16_e32 v30, v28
	v_cvt_f32_f16_sdwa v31, v28 dst_sel:DWORD dst_unused:UNUSED_PAD src0_sel:WORD_1
	v_cvt_f32_f16_e32 v28, v29
	v_cvt_f32_f16_sdwa v29, v29 dst_sel:DWORD dst_unused:UNUSED_PAD src0_sel:WORD_1
	v_add_lshl_u32 v37, v37, v98, 3
	s_waitcnt lgkmcnt(0)
	v_pk_fma_f32 v[30:31], v[22:23], v[30:31], 0 op_sel_hi:[0,1,0]
	v_mov_b32_e32 v22, v23
	v_pk_fma_f32 v[22:23], v[22:23], v[28:29], v[30:31] op_sel_hi:[0,1,1]
	v_add_u32_e32 v30, 16, v20
	v_lshlrev_b32_e32 v28, 1, v30
	v_and_or_b32 v31, v28, s7, v36
	v_mad_u32_u24 v28, v31, s6, v99
	ds_read2st64_b32 v[28:29], v28 offset1:17
	global_store_dwordx2 v37, v[22:23], s[2:3]
	v_mad_u32_u24 v22, v31, s6, 0
	ds_read2st64_b32 v[22:23], v22 offset0:1 offset1:18
	v_lshlrev_b32_e32 v37, 7, v30
	s_waitcnt lgkmcnt(1)
	v_cvt_f32_f16_e32 v30, v28
	v_cvt_f32_f16_sdwa v31, v28 dst_sel:DWORD dst_unused:UNUSED_PAD src0_sel:WORD_1
	v_cvt_f32_f16_e32 v28, v29
	v_cvt_f32_f16_sdwa v29, v29 dst_sel:DWORD dst_unused:UNUSED_PAD src0_sel:WORD_1
	v_add_lshl_u32 v37, v37, v98, 3
	s_waitcnt lgkmcnt(0)
	v_pk_fma_f32 v[30:31], v[22:23], v[30:31], 0 op_sel_hi:[0,1,0]
	v_mov_b32_e32 v22, v23
	v_pk_fma_f32 v[22:23], v[22:23], v[28:29], v[30:31] op_sel_hi:[0,1,1]
	v_add_u32_e32 v30, 20, v20
	v_lshlrev_b32_e32 v28, 1, v30
	v_and_b32_e32 v29, 15, v30
	v_and_or_b32 v31, v28, s7, v29
	v_mad_u32_u24 v28, v31, s6, v99
	ds_read2st64_b32 v[28:29], v28 offset1:17
	global_store_dwordx2 v37, v[22:23], s[2:3]
	v_mad_u32_u24 v22, v31, s6, 0
	ds_read2st64_b32 v[22:23], v22 offset0:1 offset1:18
	v_lshlrev_b32_e32 v37, 7, v30
	s_waitcnt lgkmcnt(1)
	v_cvt_f32_f16_e32 v30, v28
	v_cvt_f32_f16_sdwa v31, v28 dst_sel:DWORD dst_unused:UNUSED_PAD src0_sel:WORD_1
	v_cvt_f32_f16_e32 v28, v29
	v_cvt_f32_f16_sdwa v29, v29 dst_sel:DWORD dst_unused:UNUSED_PAD src0_sel:WORD_1
	v_add_lshl_u32 v37, v37, v98, 3
	s_waitcnt lgkmcnt(0)
	v_pk_fma_f32 v[30:31], v[22:23], v[30:31], 0 op_sel_hi:[0,1,0]
	v_mov_b32_e32 v22, v23
	v_pk_fma_f32 v[22:23], v[22:23], v[28:29], v[30:31] op_sel_hi:[0,1,1]
	v_add_u32_e32 v30, 24, v20
	v_lshlrev_b32_e32 v28, 1, v30
	v_and_b32_e32 v29, 15, v30
	;; [unrolled: 20-line block ×3, first 2 shown]
	v_and_or_b32 v31, v28, s7, v29
	v_mad_u32_u24 v28, v31, s6, v99
	ds_read2st64_b32 v[28:29], v28 offset1:17
	global_store_dwordx2 v37, v[22:23], s[2:3]
	v_mad_u32_u24 v22, v31, s6, 0
	ds_read2st64_b32 v[22:23], v22 offset0:1 offset1:18
	v_lshlrev_b32_e32 v37, 7, v30
	s_waitcnt lgkmcnt(1)
	v_cvt_f32_f16_e32 v30, v28
	v_cvt_f32_f16_sdwa v31, v28 dst_sel:DWORD dst_unused:UNUSED_PAD src0_sel:WORD_1
	v_cvt_f32_f16_e32 v28, v29
	v_cvt_f32_f16_sdwa v29, v29 dst_sel:DWORD dst_unused:UNUSED_PAD src0_sel:WORD_1
	v_add_lshl_u32 v37, v37, v98, 3
	s_waitcnt lgkmcnt(0)
	v_pk_fma_f32 v[30:31], v[22:23], v[30:31], 0 op_sel_hi:[0,1,0]
	v_mov_b32_e32 v22, v23
	v_pk_fma_f32 v[22:23], v[22:23], v[28:29], v[30:31] op_sel_hi:[0,1,1]
	v_add_u32_e32 v30, 32, v20
	v_lshlrev_b32_e32 v28, 1, v30
	v_and_or_b32 v31, v28, s7, v36
	v_mad_u32_u24 v28, v31, s6, v99
	ds_read2st64_b32 v[28:29], v28 offset1:17
	global_store_dwordx2 v37, v[22:23], s[2:3]
	v_mad_u32_u24 v22, v31, s6, 0
	ds_read2st64_b32 v[22:23], v22 offset0:1 offset1:18
	v_lshlrev_b32_e32 v37, 7, v30
	s_waitcnt lgkmcnt(1)
	v_cvt_f32_f16_e32 v30, v28
	v_cvt_f32_f16_sdwa v31, v28 dst_sel:DWORD dst_unused:UNUSED_PAD src0_sel:WORD_1
	v_cvt_f32_f16_e32 v28, v29
	v_cvt_f32_f16_sdwa v29, v29 dst_sel:DWORD dst_unused:UNUSED_PAD src0_sel:WORD_1
	v_add_lshl_u32 v37, v37, v98, 3
	s_waitcnt lgkmcnt(0)
	v_pk_fma_f32 v[30:31], v[22:23], v[30:31], 0 op_sel_hi:[0,1,0]
	v_mov_b32_e32 v22, v23
	v_pk_fma_f32 v[22:23], v[22:23], v[28:29], v[30:31] op_sel_hi:[0,1,1]
	v_add_u32_e32 v30, 36, v20
	v_lshlrev_b32_e32 v28, 1, v30
	v_and_b32_e32 v29, 15, v30
	v_and_or_b32 v31, v28, s7, v29
	v_mad_u32_u24 v28, v31, s6, v99
	ds_read2st64_b32 v[28:29], v28 offset1:17
	global_store_dwordx2 v37, v[22:23], s[2:3]
	v_mad_u32_u24 v22, v31, s6, 0
	ds_read2st64_b32 v[22:23], v22 offset0:1 offset1:18
	v_lshlrev_b32_e32 v37, 7, v30
	s_waitcnt lgkmcnt(1)
	v_cvt_f32_f16_e32 v30, v28
	v_cvt_f32_f16_sdwa v31, v28 dst_sel:DWORD dst_unused:UNUSED_PAD src0_sel:WORD_1
	v_cvt_f32_f16_e32 v28, v29
	v_cvt_f32_f16_sdwa v29, v29 dst_sel:DWORD dst_unused:UNUSED_PAD src0_sel:WORD_1
	v_add_lshl_u32 v37, v37, v98, 3
	s_waitcnt lgkmcnt(0)
	v_pk_fma_f32 v[30:31], v[22:23], v[30:31], 0 op_sel_hi:[0,1,0]
	v_mov_b32_e32 v22, v23
	v_pk_fma_f32 v[22:23], v[22:23], v[28:29], v[30:31] op_sel_hi:[0,1,1]
	v_add_u32_e32 v30, 40, v20
	v_lshlrev_b32_e32 v28, 1, v30
	v_and_b32_e32 v29, 15, v30
	;; [unrolled: 20-line block ×3, first 2 shown]
	v_and_or_b32 v31, v28, s7, v29
	v_mad_u32_u24 v28, v31, s6, v99
	ds_read2st64_b32 v[28:29], v28 offset1:17
	global_store_dwordx2 v37, v[22:23], s[2:3]
	v_mad_u32_u24 v22, v31, s6, 0
	ds_read2st64_b32 v[22:23], v22 offset0:1 offset1:18
	v_lshlrev_b32_e32 v37, 7, v30
	s_waitcnt lgkmcnt(1)
	v_cvt_f32_f16_e32 v30, v28
	v_cvt_f32_f16_sdwa v31, v28 dst_sel:DWORD dst_unused:UNUSED_PAD src0_sel:WORD_1
	v_cvt_f32_f16_e32 v28, v29
	v_cvt_f32_f16_sdwa v29, v29 dst_sel:DWORD dst_unused:UNUSED_PAD src0_sel:WORD_1
	v_add_lshl_u32 v37, v37, v98, 3
	s_waitcnt lgkmcnt(0)
	v_pk_fma_f32 v[30:31], v[22:23], v[30:31], 0 op_sel_hi:[0,1,0]
	v_mov_b32_e32 v22, v23
	v_pk_fma_f32 v[22:23], v[22:23], v[28:29], v[30:31] op_sel_hi:[0,1,1]
	v_add_u32_e32 v30, 48, v20
	v_lshlrev_b32_e32 v28, 1, v30
	v_and_or_b32 v31, v28, s7, v36
	v_mad_u32_u24 v28, v31, s6, v99
	ds_read2st64_b32 v[28:29], v28 offset1:17
	global_store_dwordx2 v37, v[22:23], s[2:3]
	v_mad_u32_u24 v22, v31, s6, 0
	ds_read2st64_b32 v[22:23], v22 offset0:1 offset1:18
	v_lshlrev_b32_e32 v36, 7, v30
	s_waitcnt lgkmcnt(1)
	v_cvt_f32_f16_e32 v30, v28
	v_cvt_f32_f16_sdwa v31, v28 dst_sel:DWORD dst_unused:UNUSED_PAD src0_sel:WORD_1
	v_cvt_f32_f16_e32 v28, v29
	v_cvt_f32_f16_sdwa v29, v29 dst_sel:DWORD dst_unused:UNUSED_PAD src0_sel:WORD_1
	v_add_lshl_u32 v36, v36, v98, 3
	s_waitcnt lgkmcnt(0)
	v_pk_fma_f32 v[30:31], v[22:23], v[30:31], 0 op_sel_hi:[0,1,0]
	v_mov_b32_e32 v22, v23
	v_pk_fma_f32 v[22:23], v[22:23], v[28:29], v[30:31] op_sel_hi:[0,1,1]
	v_add_u32_e32 v30, 52, v20
	v_lshlrev_b32_e32 v28, 1, v30
	v_and_b32_e32 v29, 15, v30
	v_and_or_b32 v31, v28, s7, v29
	v_mad_u32_u24 v28, v31, s6, v99
	ds_read2st64_b32 v[28:29], v28 offset1:17
	global_store_dwordx2 v36, v[22:23], s[2:3]
	v_mad_u32_u24 v22, v31, s6, 0
	ds_read2st64_b32 v[22:23], v22 offset0:1 offset1:18
	v_lshlrev_b32_e32 v36, 7, v30
	s_waitcnt lgkmcnt(1)
	v_cvt_f32_f16_e32 v30, v28
	v_cvt_f32_f16_sdwa v31, v28 dst_sel:DWORD dst_unused:UNUSED_PAD src0_sel:WORD_1
	v_cvt_f32_f16_e32 v28, v29
	v_cvt_f32_f16_sdwa v29, v29 dst_sel:DWORD dst_unused:UNUSED_PAD src0_sel:WORD_1
	v_add_lshl_u32 v36, v36, v98, 3
	s_waitcnt lgkmcnt(0)
	v_pk_fma_f32 v[30:31], v[22:23], v[30:31], 0 op_sel_hi:[0,1,0]
	v_mov_b32_e32 v22, v23
	v_pk_fma_f32 v[22:23], v[22:23], v[28:29], v[30:31] op_sel_hi:[0,1,1]
	v_add_u32_e32 v30, 56, v20
	v_lshlrev_b32_e32 v28, 1, v30
	v_and_b32_e32 v29, 15, v30
	;; [unrolled: 20-line block ×3, first 2 shown]
	v_and_or_b32 v31, v28, s7, v29
	v_mad_u32_u24 v28, v31, s6, v99
	ds_read2st64_b32 v[28:29], v28 offset1:17
	global_store_dwordx2 v36, v[22:23], s[2:3]
	v_mad_u32_u24 v22, v31, s6, 0
	ds_read2st64_b32 v[22:23], v22 offset0:1 offset1:18
	v_lshlrev_b32_e32 v36, 7, v30
	s_waitcnt lgkmcnt(1)
	v_cvt_f32_f16_e32 v30, v28
	v_cvt_f32_f16_sdwa v31, v28 dst_sel:DWORD dst_unused:UNUSED_PAD src0_sel:WORD_1
	v_cvt_f32_f16_e32 v28, v29
	v_cvt_f32_f16_sdwa v29, v29 dst_sel:DWORD dst_unused:UNUSED_PAD src0_sel:WORD_1
	v_add_lshl_u32 v36, v36, v98, 3
	s_waitcnt lgkmcnt(0)
	v_pk_fma_f32 v[30:31], v[22:23], v[30:31], 0 op_sel_hi:[0,1,0]
	v_mov_b32_e32 v22, v23
	v_pk_fma_f32 v[22:23], v[22:23], v[28:29], v[30:31] op_sel_hi:[0,1,1]
	global_store_dwordx2 v36, v[22:23], s[2:3]
.LBB30_678:
	s_or_b64 exec, exec, s[0:1]
	v_cvt_pk_f16_f32 v2, v2, v3
	v_cvt_pk_f16_f32 v0, v0, v1
	;; [unrolled: 1-line block ×16, first 2 shown]
	s_barrier
	ds_write2_b32 v21, v0, v2 offset1:1
	ds_write2_b32 v21, v3, v1 offset0:8 offset1:9
	ds_write2_b32 v21, v5, v4 offset0:16 offset1:17
	;; [unrolled: 1-line block ×7, first 2 shown]
	s_waitcnt lgkmcnt(0)
	s_barrier
	s_and_saveexec_b64 s[0:1], vcc
	s_cbranch_execz .LBB30_680
; %bb.679:
	s_load_dword s2, s[14:15], 0x10
	v_bfe_u32 v6, v109, 1, 4
	s_movk_i32 s6, 0x3e0
	v_and_or_b32 v2, v109, s6, v6
	s_mov_b32 s3, 0
	s_waitcnt lgkmcnt(0)
	s_lshr_b32 s2, s2, 16
	s_cmp_lg_u32 s2, 0
	s_cselect_b64 s[6:7], -1, 0
	s_cmp_lg_u64 s[6:7], 0
	s_addc_u32 s2, s33, 0
	s_lshl_b32 s2, s2, 7
	s_lshl_b64 s[2:3], s[2:3], 3
	s_add_u32 s2, s5, s2
	s_movk_i32 s5, 0x110
	v_mad_u32_u24 v0, v2, s5, v99
	ds_read2st64_b32 v[0:1], v0 offset1:17
	v_mad_u32_u24 v2, v2, s5, 0
	ds_read2st64_b32 v[2:3], v2 offset0:1 offset1:18
	s_addc_u32 s3, s4, s3
	s_movk_i32 s4, 0x7e0
	s_waitcnt lgkmcnt(1)
	v_cvt_f32_f16_e32 v4, v0
	v_cvt_f32_f16_sdwa v5, v0 dst_sel:DWORD dst_unused:UNUSED_PAD src0_sel:WORD_1
	v_cvt_f32_f16_e32 v0, v1
	v_cvt_f32_f16_sdwa v1, v1 dst_sel:DWORD dst_unused:UNUSED_PAD src0_sel:WORD_1
	v_lshlrev_b32_e32 v7, 6, v109
	s_waitcnt lgkmcnt(0)
	v_pk_fma_f32 v[4:5], v[2:3], v[4:5], 0 op_sel_hi:[0,1,0]
	v_mov_b32_e32 v2, v3
	v_pk_fma_f32 v[0:1], v[2:3], v[0:1], v[4:5] op_sel_hi:[0,1,1]
	v_add_u32_e32 v4, 4, v20
	v_lshlrev_b32_e32 v2, 1, v4
	v_and_b32_e32 v3, 15, v4
	v_and_or_b32 v5, v2, s4, v3
	v_mad_u32_u24 v2, v5, s5, v99
	ds_read2st64_b32 v[2:3], v2 offset1:17
	v_add_lshl_u32 v7, v98, v7, 3
	global_store_dwordx2 v7, v[0:1], s[2:3] offset:512
	v_mad_u32_u24 v0, v5, s5, 0
	ds_read2st64_b32 v[0:1], v0 offset0:1 offset1:18
	v_lshlrev_b32_e32 v7, 7, v4
	s_waitcnt lgkmcnt(1)
	v_cvt_f32_f16_e32 v4, v2
	v_cvt_f32_f16_sdwa v5, v2 dst_sel:DWORD dst_unused:UNUSED_PAD src0_sel:WORD_1
	v_cvt_f32_f16_e32 v2, v3
	v_cvt_f32_f16_sdwa v3, v3 dst_sel:DWORD dst_unused:UNUSED_PAD src0_sel:WORD_1
	v_add_lshl_u32 v7, v98, v7, 3
	s_waitcnt lgkmcnt(0)
	v_pk_fma_f32 v[4:5], v[0:1], v[4:5], 0 op_sel_hi:[0,1,0]
	v_mov_b32_e32 v0, v1
	v_pk_fma_f32 v[0:1], v[0:1], v[2:3], v[4:5] op_sel_hi:[0,1,1]
	v_add_u32_e32 v4, 8, v20
	v_lshlrev_b32_e32 v2, 1, v4
	v_and_b32_e32 v3, 15, v4
	v_and_or_b32 v5, v2, s4, v3
	v_mad_u32_u24 v2, v5, s5, v99
	ds_read2st64_b32 v[2:3], v2 offset1:17
	global_store_dwordx2 v7, v[0:1], s[2:3] offset:512
	v_mad_u32_u24 v0, v5, s5, 0
	ds_read2st64_b32 v[0:1], v0 offset0:1 offset1:18
	v_lshlrev_b32_e32 v7, 7, v4
	s_waitcnt lgkmcnt(1)
	v_cvt_f32_f16_e32 v4, v2
	v_cvt_f32_f16_sdwa v5, v2 dst_sel:DWORD dst_unused:UNUSED_PAD src0_sel:WORD_1
	v_cvt_f32_f16_e32 v2, v3
	v_cvt_f32_f16_sdwa v3, v3 dst_sel:DWORD dst_unused:UNUSED_PAD src0_sel:WORD_1
	v_add_lshl_u32 v7, v98, v7, 3
	s_waitcnt lgkmcnt(0)
	v_pk_fma_f32 v[4:5], v[0:1], v[4:5], 0 op_sel_hi:[0,1,0]
	v_mov_b32_e32 v0, v1
	v_pk_fma_f32 v[0:1], v[0:1], v[2:3], v[4:5] op_sel_hi:[0,1,1]
	v_add_u32_e32 v4, 12, v20
	v_lshlrev_b32_e32 v2, 1, v4
	v_and_b32_e32 v3, 15, v4
	v_and_or_b32 v5, v2, s4, v3
	v_mad_u32_u24 v2, v5, s5, v99
	ds_read2st64_b32 v[2:3], v2 offset1:17
	global_store_dwordx2 v7, v[0:1], s[2:3] offset:512
	v_mad_u32_u24 v0, v5, s5, 0
	ds_read2st64_b32 v[0:1], v0 offset0:1 offset1:18
	v_lshlrev_b32_e32 v7, 7, v4
	s_waitcnt lgkmcnt(1)
	v_cvt_f32_f16_e32 v4, v2
	v_cvt_f32_f16_sdwa v5, v2 dst_sel:DWORD dst_unused:UNUSED_PAD src0_sel:WORD_1
	v_cvt_f32_f16_e32 v2, v3
	v_cvt_f32_f16_sdwa v3, v3 dst_sel:DWORD dst_unused:UNUSED_PAD src0_sel:WORD_1
	v_add_lshl_u32 v7, v98, v7, 3
	s_waitcnt lgkmcnt(0)
	v_pk_fma_f32 v[4:5], v[0:1], v[4:5], 0 op_sel_hi:[0,1,0]
	v_mov_b32_e32 v0, v1
	v_pk_fma_f32 v[0:1], v[0:1], v[2:3], v[4:5] op_sel_hi:[0,1,1]
	v_add_u32_e32 v4, 16, v20
	v_lshlrev_b32_e32 v2, 1, v4
	v_and_or_b32 v5, v2, s4, v6
	v_mad_u32_u24 v2, v5, s5, v99
	ds_read2st64_b32 v[2:3], v2 offset1:17
	global_store_dwordx2 v7, v[0:1], s[2:3] offset:512
	v_mad_u32_u24 v0, v5, s5, 0
	ds_read2st64_b32 v[0:1], v0 offset0:1 offset1:18
	v_lshlrev_b32_e32 v7, 7, v4
	s_waitcnt lgkmcnt(1)
	v_cvt_f32_f16_e32 v4, v2
	v_cvt_f32_f16_sdwa v5, v2 dst_sel:DWORD dst_unused:UNUSED_PAD src0_sel:WORD_1
	v_cvt_f32_f16_e32 v2, v3
	v_cvt_f32_f16_sdwa v3, v3 dst_sel:DWORD dst_unused:UNUSED_PAD src0_sel:WORD_1
	v_add_lshl_u32 v7, v98, v7, 3
	s_waitcnt lgkmcnt(0)
	v_pk_fma_f32 v[4:5], v[0:1], v[4:5], 0 op_sel_hi:[0,1,0]
	v_mov_b32_e32 v0, v1
	v_pk_fma_f32 v[0:1], v[0:1], v[2:3], v[4:5] op_sel_hi:[0,1,1]
	v_add_u32_e32 v4, 20, v20
	v_lshlrev_b32_e32 v2, 1, v4
	v_and_b32_e32 v3, 15, v4
	v_and_or_b32 v5, v2, s4, v3
	v_mad_u32_u24 v2, v5, s5, v99
	ds_read2st64_b32 v[2:3], v2 offset1:17
	global_store_dwordx2 v7, v[0:1], s[2:3] offset:512
	v_mad_u32_u24 v0, v5, s5, 0
	ds_read2st64_b32 v[0:1], v0 offset0:1 offset1:18
	v_lshlrev_b32_e32 v7, 7, v4
	s_waitcnt lgkmcnt(1)
	v_cvt_f32_f16_e32 v4, v2
	v_cvt_f32_f16_sdwa v5, v2 dst_sel:DWORD dst_unused:UNUSED_PAD src0_sel:WORD_1
	v_cvt_f32_f16_e32 v2, v3
	v_cvt_f32_f16_sdwa v3, v3 dst_sel:DWORD dst_unused:UNUSED_PAD src0_sel:WORD_1
	v_add_lshl_u32 v7, v98, v7, 3
	s_waitcnt lgkmcnt(0)
	v_pk_fma_f32 v[4:5], v[0:1], v[4:5], 0 op_sel_hi:[0,1,0]
	v_mov_b32_e32 v0, v1
	v_pk_fma_f32 v[0:1], v[0:1], v[2:3], v[4:5] op_sel_hi:[0,1,1]
	v_add_u32_e32 v4, 24, v20
	v_lshlrev_b32_e32 v2, 1, v4
	v_and_b32_e32 v3, 15, v4
	;; [unrolled: 20-line block ×3, first 2 shown]
	v_and_or_b32 v5, v2, s4, v3
	v_mad_u32_u24 v2, v5, s5, v99
	ds_read2st64_b32 v[2:3], v2 offset1:17
	global_store_dwordx2 v7, v[0:1], s[2:3] offset:512
	v_mad_u32_u24 v0, v5, s5, 0
	ds_read2st64_b32 v[0:1], v0 offset0:1 offset1:18
	v_lshlrev_b32_e32 v7, 7, v4
	s_waitcnt lgkmcnt(1)
	v_cvt_f32_f16_e32 v4, v2
	v_cvt_f32_f16_sdwa v5, v2 dst_sel:DWORD dst_unused:UNUSED_PAD src0_sel:WORD_1
	v_cvt_f32_f16_e32 v2, v3
	v_cvt_f32_f16_sdwa v3, v3 dst_sel:DWORD dst_unused:UNUSED_PAD src0_sel:WORD_1
	v_add_lshl_u32 v7, v98, v7, 3
	s_waitcnt lgkmcnt(0)
	v_pk_fma_f32 v[4:5], v[0:1], v[4:5], 0 op_sel_hi:[0,1,0]
	v_mov_b32_e32 v0, v1
	v_pk_fma_f32 v[0:1], v[0:1], v[2:3], v[4:5] op_sel_hi:[0,1,1]
	v_add_u32_e32 v4, 32, v20
	v_lshlrev_b32_e32 v2, 1, v4
	v_and_or_b32 v5, v2, s4, v6
	v_mad_u32_u24 v2, v5, s5, v99
	ds_read2st64_b32 v[2:3], v2 offset1:17
	global_store_dwordx2 v7, v[0:1], s[2:3] offset:512
	v_mad_u32_u24 v0, v5, s5, 0
	ds_read2st64_b32 v[0:1], v0 offset0:1 offset1:18
	v_lshlrev_b32_e32 v7, 7, v4
	s_waitcnt lgkmcnt(1)
	v_cvt_f32_f16_e32 v4, v2
	v_cvt_f32_f16_sdwa v5, v2 dst_sel:DWORD dst_unused:UNUSED_PAD src0_sel:WORD_1
	v_cvt_f32_f16_e32 v2, v3
	v_cvt_f32_f16_sdwa v3, v3 dst_sel:DWORD dst_unused:UNUSED_PAD src0_sel:WORD_1
	v_add_lshl_u32 v7, v98, v7, 3
	s_waitcnt lgkmcnt(0)
	v_pk_fma_f32 v[4:5], v[0:1], v[4:5], 0 op_sel_hi:[0,1,0]
	v_mov_b32_e32 v0, v1
	v_pk_fma_f32 v[0:1], v[0:1], v[2:3], v[4:5] op_sel_hi:[0,1,1]
	v_add_u32_e32 v4, 36, v20
	v_lshlrev_b32_e32 v2, 1, v4
	v_and_b32_e32 v3, 15, v4
	v_and_or_b32 v5, v2, s4, v3
	v_mad_u32_u24 v2, v5, s5, v99
	ds_read2st64_b32 v[2:3], v2 offset1:17
	global_store_dwordx2 v7, v[0:1], s[2:3] offset:512
	v_mad_u32_u24 v0, v5, s5, 0
	ds_read2st64_b32 v[0:1], v0 offset0:1 offset1:18
	v_lshlrev_b32_e32 v7, 7, v4
	s_waitcnt lgkmcnt(1)
	v_cvt_f32_f16_e32 v4, v2
	v_cvt_f32_f16_sdwa v5, v2 dst_sel:DWORD dst_unused:UNUSED_PAD src0_sel:WORD_1
	v_cvt_f32_f16_e32 v2, v3
	v_cvt_f32_f16_sdwa v3, v3 dst_sel:DWORD dst_unused:UNUSED_PAD src0_sel:WORD_1
	v_add_lshl_u32 v7, v98, v7, 3
	s_waitcnt lgkmcnt(0)
	v_pk_fma_f32 v[4:5], v[0:1], v[4:5], 0 op_sel_hi:[0,1,0]
	v_mov_b32_e32 v0, v1
	v_pk_fma_f32 v[0:1], v[0:1], v[2:3], v[4:5] op_sel_hi:[0,1,1]
	v_add_u32_e32 v4, 40, v20
	v_lshlrev_b32_e32 v2, 1, v4
	v_and_b32_e32 v3, 15, v4
	;; [unrolled: 20-line block ×3, first 2 shown]
	v_and_or_b32 v5, v2, s4, v3
	v_mad_u32_u24 v2, v5, s5, v99
	ds_read2st64_b32 v[2:3], v2 offset1:17
	global_store_dwordx2 v7, v[0:1], s[2:3] offset:512
	v_mad_u32_u24 v0, v5, s5, 0
	ds_read2st64_b32 v[0:1], v0 offset0:1 offset1:18
	v_lshlrev_b32_e32 v7, 7, v4
	s_waitcnt lgkmcnt(1)
	v_cvt_f32_f16_e32 v4, v2
	v_cvt_f32_f16_sdwa v5, v2 dst_sel:DWORD dst_unused:UNUSED_PAD src0_sel:WORD_1
	v_cvt_f32_f16_e32 v2, v3
	v_cvt_f32_f16_sdwa v3, v3 dst_sel:DWORD dst_unused:UNUSED_PAD src0_sel:WORD_1
	v_add_lshl_u32 v7, v98, v7, 3
	s_waitcnt lgkmcnt(0)
	v_pk_fma_f32 v[4:5], v[0:1], v[4:5], 0 op_sel_hi:[0,1,0]
	v_mov_b32_e32 v0, v1
	v_pk_fma_f32 v[0:1], v[0:1], v[2:3], v[4:5] op_sel_hi:[0,1,1]
	v_add_u32_e32 v4, 48, v20
	v_lshlrev_b32_e32 v2, 1, v4
	v_and_or_b32 v5, v2, s4, v6
	v_mad_u32_u24 v2, v5, s5, v99
	ds_read2st64_b32 v[2:3], v2 offset1:17
	global_store_dwordx2 v7, v[0:1], s[2:3] offset:512
	v_mad_u32_u24 v0, v5, s5, 0
	ds_read2st64_b32 v[0:1], v0 offset0:1 offset1:18
	v_lshlrev_b32_e32 v6, 7, v4
	s_waitcnt lgkmcnt(1)
	v_cvt_f32_f16_e32 v4, v2
	v_cvt_f32_f16_sdwa v5, v2 dst_sel:DWORD dst_unused:UNUSED_PAD src0_sel:WORD_1
	v_cvt_f32_f16_e32 v2, v3
	v_cvt_f32_f16_sdwa v3, v3 dst_sel:DWORD dst_unused:UNUSED_PAD src0_sel:WORD_1
	v_add_lshl_u32 v6, v98, v6, 3
	s_waitcnt lgkmcnt(0)
	v_pk_fma_f32 v[4:5], v[0:1], v[4:5], 0 op_sel_hi:[0,1,0]
	v_mov_b32_e32 v0, v1
	v_pk_fma_f32 v[0:1], v[0:1], v[2:3], v[4:5] op_sel_hi:[0,1,1]
	v_add_u32_e32 v4, 52, v20
	v_lshlrev_b32_e32 v2, 1, v4
	v_and_b32_e32 v3, 15, v4
	v_and_or_b32 v5, v2, s4, v3
	v_mad_u32_u24 v2, v5, s5, v99
	ds_read2st64_b32 v[2:3], v2 offset1:17
	global_store_dwordx2 v6, v[0:1], s[2:3] offset:512
	v_mad_u32_u24 v0, v5, s5, 0
	ds_read2st64_b32 v[0:1], v0 offset0:1 offset1:18
	v_lshlrev_b32_e32 v6, 7, v4
	s_waitcnt lgkmcnt(1)
	v_cvt_f32_f16_e32 v4, v2
	v_cvt_f32_f16_sdwa v5, v2 dst_sel:DWORD dst_unused:UNUSED_PAD src0_sel:WORD_1
	v_cvt_f32_f16_e32 v2, v3
	v_cvt_f32_f16_sdwa v3, v3 dst_sel:DWORD dst_unused:UNUSED_PAD src0_sel:WORD_1
	v_add_lshl_u32 v6, v98, v6, 3
	s_waitcnt lgkmcnt(0)
	v_pk_fma_f32 v[4:5], v[0:1], v[4:5], 0 op_sel_hi:[0,1,0]
	v_mov_b32_e32 v0, v1
	v_pk_fma_f32 v[0:1], v[0:1], v[2:3], v[4:5] op_sel_hi:[0,1,1]
	v_add_u32_e32 v4, 56, v20
	v_lshlrev_b32_e32 v2, 1, v4
	v_and_b32_e32 v3, 15, v4
	;; [unrolled: 20-line block ×3, first 2 shown]
	v_and_or_b32 v5, v2, s4, v3
	v_mad_u32_u24 v2, v5, s5, v99
	ds_read2st64_b32 v[2:3], v2 offset1:17
	global_store_dwordx2 v6, v[0:1], s[2:3] offset:512
	v_mad_u32_u24 v0, v5, s5, 0
	ds_read2st64_b32 v[0:1], v0 offset0:1 offset1:18
	v_lshlrev_b32_e32 v6, 7, v4
	s_waitcnt lgkmcnt(1)
	v_cvt_f32_f16_e32 v4, v2
	v_cvt_f32_f16_sdwa v5, v2 dst_sel:DWORD dst_unused:UNUSED_PAD src0_sel:WORD_1
	v_cvt_f32_f16_e32 v2, v3
	v_cvt_f32_f16_sdwa v3, v3 dst_sel:DWORD dst_unused:UNUSED_PAD src0_sel:WORD_1
	v_add_lshl_u32 v6, v98, v6, 3
	s_waitcnt lgkmcnt(0)
	v_pk_fma_f32 v[4:5], v[0:1], v[4:5], 0 op_sel_hi:[0,1,0]
	v_mov_b32_e32 v0, v1
	v_pk_fma_f32 v[0:1], v[0:1], v[2:3], v[4:5] op_sel_hi:[0,1,1]
	global_store_dwordx2 v6, v[0:1], s[2:3] offset:512
.LBB30_680:
	s_or_b64 exec, exec, s[0:1]
	s_barrier
.LBB30_681:
	s_endpgm
	.section	.rodata,"a",@progbits
	.p2align	6, 0x0
	.amdhsa_kernel _ZL18flash_attn_ext_f16ILi256ELi256ELi16ELi4ELb1ELb0EEvPKcS1_S1_S1_S1_PKiPfP15HIP_vector_typeIfLj2EEffffjfiS5_IjLj3EEiiiiiiiiiiiliiliiiiil
		.amdhsa_group_segment_fixed_size 0
		.amdhsa_private_segment_fixed_size 72
		.amdhsa_kernarg_size 464
		.amdhsa_user_sgpr_count 2
		.amdhsa_user_sgpr_dispatch_ptr 0
		.amdhsa_user_sgpr_queue_ptr 0
		.amdhsa_user_sgpr_kernarg_segment_ptr 1
		.amdhsa_user_sgpr_dispatch_id 0
		.amdhsa_user_sgpr_kernarg_preload_length 0
		.amdhsa_user_sgpr_kernarg_preload_offset 0
		.amdhsa_user_sgpr_private_segment_size 0
		.amdhsa_uses_dynamic_stack 0
		.amdhsa_enable_private_segment 1
		.amdhsa_system_sgpr_workgroup_id_x 1
		.amdhsa_system_sgpr_workgroup_id_y 0
		.amdhsa_system_sgpr_workgroup_id_z 0
		.amdhsa_system_sgpr_workgroup_info 0
		.amdhsa_system_vgpr_workitem_id 1
		.amdhsa_next_free_vgpr 256
		.amdhsa_next_free_sgpr 99
		.amdhsa_accum_offset 256
		.amdhsa_reserve_vcc 1
		.amdhsa_float_round_mode_32 0
		.amdhsa_float_round_mode_16_64 0
		.amdhsa_float_denorm_mode_32 3
		.amdhsa_float_denorm_mode_16_64 3
		.amdhsa_dx10_clamp 1
		.amdhsa_ieee_mode 1
		.amdhsa_fp16_overflow 0
		.amdhsa_tg_split 0
		.amdhsa_exception_fp_ieee_invalid_op 0
		.amdhsa_exception_fp_denorm_src 0
		.amdhsa_exception_fp_ieee_div_zero 0
		.amdhsa_exception_fp_ieee_overflow 0
		.amdhsa_exception_fp_ieee_underflow 0
		.amdhsa_exception_fp_ieee_inexact 0
		.amdhsa_exception_int_div_zero 0
	.end_amdhsa_kernel
	.section	.text._ZL18flash_attn_ext_f16ILi256ELi256ELi16ELi4ELb1ELb0EEvPKcS1_S1_S1_S1_PKiPfP15HIP_vector_typeIfLj2EEffffjfiS5_IjLj3EEiiiiiiiiiiiliiliiiiil,"axG",@progbits,_ZL18flash_attn_ext_f16ILi256ELi256ELi16ELi4ELb1ELb0EEvPKcS1_S1_S1_S1_PKiPfP15HIP_vector_typeIfLj2EEffffjfiS5_IjLj3EEiiiiiiiiiiiliiliiiiil,comdat
.Lfunc_end30:
	.size	_ZL18flash_attn_ext_f16ILi256ELi256ELi16ELi4ELb1ELb0EEvPKcS1_S1_S1_S1_PKiPfP15HIP_vector_typeIfLj2EEffffjfiS5_IjLj3EEiiiiiiiiiiiliiliiiiil, .Lfunc_end30-_ZL18flash_attn_ext_f16ILi256ELi256ELi16ELi4ELb1ELb0EEvPKcS1_S1_S1_S1_PKiPfP15HIP_vector_typeIfLj2EEffffjfiS5_IjLj3EEiiiiiiiiiiiliiliiiiil
                                        ; -- End function
	.set _ZL18flash_attn_ext_f16ILi256ELi256ELi16ELi4ELb1ELb0EEvPKcS1_S1_S1_S1_PKiPfP15HIP_vector_typeIfLj2EEffffjfiS5_IjLj3EEiiiiiiiiiiiliiliiiiil.num_vgpr, 256
	.set _ZL18flash_attn_ext_f16ILi256ELi256ELi16ELi4ELb1ELb0EEvPKcS1_S1_S1_S1_PKiPfP15HIP_vector_typeIfLj2EEffffjfiS5_IjLj3EEiiiiiiiiiiiliiliiiiil.num_agpr, 0
	.set _ZL18flash_attn_ext_f16ILi256ELi256ELi16ELi4ELb1ELb0EEvPKcS1_S1_S1_S1_PKiPfP15HIP_vector_typeIfLj2EEffffjfiS5_IjLj3EEiiiiiiiiiiiliiliiiiil.numbered_sgpr, 99
	.set _ZL18flash_attn_ext_f16ILi256ELi256ELi16ELi4ELb1ELb0EEvPKcS1_S1_S1_S1_PKiPfP15HIP_vector_typeIfLj2EEffffjfiS5_IjLj3EEiiiiiiiiiiiliiliiiiil.num_named_barrier, 0
	.set _ZL18flash_attn_ext_f16ILi256ELi256ELi16ELi4ELb1ELb0EEvPKcS1_S1_S1_S1_PKiPfP15HIP_vector_typeIfLj2EEffffjfiS5_IjLj3EEiiiiiiiiiiiliiliiiiil.private_seg_size, 72
	.set _ZL18flash_attn_ext_f16ILi256ELi256ELi16ELi4ELb1ELb0EEvPKcS1_S1_S1_S1_PKiPfP15HIP_vector_typeIfLj2EEffffjfiS5_IjLj3EEiiiiiiiiiiiliiliiiiil.uses_vcc, 1
	.set _ZL18flash_attn_ext_f16ILi256ELi256ELi16ELi4ELb1ELb0EEvPKcS1_S1_S1_S1_PKiPfP15HIP_vector_typeIfLj2EEffffjfiS5_IjLj3EEiiiiiiiiiiiliiliiiiil.uses_flat_scratch, 0
	.set _ZL18flash_attn_ext_f16ILi256ELi256ELi16ELi4ELb1ELb0EEvPKcS1_S1_S1_S1_PKiPfP15HIP_vector_typeIfLj2EEffffjfiS5_IjLj3EEiiiiiiiiiiiliiliiiiil.has_dyn_sized_stack, 0
	.set _ZL18flash_attn_ext_f16ILi256ELi256ELi16ELi4ELb1ELb0EEvPKcS1_S1_S1_S1_PKiPfP15HIP_vector_typeIfLj2EEffffjfiS5_IjLj3EEiiiiiiiiiiiliiliiiiil.has_recursion, 0
	.set _ZL18flash_attn_ext_f16ILi256ELi256ELi16ELi4ELb1ELb0EEvPKcS1_S1_S1_S1_PKiPfP15HIP_vector_typeIfLj2EEffffjfiS5_IjLj3EEiiiiiiiiiiiliiliiiiil.has_indirect_call, 0
	.section	.AMDGPU.csdata,"",@progbits
; Kernel info:
; codeLenInByte = 78316
; TotalNumSgprs: 105
; NumVgprs: 256
; NumAgprs: 0
; TotalNumVgprs: 256
; ScratchSize: 72
; MemoryBound: 0
; FloatMode: 240
; IeeeMode: 1
; LDSByteSize: 0 bytes/workgroup (compile time only)
; SGPRBlocks: 13
; VGPRBlocks: 31
; NumSGPRsForWavesPerEU: 105
; NumVGPRsForWavesPerEU: 256
; AccumOffset: 256
; Occupancy: 2
; WaveLimiterHint : 1
; COMPUTE_PGM_RSRC2:SCRATCH_EN: 1
; COMPUTE_PGM_RSRC2:USER_SGPR: 2
; COMPUTE_PGM_RSRC2:TRAP_HANDLER: 0
; COMPUTE_PGM_RSRC2:TGID_X_EN: 1
; COMPUTE_PGM_RSRC2:TGID_Y_EN: 0
; COMPUTE_PGM_RSRC2:TGID_Z_EN: 0
; COMPUTE_PGM_RSRC2:TIDIG_COMP_CNT: 1
; COMPUTE_PGM_RSRC3_GFX90A:ACCUM_OFFSET: 63
; COMPUTE_PGM_RSRC3_GFX90A:TG_SPLIT: 0
	.section	.text._ZL33flash_attn_stream_k_fixup_uniformILi256ELi16ELi4EEvPfPK15HIP_vector_typeIfLj2EEiiiiiiS1_IjLj3EES5_S5_,"axG",@progbits,_ZL33flash_attn_stream_k_fixup_uniformILi256ELi16ELi4EEvPfPK15HIP_vector_typeIfLj2EEiiiiiiS1_IjLj3EES5_S5_,comdat
	.globl	_ZL33flash_attn_stream_k_fixup_uniformILi256ELi16ELi4EEvPfPK15HIP_vector_typeIfLj2EEiiiiiiS1_IjLj3EES5_S5_ ; -- Begin function _ZL33flash_attn_stream_k_fixup_uniformILi256ELi16ELi4EEvPfPK15HIP_vector_typeIfLj2EEiiiiiiS1_IjLj3EES5_S5_
	.p2align	8
	.type	_ZL33flash_attn_stream_k_fixup_uniformILi256ELi16ELi4EEvPfPK15HIP_vector_typeIfLj2EEiiiiiiS1_IjLj3EES5_S5_,@function
_ZL33flash_attn_stream_k_fixup_uniformILi256ELi16ELi4EEvPfPK15HIP_vector_typeIfLj2EEiiiiiiS1_IjLj3EES5_S5_: ; @_ZL33flash_attn_stream_k_fixup_uniformILi256ELi16ELi4EEvPfPK15HIP_vector_typeIfLj2EEiiiiiiS1_IjLj3EES5_S5_
; %bb.0:
	s_load_dwordx8 s[8:15], s[0:1], 0x1c
	s_load_dwordx2 s[6:7], s[0:1], 0x10
	s_load_dwordx4 s[20:23], s[0:1], 0x3c
	s_waitcnt lgkmcnt(0)
	s_mul_hi_u32 s5, s11, s2
	s_add_i32 s5, s2, s5
	s_lshr_b32 s5, s5, s12
	s_mul_i32 s11, s5, s13
	s_sub_i32 s11, s2, s11
	s_mul_hi_u32 s12, s11, s14
	s_add_i32 s12, s11, s12
	s_lshr_b32 s16, s12, s15
	s_mul_i32 s12, s16, s20
	s_sub_i32 s11, s11, s12
	;; [unrolled: 5-line block ×3, first 2 shown]
	s_lshl_b32 s11, s12, 2
	s_lshl_b32 s12, s17, 4
	s_add_i32 s12, s12, s3
	s_cmp_lt_i32 s12, s6
	s_cselect_b64 s[12:13], -1, 0
	s_add_i32 s14, s11, s4
	s_cmp_lt_i32 s14, s9
	s_cselect_b64 s[14:15], -1, 0
	s_and_b64 s[12:13], s[12:13], s[14:15]
	s_andn2_b64 vcc, exec, s[12:13]
	s_cbranch_vccnz .LBB31_6
; %bb.1:
	s_load_dwordx4 s[12:15], s[0:1], 0x0
	s_mul_i32 s0, s5, s6
	s_add_i32 s0, s0, s3
	s_mul_i32 s0, s0, s7
	s_mul_i32 s16, s16, s9
	s_add_i32 s0, s0, s4
	s_add_i32 s0, s0, s16
	s_mul_i32 s1, s7, s17
	s_add_i32 s0, s0, s11
	s_lshl_b32 s1, s1, 12
	s_lshl_b32 s0, s0, 8
	s_add_i32 s1, s1, s0
	v_or_b32_e32 v4, s1, v0
	s_waitcnt lgkmcnt(0)
	v_mov_b32_e32 v2, s12
	v_mov_b32_e32 v3, s13
	v_ashrrev_i32_e32 v5, 31, v4
	v_lshl_add_u64 v[2:3], v[4:5], 2, v[2:3]
	global_load_dword v5, v[2:3], off
	s_mul_i32 s5, s10, s2
	s_lshl_b32 s11, s3, 2
	s_add_i32 s9, s5, s10
	s_add_i32 s0, s11, s4
	s_lshl_b32 s1, s9, 6
	s_add_i32 s0, s0, s1
	s_sub_i32 s0, s0, 64
	s_ashr_i32 s1, s0, 31
	s_lshl_b64 s[0:1], s[0:1], 3
	s_add_u32 s0, s14, s0
	s_addc_u32 s1, s15, s1
	s_load_dword s12, s[0:1], 0x4
	s_add_i32 s6, s9, -2
	s_cmp_lt_i32 s6, s5
	s_cbranch_scc1 .LBB31_4
; %bb.2:
	s_lshl_b32 s6, s8, 8
	s_ashr_i32 s7, s6, 31
	s_lshl_b64 s[6:7], s[6:7], 2
	s_add_u32 s6, s14, s6
	s_addc_u32 s7, s15, s7
	s_add_i32 s2, s2, 1
	s_load_dword s0, s[0:1], 0x0
	s_mul_i32 s1, s10, s2
	s_lshl_b32 s3, s3, 10
	s_lshl_b32 s10, s4, 8
	;; [unrolled: 1-line block ×3, first 2 shown]
	s_add_i32 s3, s10, s3
	s_lshl_b32 s1, s1, 6
	s_add_i32 s3, s3, s2
	s_add_i32 s1, s4, s1
	s_lshl_b32 s2, s8, 6
	s_add_i32 s1, s1, s2
	v_or_b32_e32 v0, s3, v0
	s_add_i32 s1, s1, s11
	s_add_i32 s9, s9, -1
	v_add_u32_e32 v0, 0xffff8000, v0
	s_add_i32 s2, s1, 0xffffff80
	s_waitcnt lgkmcnt(0)
	v_mov_b32_e32 v7, s0
	v_mov_b32_e32 v4, s12
	s_mov_b32 s4, 0x3fb8aa3b
	s_mov_b32 s8, 0xc2ce8ed0
	;; [unrolled: 1-line block ×3, first 2 shown]
	v_mov_b32_e32 v6, 0x7f800000
	s_mov_b32 s11, 0xc1a00000
.LBB31_3:                               ; =>This Inner Loop Header: Depth=1
	v_ashrrev_i32_e32 v1, 31, v0
	v_lshl_add_u64 v[8:9], v[0:1], 2, s[6:7]
	global_load_dword v9, v[8:9], off
	s_ashr_i32 s3, s2, 31
	s_lshl_b64 s[0:1], s[2:3], 3
	s_add_u32 s0, s14, s0
	s_addc_u32 s1, s15, s1
	s_load_dwordx2 s[0:1], s[0:1], 0x0
	v_max_f32_e32 v1, v7, v7
	s_add_i32 s9, s9, -1
	s_sub_i32 s2, s2, 64
	v_add_u32_e32 v0, 0xffffc000, v0
	s_waitcnt lgkmcnt(0)
	v_max_f32_e64 v10, s0, s0
	v_max_f32_e32 v1, v1, v10
	v_sub_f32_e32 v11, s0, v1
	v_sub_f32_e32 v10, v7, v1
	v_mul_f32_e32 v12, 0x3fb8aa3b, v11
	v_mov_b32_e32 v7, v1
	v_mul_f32_e32 v1, 0x3fb8aa3b, v10
	v_fma_f32 v15, v11, s4, -v12
	v_rndne_f32_e32 v16, v12
	v_fma_f32 v13, v10, s4, -v1
	v_rndne_f32_e32 v14, v1
	v_fmac_f32_e32 v15, 0x32a5705f, v11
	v_sub_f32_e32 v12, v12, v16
	v_fmac_f32_e32 v13, 0x32a5705f, v10
	v_sub_f32_e32 v1, v1, v14
	v_add_f32_e32 v12, v12, v15
	v_cvt_i32_f32_e32 v16, v16
	v_add_f32_e32 v1, v1, v13
	v_exp_f32_e32 v12, v12
	v_cvt_i32_f32_e32 v14, v14
	v_exp_f32_e32 v1, v1
	v_cmp_ngt_f32_e32 vcc, s8, v11
	v_ldexp_f32 v12, v12, v16
	v_mov_b32_e32 v8, s1
	v_ldexp_f32 v1, v1, v14
	v_cmp_ngt_f32_e64 s[0:1], s8, v10
	v_cndmask_b32_e32 v12, 0, v12, vcc
	v_cmp_nlt_f32_e32 vcc, s10, v11
	v_cndmask_b32_e64 v1, 0, v1, s[0:1]
	v_cmp_nlt_f32_e64 s[0:1], s10, v10
	v_cndmask_b32_e32 v12, v6, v12, vcc
	v_cmp_le_f32_e32 vcc, s11, v11
	v_cndmask_b32_e64 v1, v6, v1, s[0:1]
	v_cmp_le_f32_e64 s[0:1], s11, v10
	v_cndmask_b32_e32 v12, 0, v12, vcc
	s_cmp_le_i32 s9, s5
	v_cndmask_b32_e64 v10, 0, v1, s[0:1]
	s_waitcnt vmcnt(0)
	v_pk_mul_f32 v[8:9], v[8:9], v[12:13] op_sel_hi:[1,0]
	s_nop 0
	v_pk_fma_f32 v[4:5], v[4:5], v[10:11], v[8:9] op_sel_hi:[1,0,1]
	s_cbranch_scc0 .LBB31_3
	s_branch .LBB31_5
.LBB31_4:
	s_waitcnt lgkmcnt(0)
	v_mov_b32_e32 v4, s12
.LBB31_5:
	s_waitcnt vmcnt(0)
	v_div_scale_f32 v0, s[0:1], v4, v4, v5
	v_rcp_f32_e32 v1, v0
	v_div_scale_f32 v6, vcc, v5, v4, v5
	v_fma_f32 v7, -v0, v1, 1.0
	v_fmac_f32_e32 v1, v7, v1
	v_mul_f32_e32 v7, v6, v1
	v_fma_f32 v8, -v0, v7, v6
	v_fmac_f32_e32 v7, v8, v1
	v_fma_f32 v0, -v0, v7, v6
	v_div_fmas_f32 v0, v0, v1, v7
	v_div_fixup_f32 v0, v0, v4, v5
	global_store_dword v[2:3], v0, off
.LBB31_6:
	s_endpgm
	.section	.rodata,"a",@progbits
	.p2align	6, 0x0
	.amdhsa_kernel _ZL33flash_attn_stream_k_fixup_uniformILi256ELi16ELi4EEvPfPK15HIP_vector_typeIfLj2EEiiiiiiS1_IjLj3EES5_S5_
		.amdhsa_group_segment_fixed_size 0
		.amdhsa_private_segment_fixed_size 0
		.amdhsa_kernarg_size 76
		.amdhsa_user_sgpr_count 2
		.amdhsa_user_sgpr_dispatch_ptr 0
		.amdhsa_user_sgpr_queue_ptr 0
		.amdhsa_user_sgpr_kernarg_segment_ptr 1
		.amdhsa_user_sgpr_dispatch_id 0
		.amdhsa_user_sgpr_kernarg_preload_length 0
		.amdhsa_user_sgpr_kernarg_preload_offset 0
		.amdhsa_user_sgpr_private_segment_size 0
		.amdhsa_uses_dynamic_stack 0
		.amdhsa_enable_private_segment 0
		.amdhsa_system_sgpr_workgroup_id_x 1
		.amdhsa_system_sgpr_workgroup_id_y 1
		.amdhsa_system_sgpr_workgroup_id_z 1
		.amdhsa_system_sgpr_workgroup_info 0
		.amdhsa_system_vgpr_workitem_id 0
		.amdhsa_next_free_vgpr 17
		.amdhsa_next_free_sgpr 24
		.amdhsa_accum_offset 20
		.amdhsa_reserve_vcc 1
		.amdhsa_float_round_mode_32 0
		.amdhsa_float_round_mode_16_64 0
		.amdhsa_float_denorm_mode_32 3
		.amdhsa_float_denorm_mode_16_64 3
		.amdhsa_dx10_clamp 1
		.amdhsa_ieee_mode 1
		.amdhsa_fp16_overflow 0
		.amdhsa_tg_split 0
		.amdhsa_exception_fp_ieee_invalid_op 0
		.amdhsa_exception_fp_denorm_src 0
		.amdhsa_exception_fp_ieee_div_zero 0
		.amdhsa_exception_fp_ieee_overflow 0
		.amdhsa_exception_fp_ieee_underflow 0
		.amdhsa_exception_fp_ieee_inexact 0
		.amdhsa_exception_int_div_zero 0
	.end_amdhsa_kernel
	.section	.text._ZL33flash_attn_stream_k_fixup_uniformILi256ELi16ELi4EEvPfPK15HIP_vector_typeIfLj2EEiiiiiiS1_IjLj3EES5_S5_,"axG",@progbits,_ZL33flash_attn_stream_k_fixup_uniformILi256ELi16ELi4EEvPfPK15HIP_vector_typeIfLj2EEiiiiiiS1_IjLj3EES5_S5_,comdat
.Lfunc_end31:
	.size	_ZL33flash_attn_stream_k_fixup_uniformILi256ELi16ELi4EEvPfPK15HIP_vector_typeIfLj2EEiiiiiiS1_IjLj3EES5_S5_, .Lfunc_end31-_ZL33flash_attn_stream_k_fixup_uniformILi256ELi16ELi4EEvPfPK15HIP_vector_typeIfLj2EEiiiiiiS1_IjLj3EES5_S5_
                                        ; -- End function
	.set _ZL33flash_attn_stream_k_fixup_uniformILi256ELi16ELi4EEvPfPK15HIP_vector_typeIfLj2EEiiiiiiS1_IjLj3EES5_S5_.num_vgpr, 17
	.set _ZL33flash_attn_stream_k_fixup_uniformILi256ELi16ELi4EEvPfPK15HIP_vector_typeIfLj2EEiiiiiiS1_IjLj3EES5_S5_.num_agpr, 0
	.set _ZL33flash_attn_stream_k_fixup_uniformILi256ELi16ELi4EEvPfPK15HIP_vector_typeIfLj2EEiiiiiiS1_IjLj3EES5_S5_.numbered_sgpr, 24
	.set _ZL33flash_attn_stream_k_fixup_uniformILi256ELi16ELi4EEvPfPK15HIP_vector_typeIfLj2EEiiiiiiS1_IjLj3EES5_S5_.num_named_barrier, 0
	.set _ZL33flash_attn_stream_k_fixup_uniformILi256ELi16ELi4EEvPfPK15HIP_vector_typeIfLj2EEiiiiiiS1_IjLj3EES5_S5_.private_seg_size, 0
	.set _ZL33flash_attn_stream_k_fixup_uniformILi256ELi16ELi4EEvPfPK15HIP_vector_typeIfLj2EEiiiiiiS1_IjLj3EES5_S5_.uses_vcc, 1
	.set _ZL33flash_attn_stream_k_fixup_uniformILi256ELi16ELi4EEvPfPK15HIP_vector_typeIfLj2EEiiiiiiS1_IjLj3EES5_S5_.uses_flat_scratch, 0
	.set _ZL33flash_attn_stream_k_fixup_uniformILi256ELi16ELi4EEvPfPK15HIP_vector_typeIfLj2EEiiiiiiS1_IjLj3EES5_S5_.has_dyn_sized_stack, 0
	.set _ZL33flash_attn_stream_k_fixup_uniformILi256ELi16ELi4EEvPfPK15HIP_vector_typeIfLj2EEiiiiiiS1_IjLj3EES5_S5_.has_recursion, 0
	.set _ZL33flash_attn_stream_k_fixup_uniformILi256ELi16ELi4EEvPfPK15HIP_vector_typeIfLj2EEiiiiiiS1_IjLj3EES5_S5_.has_indirect_call, 0
	.section	.AMDGPU.csdata,"",@progbits
; Kernel info:
; codeLenInByte = 840
; TotalNumSgprs: 30
; NumVgprs: 17
; NumAgprs: 0
; TotalNumVgprs: 17
; ScratchSize: 0
; MemoryBound: 0
; FloatMode: 240
; IeeeMode: 1
; LDSByteSize: 0 bytes/workgroup (compile time only)
; SGPRBlocks: 3
; VGPRBlocks: 2
; NumSGPRsForWavesPerEU: 30
; NumVGPRsForWavesPerEU: 17
; AccumOffset: 20
; Occupancy: 8
; WaveLimiterHint : 0
; COMPUTE_PGM_RSRC2:SCRATCH_EN: 0
; COMPUTE_PGM_RSRC2:USER_SGPR: 2
; COMPUTE_PGM_RSRC2:TRAP_HANDLER: 0
; COMPUTE_PGM_RSRC2:TGID_X_EN: 1
; COMPUTE_PGM_RSRC2:TGID_Y_EN: 1
; COMPUTE_PGM_RSRC2:TGID_Z_EN: 1
; COMPUTE_PGM_RSRC2:TIDIG_COMP_CNT: 0
; COMPUTE_PGM_RSRC3_GFX90A:ACCUM_OFFSET: 4
; COMPUTE_PGM_RSRC3_GFX90A:TG_SPLIT: 0
	.section	.text._ZL33flash_attn_stream_k_fixup_generalILi256ELi16ELi4EEvPfPK15HIP_vector_typeIfLj2EEiiiiS1_IjLj3EES5_S5_S5_,"axG",@progbits,_ZL33flash_attn_stream_k_fixup_generalILi256ELi16ELi4EEvPfPK15HIP_vector_typeIfLj2EEiiiiS1_IjLj3EES5_S5_S5_,comdat
	.globl	_ZL33flash_attn_stream_k_fixup_generalILi256ELi16ELi4EEvPfPK15HIP_vector_typeIfLj2EEiiiiS1_IjLj3EES5_S5_S5_ ; -- Begin function _ZL33flash_attn_stream_k_fixup_generalILi256ELi16ELi4EEvPfPK15HIP_vector_typeIfLj2EEiiiiS1_IjLj3EES5_S5_S5_
	.p2align	8
	.type	_ZL33flash_attn_stream_k_fixup_generalILi256ELi16ELi4EEvPfPK15HIP_vector_typeIfLj2EEiiiiS1_IjLj3EES5_S5_S5_,@function
_ZL33flash_attn_stream_k_fixup_generalILi256ELi16ELi4EEvPfPK15HIP_vector_typeIfLj2EEiiiiS1_IjLj3EES5_S5_S5_: ; @_ZL33flash_attn_stream_k_fixup_generalILi256ELi16ELi4EEvPfPK15HIP_vector_typeIfLj2EEiiiiS1_IjLj3EES5_S5_S5_
; %bb.0:
	s_load_dwordx4 s[8:11], s[0:1], 0x10
	s_load_dword s22, s[0:1], 0x50
	s_mov_b32 s12, 0
	s_waitcnt lgkmcnt(0)
	s_mul_hi_i32 s13, s11, s2
	s_cmp_lg_u64 s[12:13], 0
	s_mul_i32 s5, s11, s2
	s_cbranch_scc0 .LBB32_20
; %bb.1:
	s_add_u32 s6, s22, 0
	s_addc_u32 s7, 0, 0
	s_xor_b64 s[6:7], s[6:7], 0
	v_cvt_f32_u32_e32 v1, s6
	v_cvt_f32_u32_e32 v2, s7
	s_sub_u32 s12, 0, s6
	s_subb_u32 s18, 0, s7
	v_fmamk_f32 v1, v2, 0x4f800000, v1
	v_rcp_f32_e32 v1, v1
	s_nop 0
	v_mul_f32_e32 v1, 0x5f7ffffc, v1
	v_mul_f32_e32 v2, 0x2f800000, v1
	v_trunc_f32_e32 v2, v2
	v_fmamk_f32 v1, v2, 0xcf800000, v1
	v_cvt_u32_f32_e32 v2, v2
	v_cvt_u32_f32_e32 v1, v1
	v_readfirstlane_b32 s19, v2
	v_readfirstlane_b32 s14, v1
	s_mul_i32 s15, s12, s19
	s_mul_hi_u32 s21, s12, s14
	s_mul_i32 s20, s18, s14
	s_add_i32 s15, s21, s15
	s_add_i32 s15, s15, s20
	s_mul_i32 s23, s12, s14
	s_mul_i32 s21, s14, s15
	s_mul_hi_u32 s24, s14, s23
	s_mul_hi_u32 s20, s14, s15
	s_add_u32 s21, s24, s21
	s_addc_u32 s20, 0, s20
	s_mul_hi_u32 s25, s19, s23
	s_mul_i32 s23, s19, s23
	s_add_u32 s21, s21, s23
	s_mul_hi_u32 s24, s19, s15
	s_addc_u32 s20, s20, s25
	s_addc_u32 s21, s24, 0
	s_mul_i32 s15, s19, s15
	s_add_u32 s15, s20, s15
	s_addc_u32 s20, 0, s21
	s_add_u32 s21, s14, s15
	s_cselect_b64 s[14:15], -1, 0
	s_cmp_lg_u64 s[14:15], 0
	s_addc_u32 s19, s19, s20
	s_mul_i32 s14, s12, s19
	s_mul_hi_u32 s15, s12, s21
	s_add_i32 s14, s15, s14
	s_mul_i32 s18, s18, s21
	s_add_i32 s14, s14, s18
	s_mul_i32 s12, s12, s21
	s_mul_hi_u32 s18, s19, s12
	s_mul_i32 s20, s19, s12
	s_mul_i32 s24, s21, s14
	s_mul_hi_u32 s12, s21, s12
	s_mul_hi_u32 s23, s21, s14
	s_add_u32 s12, s12, s24
	s_addc_u32 s23, 0, s23
	s_add_u32 s12, s12, s20
	s_mul_hi_u32 s15, s19, s14
	s_addc_u32 s12, s23, s18
	s_addc_u32 s15, s15, 0
	s_mul_i32 s14, s19, s14
	s_add_u32 s12, s12, s14
	s_addc_u32 s18, 0, s15
	s_add_u32 s20, s21, s12
	s_cselect_b64 s[14:15], -1, 0
	s_cmp_lg_u64 s[14:15], 0
	s_addc_u32 s18, s19, s18
	s_ashr_i32 s14, s13, 31
	s_add_u32 s12, s5, s14
	s_mov_b32 s15, s14
	s_addc_u32 s13, s13, s14
	s_xor_b64 s[12:13], s[12:13], s[14:15]
	s_mul_i32 s21, s12, s18
	s_mul_hi_u32 s23, s12, s20
	s_mul_hi_u32 s19, s12, s18
	s_add_u32 s21, s23, s21
	s_addc_u32 s19, 0, s19
	s_mul_hi_u32 s24, s13, s20
	s_mul_i32 s20, s13, s20
	s_add_u32 s20, s21, s20
	s_mul_hi_u32 s23, s13, s18
	s_addc_u32 s19, s19, s24
	s_addc_u32 s20, s23, 0
	s_mul_i32 s18, s13, s18
	s_add_u32 s23, s19, s18
	s_addc_u32 s24, 0, s20
	s_mul_i32 s18, s6, s24
	s_mul_hi_u32 s19, s6, s23
	s_add_i32 s18, s19, s18
	s_mul_i32 s19, s7, s23
	s_add_i32 s25, s18, s19
	s_sub_i32 s20, s13, s25
	s_mul_i32 s18, s6, s23
	s_sub_u32 s12, s12, s18
	s_cselect_b64 s[18:19], -1, 0
	s_cmp_lg_u64 s[18:19], 0
	s_subb_u32 s26, s20, s7
	s_sub_u32 s27, s12, s6
	s_cselect_b64 s[20:21], -1, 0
	s_cmp_lg_u64 s[20:21], 0
	s_subb_u32 s20, s26, 0
	s_cmp_ge_u32 s20, s7
	s_cselect_b32 s21, -1, 0
	s_cmp_ge_u32 s27, s6
	s_cselect_b32 s26, -1, 0
	s_cmp_eq_u32 s20, s7
	s_cselect_b32 s20, s26, s21
	s_add_u32 s21, s23, 1
	s_addc_u32 s26, s24, 0
	s_add_u32 s27, s23, 2
	s_addc_u32 s28, s24, 0
	s_cmp_lg_u32 s20, 0
	s_cselect_b32 s20, s27, s21
	s_cselect_b32 s21, s28, s26
	s_cmp_lg_u64 s[18:19], 0
	s_subb_u32 s13, s13, s25
	s_cmp_ge_u32 s13, s7
	s_cselect_b32 s18, -1, 0
	s_cmp_ge_u32 s12, s6
	s_cselect_b32 s6, -1, 0
	s_cmp_eq_u32 s13, s7
	s_cselect_b32 s6, s6, s18
	s_cmp_lg_u32 s6, 0
	s_cselect_b32 s7, s21, s24
	s_cselect_b32 s6, s20, s23
	s_xor_b64 s[12:13], s[14:15], 0
	s_xor_b64 s[6:7], s[6:7], s[12:13]
	s_sub_u32 s6, s6, s12
	s_load_dwordx4 s[12:15], s[0:1], 0x44
	s_cbranch_execnz .LBB32_3
.LBB32_2:
	v_cvt_f32_u32_e32 v1, s22
	s_sub_i32 s6, 0, s22
	v_rcp_iflag_f32_e32 v1, v1
	s_nop 0
	v_mul_f32_e32 v1, 0x4f7ffffe, v1
	v_cvt_u32_f32_e32 v1, v1
	s_nop 0
	v_readfirstlane_b32 s7, v1
	s_mul_i32 s6, s6, s7
	s_mul_hi_u32 s6, s7, s6
	s_add_i32 s7, s7, s6
	s_mul_hi_u32 s6, s5, s7
	s_waitcnt lgkmcnt(0)
	s_mul_i32 s15, s6, s22
	s_sub_i32 s5, s5, s15
	s_add_i32 s7, s6, 1
	s_sub_i32 s15, s5, s22
	s_cmp_ge_u32 s5, s22
	s_cselect_b32 s6, s7, s6
	s_cselect_b32 s5, s15, s5
	s_add_i32 s7, s6, 1
	s_cmp_ge_u32 s5, s22
	s_cselect_b32 s6, s7, s6
.LBB32_3:
	s_add_i32 s5, s2, 1
	s_mul_hi_i32 s21, s11, s5
	s_mov_b32 s20, 0
	s_cmp_lg_u64 s[20:21], 0
	s_mul_i32 s5, s11, s5
	s_cbranch_scc0 .LBB32_21
; %bb.4:
	s_add_u32 s16, s22, 0
	s_addc_u32 s17, 0, 0
	s_xor_b64 s[18:19], s[16:17], 0
	v_cvt_f32_u32_e32 v1, s18
	v_cvt_f32_u32_e32 v2, s19
	s_sub_u32 s7, 0, s18
	s_waitcnt lgkmcnt(0)
	s_subb_u32 s15, 0, s19
	v_fmamk_f32 v1, v2, 0x4f800000, v1
	v_rcp_f32_e32 v1, v1
	s_nop 0
	v_mul_f32_e32 v1, 0x5f7ffffc, v1
	v_mul_f32_e32 v2, 0x2f800000, v1
	v_trunc_f32_e32 v2, v2
	v_fmamk_f32 v1, v2, 0xcf800000, v1
	v_cvt_u32_f32_e32 v2, v2
	v_cvt_u32_f32_e32 v1, v1
	v_readfirstlane_b32 s20, v2
	v_readfirstlane_b32 s23, v1
	s_mul_i32 s24, s7, s20
	s_mul_hi_u32 s26, s7, s23
	s_mul_i32 s25, s15, s23
	s_add_i32 s24, s26, s24
	s_add_i32 s24, s24, s25
	s_mul_i32 s27, s7, s23
	s_mul_i32 s26, s23, s24
	s_mul_hi_u32 s28, s23, s27
	s_mul_hi_u32 s25, s23, s24
	s_add_u32 s26, s28, s26
	s_addc_u32 s25, 0, s25
	s_mul_hi_u32 s29, s20, s27
	s_mul_i32 s27, s20, s27
	s_add_u32 s26, s26, s27
	s_mul_hi_u32 s28, s20, s24
	s_addc_u32 s25, s25, s29
	s_addc_u32 s26, s28, 0
	s_mul_i32 s24, s20, s24
	s_add_u32 s24, s25, s24
	s_addc_u32 s26, 0, s26
	s_add_u32 s23, s23, s24
	s_cselect_b64 s[24:25], -1, 0
	s_cmp_lg_u64 s[24:25], 0
	s_addc_u32 s20, s20, s26
	s_mul_i32 s24, s7, s20
	s_mul_hi_u32 s25, s7, s23
	s_add_i32 s24, s25, s24
	s_mul_i32 s15, s15, s23
	s_add_i32 s24, s24, s15
	s_mul_i32 s7, s7, s23
	s_mul_hi_u32 s25, s20, s7
	s_mul_i32 s26, s20, s7
	s_mul_i32 s28, s23, s24
	s_mul_hi_u32 s7, s23, s7
	s_mul_hi_u32 s27, s23, s24
	s_add_u32 s7, s7, s28
	s_addc_u32 s27, 0, s27
	s_add_u32 s7, s7, s26
	s_mul_hi_u32 s15, s20, s24
	s_addc_u32 s7, s27, s25
	s_addc_u32 s15, s15, 0
	s_mul_i32 s24, s20, s24
	s_add_u32 s7, s7, s24
	s_addc_u32 s15, 0, s15
	s_add_u32 s7, s23, s7
	s_cselect_b64 s[24:25], -1, 0
	s_cmp_lg_u64 s[24:25], 0
	s_addc_u32 s15, s20, s15
	s_ashr_i32 s24, s21, 31
	s_add_u32 s20, s5, s24
	s_mov_b32 s25, s24
	s_addc_u32 s21, s21, s24
	s_xor_b64 s[20:21], s[20:21], s[24:25]
	s_mul_i32 s26, s20, s15
	s_mul_hi_u32 s27, s20, s7
	s_mul_hi_u32 s23, s20, s15
	s_add_u32 s26, s27, s26
	s_addc_u32 s23, 0, s23
	s_mul_hi_u32 s28, s21, s7
	s_mul_i32 s7, s21, s7
	s_add_u32 s7, s26, s7
	s_mul_hi_u32 s27, s21, s15
	s_addc_u32 s7, s23, s28
	s_addc_u32 s23, s27, 0
	s_mul_i32 s15, s21, s15
	s_add_u32 s7, s7, s15
	s_addc_u32 s15, 0, s23
	s_mul_i32 s23, s18, s15
	s_mul_hi_u32 s26, s18, s7
	s_add_i32 s23, s26, s23
	s_mul_i32 s26, s19, s7
	s_add_i32 s23, s23, s26
	s_sub_i32 s28, s21, s23
	s_mul_i32 s26, s18, s7
	s_sub_u32 s20, s20, s26
	s_cselect_b64 s[26:27], -1, 0
	s_cmp_lg_u64 s[26:27], 0
	s_subb_u32 s30, s28, s19
	s_sub_u32 s31, s20, s18
	s_cselect_b64 s[28:29], -1, 0
	s_cmp_lg_u64 s[28:29], 0
	s_subb_u32 s28, s30, 0
	s_cmp_ge_u32 s28, s19
	s_cselect_b32 s29, -1, 0
	s_cmp_ge_u32 s31, s18
	s_cselect_b32 s30, -1, 0
	s_cmp_eq_u32 s28, s19
	s_cselect_b32 s28, s30, s29
	s_add_u32 s29, s7, 1
	s_addc_u32 s30, s15, 0
	s_add_u32 s31, s7, 2
	s_addc_u32 s33, s15, 0
	s_cmp_lg_u32 s28, 0
	s_cselect_b32 s28, s31, s29
	s_cselect_b32 s29, s33, s30
	s_cmp_lg_u64 s[26:27], 0
	s_subb_u32 s21, s21, s23
	s_cmp_ge_u32 s21, s19
	s_cselect_b32 s23, -1, 0
	s_cmp_ge_u32 s20, s18
	s_cselect_b32 s18, -1, 0
	s_cmp_eq_u32 s21, s19
	s_cselect_b32 s18, s18, s23
	s_cmp_lg_u32 s18, 0
	s_cselect_b32 s19, s29, s15
	s_cselect_b32 s18, s28, s7
	s_xor_b64 s[20:21], s[24:25], 0
	s_xor_b64 s[18:19], s[18:19], s[20:21]
	s_sub_u32 s18, s18, s20
	s_cbranch_execnz .LBB32_6
.LBB32_5:
	v_cvt_f32_u32_e32 v1, s22
	s_sub_i32 s7, 0, s22
	v_rcp_iflag_f32_e32 v1, v1
	s_nop 0
	v_mul_f32_e32 v1, 0x4f7ffffe, v1
	v_cvt_u32_f32_e32 v1, v1
	s_waitcnt lgkmcnt(0)
	v_readfirstlane_b32 s15, v1
	s_mul_i32 s7, s7, s15
	s_mul_hi_u32 s7, s15, s7
	s_add_i32 s15, s15, s7
	s_mul_hi_u32 s7, s5, s15
	s_mul_i32 s16, s7, s22
	s_sub_i32 s5, s5, s16
	s_add_i32 s15, s7, 1
	s_sub_i32 s16, s5, s22
	s_cmp_ge_u32 s5, s22
	s_cselect_b32 s7, s15, s7
	s_cselect_b32 s5, s16, s5
	s_add_i32 s15, s7, 1
	s_cmp_ge_u32 s5, s22
	s_cselect_b32 s18, s15, s7
.LBB32_6:
	s_cmp_eq_u32 s6, s18
	s_waitcnt lgkmcnt(0)
	s_mul_hi_u32 s5, s6, s12
	s_cselect_b64 s[16:17], -1, 0
	s_add_i32 s5, s5, s6
	s_lshr_b32 s7, s5, s13
	s_mul_i32 s5, s7, s14
	s_cmp_eq_u32 s5, s6
	s_mul_hi_u32 s5, s18, s12
	s_cselect_b64 s[20:21], -1, 0
	s_add_i32 s5, s5, s18
	s_lshr_b32 s5, s5, s13
	s_cmp_eq_u32 s7, s5
	s_mul_i32 s5, s5, s14
	s_cselect_b64 s[24:25], -1, 0
	s_cmp_lg_u32 s5, s18
	s_cselect_b64 s[18:19], -1, 0
	s_and_b64 s[18:19], s[24:25], s[18:19]
	s_or_b64 s[16:17], s[16:17], s[20:21]
	s_or_b64 s[16:17], s[16:17], s[18:19]
	s_and_b64 vcc, exec, s[16:17]
	s_cbranch_vccnz .LBB32_23
; %bb.7:
	s_load_dwordx8 s[24:31], s[0:1], 0x20
	s_load_dword s15, s[0:1], 0x40
	s_waitcnt lgkmcnt(0)
	s_mul_hi_u32 s5, s6, s24
	s_add_i32 s5, s5, s6
	s_lshr_b32 s5, s5, s25
	s_mul_i32 s16, s5, s26
	s_sub_i32 s16, s6, s16
	s_mul_hi_u32 s17, s16, s27
	s_add_i32 s17, s16, s17
	s_lshr_b32 s20, s17, s28
	s_mul_i32 s17, s20, s29
	s_sub_i32 s16, s16, s17
	;; [unrolled: 5-line block ×3, first 2 shown]
	s_mul_hi_u32 s16, s15, s12
	s_add_i32 s15, s15, s16
	s_lshr_b32 s23, s15, s13
	s_lshl_b32 s15, s23, 4
	s_lshl_b32 s21, s17, 2
	s_add_i32 s15, s15, s3
	s_cmp_lt_i32 s15, s8
	s_cselect_b64 s[16:17], -1, 0
	s_add_i32 s15, s21, s4
	s_cmp_lt_i32 s15, s10
	s_cselect_b64 s[18:19], -1, 0
	s_and_b64 s[16:17], s[16:17], s[18:19]
	s_andn2_b64 vcc, exec, s[16:17]
	s_cbranch_vccnz .LBB32_23
; %bb.8:
	s_load_dwordx4 s[16:19], s[0:1], 0x0
	s_mov_b32 s0, 0
	s_lshl_b32 s15, s3, 2
	s_lshl_b32 s24, s22, 8
	s_mov_b32 s25, s0
	s_add_i32 s15, s15, s4
	s_waitcnt lgkmcnt(0)
	v_mov_b32_e32 v2, s16
	v_mov_b32_e32 v3, s17
	s_lshl_b64 s[16:17], s[24:25], 2
	s_add_u32 s16, s18, s16
	s_mul_i32 s1, s5, s8
	s_addc_u32 s17, s19, s17
	s_add_i32 s1, s1, s3
	s_mul_i32 s1, s1, s9
	s_mul_i32 s20, s20, s10
	s_add_i32 s1, s1, s4
	s_add_i32 s1, s1, s20
	s_mul_i32 s5, s9, s23
	s_add_i32 s1, s1, s21
	s_lshl_b32 s5, s5, 12
	s_lshl_b32 s1, s1, 8
	s_add_i32 s5, s5, s1
	v_or_b32_e32 v4, s5, v0
	v_ashrrev_i32_e32 v5, 31, v4
	v_lshl_add_u64 v[2:3], v[4:5], 2, v[2:3]
	global_load_dword v1, v[2:3], off
	v_cvt_f32_u32_e32 v4, s22
	s_lshl_b32 s1, s2, 6
	s_add_i32 s4, s15, s1
	s_ashr_i32 s5, s4, 31
	s_lshl_b64 s[4:5], s[4:5], 3
	v_rcp_iflag_f32_e32 v4, v4
	s_add_u32 s4, s18, s4
	s_addc_u32 s5, s19, s5
	s_load_dwordx2 s[4:5], s[4:5], 0x0
	v_mul_f32_e32 v4, 0x4f7ffffe, v4
	v_cvt_u32_f32_e32 v7, v4
	s_add_i32 s24, s2, -1
	v_lshl_or_b32 v6, s15, 8, v0
	s_waitcnt lgkmcnt(0)
	v_mov_b32_e32 v0, s5
	v_mov_b32_e32 v9, s4
	s_mov_b32 s10, 0x3fb8aa3b
	s_mov_b32 s20, 0xc2ce8ed0
	;; [unrolled: 1-line block ×4, first 2 shown]
	v_mov_b32_e32 v8, 0x7f800000
	s_mul_hi_i32 s1, s24, s11
	s_cmp_lg_u64 s[0:1], 0
	s_mul_i32 s8, s24, s11
	s_cbranch_scc0 .LBB32_19
.LBB32_9:
	s_add_u32 s2, s22, 0
	s_addc_u32 s3, 0, 0
	s_xor_b64 s[2:3], s[2:3], 0
	v_cvt_f32_u32_e32 v4, s2
	v_cvt_f32_u32_e32 v5, s3
	s_sub_u32 s9, 0, s2
	s_subb_u32 s25, 0, s3
	v_fmac_f32_e32 v4, 0x4f800000, v5
	v_rcp_f32_e32 v4, v4
	s_nop 0
	v_mul_f32_e32 v4, 0x5f7ffffc, v4
	v_mul_f32_e32 v5, 0x2f800000, v4
	v_trunc_f32_e32 v5, v5
	v_fmac_f32_e32 v4, 0xcf800000, v5
	v_cvt_u32_f32_e32 v5, v5
	v_cvt_u32_f32_e32 v4, v4
	v_readfirstlane_b32 s26, v5
	v_readfirstlane_b32 s4, v4
	s_mul_i32 s5, s9, s26
	s_mul_hi_u32 s28, s9, s4
	s_mul_i32 s27, s25, s4
	s_add_i32 s5, s28, s5
	s_mul_i32 s29, s9, s4
	s_add_i32 s5, s5, s27
	s_mul_i32 s28, s4, s5
	s_mul_hi_u32 s30, s4, s29
	s_mul_hi_u32 s27, s4, s5
	s_add_u32 s28, s30, s28
	s_addc_u32 s27, 0, s27
	s_mul_hi_u32 s31, s26, s29
	s_mul_i32 s29, s26, s29
	s_add_u32 s28, s28, s29
	s_mul_hi_u32 s30, s26, s5
	s_addc_u32 s27, s27, s31
	s_addc_u32 s28, s30, 0
	s_mul_i32 s5, s26, s5
	s_add_u32 s5, s27, s5
	s_addc_u32 s27, 0, s28
	s_add_u32 s28, s4, s5
	s_cselect_b64 s[4:5], -1, 0
	s_cmp_lg_u64 s[4:5], 0
	s_addc_u32 s26, s26, s27
	s_mul_i32 s4, s9, s26
	s_mul_hi_u32 s5, s9, s28
	s_add_i32 s4, s5, s4
	s_mul_i32 s25, s25, s28
	s_add_i32 s4, s4, s25
	s_mul_i32 s9, s9, s28
	s_mul_hi_u32 s25, s26, s9
	s_mul_i32 s27, s26, s9
	s_mul_i32 s30, s28, s4
	s_mul_hi_u32 s9, s28, s9
	s_mul_hi_u32 s29, s28, s4
	s_add_u32 s9, s9, s30
	s_addc_u32 s29, 0, s29
	s_add_u32 s9, s9, s27
	s_mul_hi_u32 s5, s26, s4
	s_addc_u32 s9, s29, s25
	s_addc_u32 s5, s5, 0
	s_mul_i32 s4, s26, s4
	s_add_u32 s4, s9, s4
	s_addc_u32 s9, 0, s5
	s_add_u32 s25, s28, s4
	s_cselect_b64 s[4:5], -1, 0
	s_cmp_lg_u64 s[4:5], 0
	s_addc_u32 s9, s26, s9
	s_ashr_i32 s4, s1, 31
	s_add_u32 s26, s8, s4
	s_mov_b32 s5, s4
	s_addc_u32 s27, s1, s4
	s_xor_b64 s[26:27], s[26:27], s[4:5]
	s_mul_i32 s28, s26, s9
	s_mul_hi_u32 s29, s26, s25
	s_mul_hi_u32 s1, s26, s9
	s_add_u32 s28, s29, s28
	s_addc_u32 s1, 0, s1
	s_mul_hi_u32 s30, s27, s25
	s_mul_i32 s25, s27, s25
	s_add_u32 s25, s28, s25
	s_mul_hi_u32 s29, s27, s9
	s_addc_u32 s1, s1, s30
	s_addc_u32 s25, s29, 0
	s_mul_i32 s9, s27, s9
	s_add_u32 s1, s1, s9
	s_addc_u32 s9, 0, s25
	s_mul_i32 s25, s2, s9
	s_mul_hi_u32 s28, s2, s1
	s_add_i32 s25, s28, s25
	s_mul_i32 s28, s3, s1
	s_add_i32 s25, s25, s28
	s_sub_i32 s30, s27, s25
	s_mul_i32 s28, s2, s1
	s_sub_u32 s26, s26, s28
	s_cselect_b64 s[28:29], -1, 0
	s_cmp_lg_u64 s[28:29], 0
	s_subb_u32 s33, s30, s3
	s_sub_u32 s34, s26, s2
	s_cselect_b64 s[30:31], -1, 0
	s_cmp_lg_u64 s[30:31], 0
	s_subb_u32 s30, s33, 0
	s_cmp_ge_u32 s30, s3
	s_cselect_b32 s31, -1, 0
	s_cmp_ge_u32 s34, s2
	s_cselect_b32 s33, -1, 0
	s_cmp_eq_u32 s30, s3
	s_cselect_b32 s30, s33, s31
	s_add_u32 s31, s1, 1
	s_addc_u32 s33, s9, 0
	s_add_u32 s34, s1, 2
	s_addc_u32 s35, s9, 0
	s_cmp_lg_u32 s30, 0
	s_cselect_b32 s30, s34, s31
	s_cselect_b32 s31, s35, s33
	s_cmp_lg_u64 s[28:29], 0
	s_subb_u32 s25, s27, s25
	s_cmp_ge_u32 s25, s3
	s_cselect_b32 s27, -1, 0
	s_cmp_ge_u32 s26, s2
	s_cselect_b32 s2, -1, 0
	s_cmp_eq_u32 s25, s3
	s_cselect_b32 s2, s2, s27
	s_cmp_lg_u32 s2, 0
	s_cselect_b32 s3, s31, s9
	s_cselect_b32 s2, s30, s1
	s_xor_b64 s[4:5], s[4:5], 0
	s_xor_b64 s[2:3], s[2:3], s[4:5]
	s_sub_u32 s4, s2, s4
	s_cbranch_execnz .LBB32_11
.LBB32_10:
	s_sub_i32 s1, 0, s22
	v_readfirstlane_b32 s2, v7
	s_mul_i32 s1, s1, s2
	s_mul_hi_u32 s1, s2, s1
	s_add_i32 s2, s2, s1
	s_mul_hi_u32 s1, s8, s2
	s_mul_i32 s3, s1, s22
	s_sub_i32 s3, s8, s3
	s_add_i32 s2, s1, 1
	s_sub_i32 s4, s3, s22
	s_cmp_ge_u32 s3, s22
	s_cselect_b32 s1, s2, s1
	s_cselect_b32 s3, s4, s3
	s_add_i32 s2, s1, 1
	s_cmp_ge_u32 s3, s22
	s_cselect_b32 s4, s2, s1
.LBB32_11:
	s_cmp_lg_u32 s6, s4
	s_cbranch_scc0 .LBB32_15
; %bb.12:
	s_add_i32 s1, s24, s22
	s_lshl_b32 s1, s1, 6
	s_add_i32 s2, s1, s15
	s_mov_b32 s3, s0
	s_lshl_b64 s[2:3], s[2:3], 3
	s_add_u32 s8, s18, s2
	s_mul_hi_u32 s1, s4, s12
	s_addc_u32 s9, s19, s3
	s_add_i32 s1, s1, s4
	s_lshr_b32 s1, s1, s13
	s_mul_i32 s2, s1, s14
	s_cmp_eq_u32 s2, s4
	s_cselect_b64 s[2:3], -1, 0
	s_cmp_lt_u32 s1, s7
	s_cselect_b64 s[26:27], -1, 0
	s_or_b64 s[26:27], s[26:27], s[2:3]
	s_mov_b64 s[2:3], -1
	s_and_b64 vcc, exec, s[26:27]
	s_mov_b32 s1, s24
	s_mov_b32 s25, s6
	s_cbranch_vccnz .LBB32_14
; %bb.13:
	s_add_i32 s1, s24, -1
	s_mov_b64 s[2:3], 0
	s_mov_b32 s25, s4
.LBB32_14:
	v_lshl_add_u32 v4, s24, 14, v6
	v_ashrrev_i32_e32 v5, 31, v4
	v_lshl_add_u64 v[4:5], v[4:5], 2, s[16:17]
	global_load_dword v5, v[4:5], off
	s_load_dwordx2 s[4:5], s[8:9], 0x0
	v_max_f32_e32 v4, v9, v9
	s_waitcnt lgkmcnt(0)
	v_max_f32_e64 v10, s4, s4
	v_max_f32_e32 v10, v4, v10
	v_sub_f32_e32 v11, v9, v10
	v_sub_f32_e32 v13, s4, v10
	v_mul_f32_e32 v4, 0x3fb8aa3b, v11
	v_mul_f32_e32 v12, 0x3fb8aa3b, v13
	v_fma_f32 v14, v11, s10, -v4
	v_rndne_f32_e32 v15, v4
	v_fma_f32 v16, v13, s10, -v12
	v_rndne_f32_e32 v17, v12
	v_fmac_f32_e32 v14, 0x32a5705f, v11
	v_sub_f32_e32 v4, v4, v15
	v_fmac_f32_e32 v16, 0x32a5705f, v13
	v_sub_f32_e32 v12, v12, v17
	v_add_f32_e32 v4, v4, v14
	v_cvt_i32_f32_e32 v15, v15
	v_add_f32_e32 v12, v12, v16
	v_exp_f32_e32 v14, v4
	v_cvt_i32_f32_e32 v17, v17
	v_exp_f32_e32 v12, v12
	v_cmp_ngt_f32_e32 vcc, s20, v11
	v_ldexp_f32 v14, v14, v15
	v_mov_b32_e32 v4, s5
	v_ldexp_f32 v12, v12, v17
	v_cndmask_b32_e32 v14, 0, v14, vcc
	v_cmp_ngt_f32_e32 vcc, s20, v13
	s_nop 1
	v_cndmask_b32_e32 v12, 0, v12, vcc
	v_cmp_nlt_f32_e32 vcc, s21, v11
	s_nop 1
	v_cndmask_b32_e32 v14, v8, v14, vcc
	v_cmp_nlt_f32_e32 vcc, s21, v13
	s_nop 1
	v_cndmask_b32_e32 v15, v8, v12, vcc
	v_cmp_le_f32_e32 vcc, s23, v11
	s_nop 1
	v_cndmask_b32_e32 v12, 0, v14, vcc
	v_cmp_le_f32_e32 vcc, s23, v13
	s_nop 1
	v_cndmask_b32_e32 v14, 0, v15, vcc
	s_waitcnt vmcnt(0)
	v_pk_mul_f32 v[4:5], v[4:5], v[14:15] op_sel_hi:[1,0]
	s_nop 0
	v_pk_fma_f32 v[4:5], v[0:1], v[12:13], v[4:5] op_sel_hi:[1,0,1]
	s_cbranch_execz .LBB32_16
	s_branch .LBB32_17
.LBB32_15:
                                        ; implicit-def: $vgpr4_vgpr5
                                        ; implicit-def: $sgpr2_sgpr3
                                        ; implicit-def: $vgpr10
                                        ; implicit-def: $sgpr1
                                        ; implicit-def: $sgpr25
.LBB32_16:
	s_add_i32 s1, s24, -1
	s_mov_b64 s[2:3], 0
	s_mov_b32 s25, s6
	v_mov_b32_e32 v10, v9
	s_waitcnt vmcnt(0)
	v_mov_b64_e32 v[4:5], v[0:1]
.LBB32_17:
	s_andn2_b64 vcc, exec, s[2:3]
	s_cbranch_vccz .LBB32_22
; %bb.18:
	s_mov_b32 s6, s25
	s_mov_b32 s24, s1
	v_mov_b32_e32 v9, v10
	s_waitcnt vmcnt(0)
	v_mov_b64_e32 v[0:1], v[4:5]
	s_mul_hi_i32 s1, s24, s11
	s_cmp_lg_u64 s[0:1], 0
	s_mul_i32 s8, s24, s11
	s_cbranch_scc1 .LBB32_9
.LBB32_19:
                                        ; implicit-def: $sgpr4_sgpr5
	s_branch .LBB32_10
.LBB32_20:
                                        ; implicit-def: $sgpr6_sgpr7
	s_load_dwordx4 s[12:15], s[0:1], 0x44
	s_branch .LBB32_2
.LBB32_21:
                                        ; implicit-def: $sgpr18_sgpr19
	s_branch .LBB32_5
.LBB32_22:
	v_div_scale_f32 v0, s[0:1], v4, v4, v5
	s_waitcnt vmcnt(0)
	v_rcp_f32_e32 v1, v0
	v_div_scale_f32 v6, vcc, v5, v4, v5
	v_fma_f32 v7, -v0, v1, 1.0
	v_fmac_f32_e32 v1, v7, v1
	v_mul_f32_e32 v7, v6, v1
	v_fma_f32 v8, -v0, v7, v6
	v_fmac_f32_e32 v7, v8, v1
	v_fma_f32 v0, -v0, v7, v6
	v_div_fmas_f32 v0, v0, v1, v7
	v_div_fixup_f32 v0, v0, v4, v5
	global_store_dword v[2:3], v0, off
.LBB32_23:
	s_endpgm
	.section	.rodata,"a",@progbits
	.p2align	6, 0x0
	.amdhsa_kernel _ZL33flash_attn_stream_k_fixup_generalILi256ELi16ELi4EEvPfPK15HIP_vector_typeIfLj2EEiiiiS1_IjLj3EES5_S5_S5_
		.amdhsa_group_segment_fixed_size 0
		.amdhsa_private_segment_fixed_size 0
		.amdhsa_kernarg_size 336
		.amdhsa_user_sgpr_count 2
		.amdhsa_user_sgpr_dispatch_ptr 0
		.amdhsa_user_sgpr_queue_ptr 0
		.amdhsa_user_sgpr_kernarg_segment_ptr 1
		.amdhsa_user_sgpr_dispatch_id 0
		.amdhsa_user_sgpr_kernarg_preload_length 0
		.amdhsa_user_sgpr_kernarg_preload_offset 0
		.amdhsa_user_sgpr_private_segment_size 0
		.amdhsa_uses_dynamic_stack 0
		.amdhsa_enable_private_segment 0
		.amdhsa_system_sgpr_workgroup_id_x 1
		.amdhsa_system_sgpr_workgroup_id_y 1
		.amdhsa_system_sgpr_workgroup_id_z 1
		.amdhsa_system_sgpr_workgroup_info 0
		.amdhsa_system_vgpr_workitem_id 0
		.amdhsa_next_free_vgpr 18
		.amdhsa_next_free_sgpr 36
		.amdhsa_accum_offset 20
		.amdhsa_reserve_vcc 1
		.amdhsa_float_round_mode_32 0
		.amdhsa_float_round_mode_16_64 0
		.amdhsa_float_denorm_mode_32 3
		.amdhsa_float_denorm_mode_16_64 3
		.amdhsa_dx10_clamp 1
		.amdhsa_ieee_mode 1
		.amdhsa_fp16_overflow 0
		.amdhsa_tg_split 0
		.amdhsa_exception_fp_ieee_invalid_op 0
		.amdhsa_exception_fp_denorm_src 0
		.amdhsa_exception_fp_ieee_div_zero 0
		.amdhsa_exception_fp_ieee_overflow 0
		.amdhsa_exception_fp_ieee_underflow 0
		.amdhsa_exception_fp_ieee_inexact 0
		.amdhsa_exception_int_div_zero 0
	.end_amdhsa_kernel
	.section	.text._ZL33flash_attn_stream_k_fixup_generalILi256ELi16ELi4EEvPfPK15HIP_vector_typeIfLj2EEiiiiS1_IjLj3EES5_S5_S5_,"axG",@progbits,_ZL33flash_attn_stream_k_fixup_generalILi256ELi16ELi4EEvPfPK15HIP_vector_typeIfLj2EEiiiiS1_IjLj3EES5_S5_S5_,comdat
.Lfunc_end32:
	.size	_ZL33flash_attn_stream_k_fixup_generalILi256ELi16ELi4EEvPfPK15HIP_vector_typeIfLj2EEiiiiS1_IjLj3EES5_S5_S5_, .Lfunc_end32-_ZL33flash_attn_stream_k_fixup_generalILi256ELi16ELi4EEvPfPK15HIP_vector_typeIfLj2EEiiiiS1_IjLj3EES5_S5_S5_
                                        ; -- End function
	.set _ZL33flash_attn_stream_k_fixup_generalILi256ELi16ELi4EEvPfPK15HIP_vector_typeIfLj2EEiiiiS1_IjLj3EES5_S5_S5_.num_vgpr, 18
	.set _ZL33flash_attn_stream_k_fixup_generalILi256ELi16ELi4EEvPfPK15HIP_vector_typeIfLj2EEiiiiS1_IjLj3EES5_S5_S5_.num_agpr, 0
	.set _ZL33flash_attn_stream_k_fixup_generalILi256ELi16ELi4EEvPfPK15HIP_vector_typeIfLj2EEiiiiS1_IjLj3EES5_S5_S5_.numbered_sgpr, 36
	.set _ZL33flash_attn_stream_k_fixup_generalILi256ELi16ELi4EEvPfPK15HIP_vector_typeIfLj2EEiiiiS1_IjLj3EES5_S5_S5_.num_named_barrier, 0
	.set _ZL33flash_attn_stream_k_fixup_generalILi256ELi16ELi4EEvPfPK15HIP_vector_typeIfLj2EEiiiiS1_IjLj3EES5_S5_S5_.private_seg_size, 0
	.set _ZL33flash_attn_stream_k_fixup_generalILi256ELi16ELi4EEvPfPK15HIP_vector_typeIfLj2EEiiiiS1_IjLj3EES5_S5_S5_.uses_vcc, 1
	.set _ZL33flash_attn_stream_k_fixup_generalILi256ELi16ELi4EEvPfPK15HIP_vector_typeIfLj2EEiiiiS1_IjLj3EES5_S5_S5_.uses_flat_scratch, 0
	.set _ZL33flash_attn_stream_k_fixup_generalILi256ELi16ELi4EEvPfPK15HIP_vector_typeIfLj2EEiiiiS1_IjLj3EES5_S5_S5_.has_dyn_sized_stack, 0
	.set _ZL33flash_attn_stream_k_fixup_generalILi256ELi16ELi4EEvPfPK15HIP_vector_typeIfLj2EEiiiiS1_IjLj3EES5_S5_S5_.has_recursion, 0
	.set _ZL33flash_attn_stream_k_fixup_generalILi256ELi16ELi4EEvPfPK15HIP_vector_typeIfLj2EEiiiiS1_IjLj3EES5_S5_S5_.has_indirect_call, 0
	.section	.AMDGPU.csdata,"",@progbits
; Kernel info:
; codeLenInByte = 2940
; TotalNumSgprs: 42
; NumVgprs: 18
; NumAgprs: 0
; TotalNumVgprs: 18
; ScratchSize: 0
; MemoryBound: 0
; FloatMode: 240
; IeeeMode: 1
; LDSByteSize: 0 bytes/workgroup (compile time only)
; SGPRBlocks: 5
; VGPRBlocks: 2
; NumSGPRsForWavesPerEU: 42
; NumVGPRsForWavesPerEU: 18
; AccumOffset: 20
; Occupancy: 8
; WaveLimiterHint : 0
; COMPUTE_PGM_RSRC2:SCRATCH_EN: 0
; COMPUTE_PGM_RSRC2:USER_SGPR: 2
; COMPUTE_PGM_RSRC2:TRAP_HANDLER: 0
; COMPUTE_PGM_RSRC2:TGID_X_EN: 1
; COMPUTE_PGM_RSRC2:TGID_Y_EN: 1
; COMPUTE_PGM_RSRC2:TGID_Z_EN: 1
; COMPUTE_PGM_RSRC2:TIDIG_COMP_CNT: 0
; COMPUTE_PGM_RSRC3_GFX90A:ACCUM_OFFSET: 4
; COMPUTE_PGM_RSRC3_GFX90A:TG_SPLIT: 0
	.section	.text._ZL26flash_attn_combine_resultsILi256EEvPKfPK15HIP_vector_typeIfLj2EEPfi,"axG",@progbits,_ZL26flash_attn_combine_resultsILi256EEvPKfPK15HIP_vector_typeIfLj2EEPfi,comdat
	.globl	_ZL26flash_attn_combine_resultsILi256EEvPKfPK15HIP_vector_typeIfLj2EEPfi ; -- Begin function _ZL26flash_attn_combine_resultsILi256EEvPKfPK15HIP_vector_typeIfLj2EEPfi
	.p2align	8
	.type	_ZL26flash_attn_combine_resultsILi256EEvPKfPK15HIP_vector_typeIfLj2EEPfi,@function
_ZL26flash_attn_combine_resultsILi256EEvPKfPK15HIP_vector_typeIfLj2EEPfi: ; @_ZL26flash_attn_combine_resultsILi256EEvPKfPK15HIP_vector_typeIfLj2EEPfi
; %bb.0:
	s_load_dwordx2 s[6:7], s[0:1], 0x20
	s_load_dword s19, s[0:1], 0x18
	s_load_dwordx4 s[8:11], s[0:1], 0x0
	s_load_dwordx2 s[14:15], s[0:1], 0x10
	s_waitcnt lgkmcnt(0)
	s_mul_i32 s0, s6, s4
	s_add_i32 s0, s0, s2
	s_mul_i32 s18, s0, s7
	s_add_i32 s18, s18, s3
	s_lshl_b32 s20, s19, 1
	s_mul_i32 s2, s18, s19
	v_cmp_gt_i32_e32 vcc, s20, v0
	s_and_saveexec_b64 s[0:1], vcc
	s_cbranch_execz .LBB33_13
; %bb.1:
	v_xad_u32 v1, v0, -1, s20
	s_movk_i32 s4, 0xff
	s_ashr_i32 s3, s2, 31
	v_cmp_lt_u32_e32 vcc, s4, v1
	s_mov_b64 s[6:7], -1
	v_mov_b32_e32 v2, v0
	s_and_saveexec_b64 s[4:5], vcc
	s_cbranch_execz .LBB33_10
; %bb.2:
	v_lshrrev_b32_e32 v6, 8, v1
	s_lshl_b64 s[6:7], s[2:3], 3
	v_add_u32_e32 v2, -1, v6
	s_add_u32 s6, s10, s6
	v_or_b32_e32 v1, 0x100, v0
	v_lshrrev_b32_e32 v3, 1, v2
	s_addc_u32 s7, s11, s7
	s_mov_b32 s21, 0
	v_add_u32_e32 v7, 1, v3
	v_cmp_lt_u32_e32 vcc, 13, v2
	v_mov_b32_e32 v4, 0
	v_mov_b64_e32 v[2:3], v[0:1]
	s_and_saveexec_b64 s[12:13], vcc
	s_cbranch_execz .LBB33_6
; %bb.3:
	v_and_b32_e32 v8, -8, v7
	v_lshl_add_u32 v9, v0, 2, 0
	s_mov_b64 s[16:17], 0
	v_mov_b32_e32 v5, 0
	v_mov_b64_e32 v[2:3], v[0:1]
.LBB33_4:                               ; =>This Inner Loop Header: Depth=1
	v_mov_b32_e32 v4, v2
	v_lshl_add_u64 v[24:25], v[4:5], 2, s[6:7]
	v_mov_b32_e32 v4, v3
	v_add_u32_e32 v10, 0x200, v3
	v_mov_b32_e32 v11, v5
	v_lshl_add_u64 v[26:27], v[4:5], 2, s[6:7]
	v_add_u32_e32 v4, 0x200, v2
	v_lshl_add_u64 v[10:11], v[10:11], 2, s[6:7]
	global_load_dword v1, v[24:25], off
	v_lshl_add_u64 v[24:25], v[4:5], 2, s[6:7]
	v_add_u32_e32 v4, 0x400, v2
	global_load_dword v28, v[26:27], off
	global_load_dword v29, v[24:25], off
	;; [unrolled: 1-line block ×3, first 2 shown]
	v_lshl_add_u64 v[10:11], v[4:5], 2, s[6:7]
	v_add_u32_e32 v4, 0x600, v2
	v_add_u32_e32 v12, 0x400, v3
	v_mov_b32_e32 v13, v5
	v_add_u32_e32 v14, 0x600, v3
	v_mov_b32_e32 v15, v5
	v_lshl_add_u64 v[24:25], v[4:5], 2, s[6:7]
	v_add_u32_e32 v4, 0x800, v2
	v_lshl_add_u64 v[12:13], v[12:13], 2, s[6:7]
	v_lshl_add_u64 v[14:15], v[14:15], 2, s[6:7]
	global_load_dword v26, v[10:11], off
	global_load_dword v27, v[12:13], off
	global_load_dword v31, v[24:25], off
	global_load_dword v32, v[14:15], off
	v_lshl_add_u64 v[10:11], v[4:5], 2, s[6:7]
	v_add_u32_e32 v4, 0xa00, v2
	v_add_u32_e32 v16, 0x800, v3
	v_mov_b32_e32 v17, v5
	v_add_u32_e32 v18, 0xa00, v3
	v_mov_b32_e32 v19, v5
	v_lshl_add_u64 v[12:13], v[4:5], 2, s[6:7]
	v_add_u32_e32 v4, 0xc00, v2
	v_add_u32_e32 v20, 0xc00, v3
	v_mov_b32_e32 v21, v5
	v_add_u32_e32 v22, 0xe00, v3
	v_mov_b32_e32 v23, v5
	v_lshl_add_u64 v[16:17], v[16:17], 2, s[6:7]
	v_lshl_add_u64 v[18:19], v[18:19], 2, s[6:7]
	global_load_dword v14, v[10:11], off
	global_load_dword v15, v[16:17], off
	;; [unrolled: 1-line block ×4, first 2 shown]
	v_lshl_add_u64 v[10:11], v[4:5], 2, s[6:7]
	v_add_u32_e32 v4, 0xe00, v2
	v_lshl_add_u64 v[20:21], v[20:21], 2, s[6:7]
	v_lshl_add_u64 v[22:23], v[22:23], 2, s[6:7]
	v_lshl_add_u64 v[12:13], v[4:5], 2, s[6:7]
	global_load_dword v16, v[10:11], off
	global_load_dword v17, v[20:21], off
	;; [unrolled: 1-line block ×4, first 2 shown]
	v_add_u32_e32 v8, -8, v8
	s_add_i32 s21, s21, 16
	v_cmp_eq_u32_e32 vcc, 0, v8
	v_add_u32_e32 v3, 0x1000, v3
	v_mov_b32_e32 v4, s21
	s_or_b64 s[16:17], vcc, s[16:17]
	v_add_u32_e32 v2, 0x1000, v2
	s_waitcnt vmcnt(14)
	ds_write2st64_b32 v9, v1, v28 offset1:4
	s_waitcnt vmcnt(12)
	ds_write2st64_b32 v9, v29, v30 offset0:8 offset1:12
	s_waitcnt vmcnt(10)
	ds_write2st64_b32 v9, v26, v27 offset0:16 offset1:20
	;; [unrolled: 2-line block ×7, first 2 shown]
	v_add_u32_e32 v9, 0x4000, v9
	s_andn2_b64 exec, exec, s[16:17]
	s_cbranch_execnz .LBB33_4
; %bb.5:
	s_or_b64 exec, exec, s[16:17]
.LBB33_6:
	s_or_b64 exec, exec, s[12:13]
	v_and_b32_e32 v1, 7, v7
	v_cmp_ne_u32_e32 vcc, 0, v1
	s_and_saveexec_b64 s[12:13], vcc
	s_cbranch_execz .LBB33_9
; %bb.7:
	v_lshlrev_b32_e32 v5, 2, v0
	v_lshl_or_b32 v4, v4, 10, v5
	v_add_u32_e32 v7, 0, v4
	s_mov_b64 s[16:17], 0
	v_mov_b32_e32 v5, 0
.LBB33_8:                               ; =>This Inner Loop Header: Depth=1
	v_mov_b32_e32 v4, v2
	v_lshl_add_u64 v[8:9], v[4:5], 2, s[6:7]
	v_mov_b32_e32 v4, v3
	v_lshl_add_u64 v[10:11], v[4:5], 2, s[6:7]
	global_load_dword v4, v[8:9], off
	global_load_dword v12, v[10:11], off
	v_add_u32_e32 v1, -1, v1
	v_cmp_eq_u32_e32 vcc, 0, v1
	v_add_u32_e32 v2, 0x200, v2
	v_add_u32_e32 v3, 0x200, v3
	s_or_b64 s[16:17], vcc, s[16:17]
	s_waitcnt vmcnt(0)
	ds_write2st64_b32 v7, v4, v12 offset1:4
	v_add_u32_e32 v7, 0x800, v7
	s_andn2_b64 exec, exec, s[16:17]
	s_cbranch_execnz .LBB33_8
.LBB33_9:
	s_or_b64 exec, exec, s[12:13]
	v_add_u32_e32 v1, 1, v6
	v_and_b32_e32 v3, 0x1fffffe, v1
	v_cmp_ne_u32_e32 vcc, v1, v3
	v_lshl_or_b32 v2, v3, 8, v0
	s_orn2_b64 s[6:7], vcc, exec
.LBB33_10:
	s_or_b64 exec, exec, s[4:5]
	s_and_b64 exec, exec, s[6:7]
	s_cbranch_execz .LBB33_13
; %bb.11:
	s_lshl_b64 s[4:5], s[2:3], 3
	s_add_u32 s4, s10, s4
	v_mov_b32_e32 v3, 0
	s_addc_u32 s5, s11, s5
	v_lshl_add_u64 v[4:5], v[2:3], 2, s[4:5]
	v_lshl_add_u32 v1, v2, 2, 0
	s_mov_b64 s[4:5], 0
	s_mov_b64 s[6:7], 0x400
.LBB33_12:                              ; =>This Inner Loop Header: Depth=1
	global_load_dword v3, v[4:5], off
	v_add_u32_e32 v2, 0x100, v2
	v_cmp_le_i32_e32 vcc, s20, v2
	v_lshl_add_u64 v[4:5], v[4:5], 0, s[6:7]
	s_or_b64 s[4:5], vcc, s[4:5]
	s_waitcnt vmcnt(0)
	ds_write_b32 v1, v3
	v_add_u32_e32 v1, 0x400, v1
	s_andn2_b64 exec, exec, s[4:5]
	s_cbranch_execnz .LBB33_12
.LBB33_13:
	s_or_b64 exec, exec, s[0:1]
	v_mov_b32_e32 v1, 0
	s_waitcnt lgkmcnt(0)
	s_barrier
	ds_read_b32 v1, v1
	s_cmp_lt_i32 s19, 2
	s_cbranch_scc1 .LBB33_21
; %bb.14:
	s_cmp_eq_u32 s19, 2
	s_cbranch_scc1 .LBB33_18
; %bb.15:
	s_add_i32 s3, s19, -1
	s_and_b32 s4, s3, -2
	s_add_i32 s6, 0, 8
	s_mov_b32 s5, 2
	s_waitcnt lgkmcnt(0)
	v_mov_b32_e32 v4, v1
.LBB33_16:                              ; =>This Inner Loop Header: Depth=1
	v_mov_b32_e32 v2, v1
	v_mov_b32_e32 v1, s6
	;; [unrolled: 1-line block ×3, first 2 shown]
	ds_read2_b32 v[4:5], v1 offset1:2
	s_cmp_lg_u32 s4, s5
	s_cselect_b64 s[10:11], -1, 0
	v_max_f32_e32 v1, v3, v3
	v_max_f32_e32 v6, v2, v2
	s_waitcnt lgkmcnt(0)
	v_cmp_u_f32_e32 vcc, v5, v5
	v_max_f32_e32 v7, v5, v5
	v_max_f32_e32 v8, v4, v4
	v_cndmask_b32_e64 v5, 0, 1, vcc
	v_cmp_u_f32_e32 vcc, v4, v4
	v_readfirstlane_b32 s0, v5
	s_lshl_b32 s0, s0, 1
	v_cndmask_b32_e64 v9, 0, 1, vcc
	v_max_f32_e32 v4, v1, v7
	v_readfirstlane_b32 s1, v9
	s_or_b32 s0, s1, s0
	s_and_b32 s7, s0, 3
	s_cmp_lg_u32 s7, 0
	s_cselect_b64 s[0:1], -1, 0
	s_cmp_eq_u32 s7, 0
	s_cselect_b64 s[12:13], -1, 0
	s_and_b64 s[10:11], s[12:13], s[10:11]
	v_max_f32_e32 v1, v6, v8
	s_add_i32 s5, s5, 2
	s_add_i32 s6, s6, 16
	s_and_b64 vcc, exec, s[10:11]
	s_cbranch_vccnz .LBB33_16
; %bb.17:
	s_add_i32 s5, s5, -4
	s_and_b64 s[6:7], s[0:1], exec
	s_cselect_b32 s5, s5, s3
	s_or_b32 s5, s5, 1
	v_cndmask_b32_e64 v1, v1, v2, s[0:1]
	v_cndmask_b32_e64 v2, v4, v3, s[0:1]
	s_cmp_lg_u32 s3, s4
	v_max_f32_e32 v2, v2, v2
	v_max_f32_e32 v1, v1, v1
	s_cselect_b64 s[6:7], -1, 0
	v_max_f32_e32 v1, v1, v2
	s_or_b64 s[0:1], s[6:7], s[0:1]
	s_and_b64 vcc, exec, s[0:1]
	s_cbranch_vccnz .LBB33_19
	s_branch .LBB33_21
.LBB33_18:
	s_mov_b32 s5, 1
	s_cbranch_execz .LBB33_21
.LBB33_19:
	s_lshl_b32 s1, s5, 3
	s_sub_i32 s0, s19, s5
	s_add_i32 s1, s1, 0
.LBB33_20:                              ; =>This Inner Loop Header: Depth=1
	v_mov_b32_e32 v2, s1
	ds_read_b32 v2, v2
	s_waitcnt lgkmcnt(1)
	v_max_f32_e32 v1, v1, v1
	s_add_i32 s0, s0, -1
	s_add_i32 s1, s1, 8
	s_cmp_eq_u32 s0, 0
	s_waitcnt lgkmcnt(0)
	v_max_f32_e32 v2, v2, v2
	v_max_f32_e32 v1, v1, v2
	s_cbranch_scc0 .LBB33_20
.LBB33_21:
	s_cmp_lt_i32 s19, 1
	s_cbranch_scc1 .LBB33_26
; %bb.22:
	s_lshl_b32 s0, s2, 8
	s_ashr_i32 s1, s0, 31
	s_lshl_b64 s[0:1], s[0:1], 2
	s_add_u32 s16, s8, s0
	s_addc_u32 s17, s9, s1
	s_cmp_lt_u32 s19, 8
	s_cbranch_scc1 .LBB33_27
; %bb.23:
	v_mov_b32_e32 v7, 0
	s_and_b32 s20, s19, 0x7ffffff8
	v_or_b32_e32 v4, 0x700, v0
	s_mov_b32 s21, 0
	s_mov_b32 s22, 0x3fb8aa3b
	;; [unrolled: 1-line block ×4, first 2 shown]
	v_mov_b32_e32 v8, 0x7f800000
	s_mov_b32 s25, 0
	v_mov_b32_e32 v2, v7
	v_mov_b32_e32 v3, v7
.LBB33_24:                              ; =>This Inner Loop Header: Depth=1
	v_add_u32_e32 v6, 0xfffff900, v4
	v_lshl_add_u64 v[26:27], v[6:7], 2, s[16:17]
	v_add_u32_e32 v6, 0xfffffa00, v4
	v_mov_b32_e32 v9, s21
	v_lshl_add_u64 v[30:31], v[6:7], 2, s[16:17]
	v_add_u32_e32 v6, 0xfffffb00, v4
	ds_read2_b64 v[10:13], v9 offset1:1
	ds_read2_b64 v[14:17], v9 offset0:2 offset1:3
	ds_read2_b64 v[18:21], v9 offset0:4 offset1:5
	;; [unrolled: 1-line block ×3, first 2 shown]
	global_load_dword v33, v[26:27], off
	global_load_dword v35, v[30:31], off
	v_lshl_add_u64 v[26:27], v[6:7], 2, s[16:17]
	v_add_u32_e32 v6, 0xfffffc00, v4
	v_lshl_add_u64 v[30:31], v[6:7], 2, s[16:17]
	v_add_u32_e32 v6, 0xfffffd00, v4
	global_load_dword v37, v[26:27], off
	global_load_dword v39, v[30:31], off
	v_lshl_add_u64 v[26:27], v[6:7], 2, s[16:17]
	v_add_u32_e32 v6, 0xfffffe00, v4
	s_waitcnt lgkmcnt(3)
	v_mov_b32_e32 v32, v11
	v_sub_f32_e32 v9, v12, v1
	v_mov_b32_e32 v34, v13
	global_load_dword v11, v[26:27], off
	v_lshl_add_u64 v[12:13], v[6:7], 2, s[16:17]
	s_waitcnt lgkmcnt(2)
	v_mov_b32_e32 v36, v15
	v_add_u32_e32 v6, 0xffffff00, v4
	global_load_dword v15, v[12:13], off
	v_mov_b32_e32 v5, v7
	v_lshl_add_u64 v[12:13], v[6:7], 2, s[16:17]
	v_lshl_add_u64 v[28:29], v[4:5], 2, s[16:17]
	v_sub_f32_e32 v5, v10, v1
	v_mov_b32_e32 v38, v17
	s_waitcnt lgkmcnt(1)
	v_mov_b32_e32 v10, v19
	global_load_dword v17, v[12:13], off
	global_load_dword v19, v[28:29], off
	v_sub_f32_e32 v30, v14, v1
	v_sub_f32_e32 v31, v16, v1
	v_sub_f32_e32 v40, v18, v1
	v_mov_b32_e32 v14, v21
	s_waitcnt lgkmcnt(0)
	v_sub_f32_e32 v21, v22, v1
	v_mov_b32_e32 v16, v23
	v_sub_f32_e32 v22, v24, v1
	v_mul_f32_e32 v23, 0x3fb8aa3b, v5
	v_mov_b32_e32 v18, v25
	v_mul_f32_e32 v24, 0x3fb8aa3b, v9
	v_mul_f32_e32 v25, 0x3fb8aa3b, v30
	;; [unrolled: 1-line block ×5, first 2 shown]
	v_fma_f32 v43, v5, s22, -v23
	v_rndne_f32_e32 v44, v23
	v_sub_f32_e32 v20, v20, v1
	v_fma_f32 v45, v9, s22, -v24
	v_rndne_f32_e32 v46, v24
	v_fma_f32 v47, v30, s22, -v25
	v_rndne_f32_e32 v48, v25
	;; [unrolled: 2-line block ×5, first 2 shown]
	v_fmac_f32_e32 v43, 0x32a5705f, v5
	v_sub_f32_e32 v12, v23, v44
	v_mul_f32_e32 v26, 0x3fb8aa3b, v31
	v_mul_f32_e32 v41, 0x3fb8aa3b, v20
	v_fmac_f32_e32 v45, 0x32a5705f, v9
	v_sub_f32_e32 v23, v24, v46
	v_fmac_f32_e32 v47, 0x32a5705f, v30
	v_sub_f32_e32 v25, v25, v48
	;; [unrolled: 2-line block ×5, first 2 shown]
	v_add_f32_e32 v12, v12, v43
	v_fma_f32 v49, v31, s22, -v26
	v_rndne_f32_e32 v50, v26
	v_fma_f32 v53, v20, s22, -v41
	v_rndne_f32_e32 v54, v41
	v_cvt_i32_f32_e32 v13, v44
	v_add_f32_e32 v23, v23, v45
	v_add_f32_e32 v25, v25, v47
	;; [unrolled: 1-line block ×5, first 2 shown]
	v_exp_f32_e32 v12, v12
	v_cvt_i32_f32_e32 v24, v46
	v_cvt_i32_f32_e32 v28, v48
	v_fmac_f32_e32 v49, 0x32a5705f, v31
	v_sub_f32_e32 v26, v26, v50
	v_cvt_i32_f32_e32 v29, v50
	v_cvt_i32_f32_e32 v44, v52
	v_fmac_f32_e32 v53, 0x32a5705f, v20
	v_sub_f32_e32 v41, v41, v54
	v_cvt_i32_f32_e32 v48, v56
	v_cvt_i32_f32_e32 v50, v58
	v_exp_f32_e32 v23, v23
	v_exp_f32_e32 v25, v25
	;; [unrolled: 1-line block ×5, first 2 shown]
	v_add_f32_e32 v26, v26, v49
	v_add_f32_e32 v41, v41, v53
	v_cvt_i32_f32_e32 v46, v54
	v_exp_f32_e32 v26, v26
	v_exp_f32_e32 v41, v41
	v_ldexp_f32 v12, v12, v13
	v_cmp_ngt_f32_e64 s[12:13], s23, v5
	v_ldexp_f32 v13, v23, v24
	v_cmp_ngt_f32_e32 vcc, s23, v9
	v_ldexp_f32 v23, v25, v28
	v_ldexp_f32 v25, v27, v44
	;; [unrolled: 1-line block ×3, first 2 shown]
	v_cmp_ngt_f32_e64 s[8:9], s23, v21
	v_ldexp_f32 v6, v6, v50
	v_cmp_ngt_f32_e64 s[10:11], s23, v22
	v_cndmask_b32_e64 v12, 0, v12, s[12:13]
	v_cmp_nlt_f32_e64 s[12:13], s24, v5
	v_cmp_ngt_f32_e64 s[0:1], s23, v30
	v_cndmask_b32_e32 v13, 0, v13, vcc
	v_cmp_nlt_f32_e32 vcc, s24, v9
	v_cndmask_b32_e64 v27, 0, v27, s[8:9]
	v_cmp_nlt_f32_e64 s[8:9], s24, v21
	v_cndmask_b32_e64 v21, 0, v6, s[10:11]
	v_cndmask_b32_e64 v6, v8, v12, s[12:13]
	v_ldexp_f32 v24, v26, v29
	v_cmp_ngt_f32_e64 s[2:3], s23, v31
	v_cmp_ngt_f32_e64 s[4:5], s23, v40
	v_ldexp_f32 v26, v41, v46
	v_cmp_ngt_f32_e64 s[6:7], s23, v20
	v_cndmask_b32_e64 v9, 0, v23, s[0:1]
	v_cmp_nlt_f32_e64 s[0:1], s24, v30
	v_cndmask_b32_e32 v12, v8, v13, vcc
	s_waitcnt vmcnt(7)
	v_pk_fma_f32 v[2:3], v[6:7], v[32:33], v[2:3] op_sel_hi:[0,1,1]
	v_cndmask_b32_e64 v23, 0, v24, s[2:3]
	v_cmp_nlt_f32_e64 s[2:3], s24, v31
	v_cndmask_b32_e64 v24, 0, v25, s[4:5]
	v_cndmask_b32_e64 v25, 0, v26, s[6:7]
	v_cmp_nlt_f32_e64 s[6:7], s24, v20
	v_cndmask_b32_e64 v20, v8, v9, s[0:1]
	s_waitcnt vmcnt(6)
	v_pk_fma_f32 v[2:3], v[12:13], v[34:35], v[2:3] op_sel_hi:[0,1,1]
	v_cmp_nlt_f32_e64 s[4:5], s24, v40
	v_cmp_nlt_f32_e64 s[10:11], s24, v22
	v_cndmask_b32_e64 v22, v8, v23, s[2:3]
	s_waitcnt vmcnt(5)
	v_pk_fma_f32 v[2:3], v[20:21], v[36:37], v[2:3] op_sel_hi:[0,1,1]
	v_cndmask_b32_e64 v24, v8, v24, s[4:5]
	s_waitcnt vmcnt(4)
	v_pk_fma_f32 v[2:3], v[22:23], v[38:39], v[2:3] op_sel_hi:[0,1,1]
	;; [unrolled: 3-line block ×4, first 2 shown]
	s_add_i32 s25, s25, 8
	s_add_i32 s21, s21, 64
	v_cndmask_b32_e64 v30, v8, v21, s[10:11]
	s_waitcnt vmcnt(1)
	v_pk_fma_f32 v[2:3], v[28:29], v[16:17], v[2:3] op_sel_hi:[0,1,1]
	s_cmp_eq_u32 s20, s25
	v_add_u32_e32 v4, 0x800, v4
	s_waitcnt vmcnt(0)
	v_pk_fma_f32 v[2:3], v[30:31], v[18:19], v[2:3] op_sel_hi:[0,1,1]
	s_cbranch_scc0 .LBB33_24
; %bb.25:
	s_and_b32 s0, s19, 7
	s_cmp_eq_u32 s0, 0
	s_cbranch_scc0 .LBB33_28
	s_branch .LBB33_30
.LBB33_26:
	s_waitcnt lgkmcnt(0)
	v_mov_b32_e32 v1, 0x7fc00000
	s_branch .LBB33_31
.LBB33_27:
	v_mov_b32_e32 v2, 0
	s_mov_b32 s20, 0
	v_mov_b32_e32 v3, v2
	s_and_b32 s0, s19, 7
	s_cmp_eq_u32 s0, 0
	s_cbranch_scc1 .LBB33_30
.LBB33_28:
	s_lshl_b32 s1, s20, 3
	v_lshl_or_b32 v4, s20, 8, v0
	s_add_i32 s1, s1, 0
	s_mov_b32 s2, 0x3fb8aa3b
	s_mov_b32 s3, 0xc2ce8ed0
	s_mov_b32 s4, 0x42b17218
	v_mov_b32_e32 v6, 0x7f800000
	v_mov_b32_e32 v5, 0
.LBB33_29:                              ; =>This Inner Loop Header: Depth=1
	v_lshl_add_u64 v[8:9], v[4:5], 2, s[16:17]
	global_load_dword v9, v[8:9], off
	v_mov_b32_e32 v7, s1
	ds_read_b64 v[10:11], v7
	s_add_i32 s1, s1, 8
	s_add_i32 s0, s0, -1
	v_add_u32_e32 v4, 0x100, v4
	s_cmp_lg_u32 s0, 0
	s_waitcnt lgkmcnt(0)
	v_sub_f32_e32 v7, v10, v1
	v_mul_f32_e32 v8, 0x3fb8aa3b, v7
	v_fma_f32 v10, v7, s2, -v8
	v_rndne_f32_e32 v12, v8
	v_fmac_f32_e32 v10, 0x32a5705f, v7
	v_sub_f32_e32 v8, v8, v12
	v_add_f32_e32 v8, v8, v10
	v_cvt_i32_f32_e32 v12, v12
	v_exp_f32_e32 v10, v8
	v_cmp_ngt_f32_e32 vcc, s3, v7
	v_mov_b32_e32 v8, v11
	v_ldexp_f32 v10, v10, v12
	v_cndmask_b32_e32 v10, 0, v10, vcc
	v_cmp_nlt_f32_e32 vcc, s4, v7
	s_nop 1
	v_cndmask_b32_e32 v10, v6, v10, vcc
	s_waitcnt vmcnt(0)
	v_pk_fma_f32 v[2:3], v[10:11], v[8:9], v[2:3] op_sel_hi:[0,1,1]
	s_cbranch_scc1 .LBB33_29
.LBB33_30:
	s_waitcnt lgkmcnt(0)
	v_div_scale_f32 v1, s[0:1], v2, v2, v3
	v_rcp_f32_e32 v4, v1
	v_div_scale_f32 v5, vcc, v3, v2, v3
	v_fma_f32 v6, -v1, v4, 1.0
	v_fmac_f32_e32 v4, v6, v4
	v_mul_f32_e32 v6, v5, v4
	v_fma_f32 v7, -v1, v6, v5
	v_fmac_f32_e32 v6, v7, v4
	v_fma_f32 v1, -v1, v6, v5
	v_div_fmas_f32 v1, v1, v4, v6
	v_div_fixup_f32 v1, v1, v2, v3
.LBB33_31:
	s_lshl_b32 s0, s18, 8
	s_ashr_i32 s1, s0, 31
	s_lshl_b64 s[0:1], s[0:1], 2
	s_add_u32 s0, s14, s0
	s_addc_u32 s1, s15, s1
	v_lshlrev_b32_e32 v0, 2, v0
	global_store_dword v0, v1, s[0:1]
	s_endpgm
	.section	.rodata,"a",@progbits
	.p2align	6, 0x0
	.amdhsa_kernel _ZL26flash_attn_combine_resultsILi256EEvPKfPK15HIP_vector_typeIfLj2EEPfi
		.amdhsa_group_segment_fixed_size 0
		.amdhsa_private_segment_fixed_size 0
		.amdhsa_kernarg_size 288
		.amdhsa_user_sgpr_count 2
		.amdhsa_user_sgpr_dispatch_ptr 0
		.amdhsa_user_sgpr_queue_ptr 0
		.amdhsa_user_sgpr_kernarg_segment_ptr 1
		.amdhsa_user_sgpr_dispatch_id 0
		.amdhsa_user_sgpr_kernarg_preload_length 0
		.amdhsa_user_sgpr_kernarg_preload_offset 0
		.amdhsa_user_sgpr_private_segment_size 0
		.amdhsa_uses_dynamic_stack 0
		.amdhsa_enable_private_segment 0
		.amdhsa_system_sgpr_workgroup_id_x 1
		.amdhsa_system_sgpr_workgroup_id_y 1
		.amdhsa_system_sgpr_workgroup_id_z 1
		.amdhsa_system_sgpr_workgroup_info 0
		.amdhsa_system_vgpr_workitem_id 0
		.amdhsa_next_free_vgpr 59
		.amdhsa_next_free_sgpr 26
		.amdhsa_accum_offset 60
		.amdhsa_reserve_vcc 1
		.amdhsa_float_round_mode_32 0
		.amdhsa_float_round_mode_16_64 0
		.amdhsa_float_denorm_mode_32 3
		.amdhsa_float_denorm_mode_16_64 3
		.amdhsa_dx10_clamp 1
		.amdhsa_ieee_mode 1
		.amdhsa_fp16_overflow 0
		.amdhsa_tg_split 0
		.amdhsa_exception_fp_ieee_invalid_op 0
		.amdhsa_exception_fp_denorm_src 0
		.amdhsa_exception_fp_ieee_div_zero 0
		.amdhsa_exception_fp_ieee_overflow 0
		.amdhsa_exception_fp_ieee_underflow 0
		.amdhsa_exception_fp_ieee_inexact 0
		.amdhsa_exception_int_div_zero 0
	.end_amdhsa_kernel
	.section	.text._ZL26flash_attn_combine_resultsILi256EEvPKfPK15HIP_vector_typeIfLj2EEPfi,"axG",@progbits,_ZL26flash_attn_combine_resultsILi256EEvPKfPK15HIP_vector_typeIfLj2EEPfi,comdat
.Lfunc_end33:
	.size	_ZL26flash_attn_combine_resultsILi256EEvPKfPK15HIP_vector_typeIfLj2EEPfi, .Lfunc_end33-_ZL26flash_attn_combine_resultsILi256EEvPKfPK15HIP_vector_typeIfLj2EEPfi
                                        ; -- End function
	.set _ZL26flash_attn_combine_resultsILi256EEvPKfPK15HIP_vector_typeIfLj2EEPfi.num_vgpr, 59
	.set _ZL26flash_attn_combine_resultsILi256EEvPKfPK15HIP_vector_typeIfLj2EEPfi.num_agpr, 0
	.set _ZL26flash_attn_combine_resultsILi256EEvPKfPK15HIP_vector_typeIfLj2EEPfi.numbered_sgpr, 26
	.set _ZL26flash_attn_combine_resultsILi256EEvPKfPK15HIP_vector_typeIfLj2EEPfi.num_named_barrier, 0
	.set _ZL26flash_attn_combine_resultsILi256EEvPKfPK15HIP_vector_typeIfLj2EEPfi.private_seg_size, 0
	.set _ZL26flash_attn_combine_resultsILi256EEvPKfPK15HIP_vector_typeIfLj2EEPfi.uses_vcc, 1
	.set _ZL26flash_attn_combine_resultsILi256EEvPKfPK15HIP_vector_typeIfLj2EEPfi.uses_flat_scratch, 0
	.set _ZL26flash_attn_combine_resultsILi256EEvPKfPK15HIP_vector_typeIfLj2EEPfi.has_dyn_sized_stack, 0
	.set _ZL26flash_attn_combine_resultsILi256EEvPKfPK15HIP_vector_typeIfLj2EEPfi.has_recursion, 0
	.set _ZL26flash_attn_combine_resultsILi256EEvPKfPK15HIP_vector_typeIfLj2EEPfi.has_indirect_call, 0
	.section	.AMDGPU.csdata,"",@progbits
; Kernel info:
; codeLenInByte = 2924
; TotalNumSgprs: 32
; NumVgprs: 59
; NumAgprs: 0
; TotalNumVgprs: 59
; ScratchSize: 0
; MemoryBound: 0
; FloatMode: 240
; IeeeMode: 1
; LDSByteSize: 0 bytes/workgroup (compile time only)
; SGPRBlocks: 3
; VGPRBlocks: 7
; NumSGPRsForWavesPerEU: 32
; NumVGPRsForWavesPerEU: 59
; AccumOffset: 60
; Occupancy: 8
; WaveLimiterHint : 0
; COMPUTE_PGM_RSRC2:SCRATCH_EN: 0
; COMPUTE_PGM_RSRC2:USER_SGPR: 2
; COMPUTE_PGM_RSRC2:TRAP_HANDLER: 0
; COMPUTE_PGM_RSRC2:TGID_X_EN: 1
; COMPUTE_PGM_RSRC2:TGID_Y_EN: 1
; COMPUTE_PGM_RSRC2:TGID_Z_EN: 1
; COMPUTE_PGM_RSRC2:TIDIG_COMP_CNT: 0
; COMPUTE_PGM_RSRC3_GFX90A:ACCUM_OFFSET: 14
; COMPUTE_PGM_RSRC3_GFX90A:TG_SPLIT: 0
	.section	.text._ZL18flash_attn_ext_f16ILi512ELi512ELi16ELi4ELb0ELb0EEvPKcS1_S1_S1_S1_PKiPfP15HIP_vector_typeIfLj2EEffffjfiS5_IjLj3EEiiiiiiiiiiiliiliiiiil,"axG",@progbits,_ZL18flash_attn_ext_f16ILi512ELi512ELi16ELi4ELb0ELb0EEvPKcS1_S1_S1_S1_PKiPfP15HIP_vector_typeIfLj2EEffffjfiS5_IjLj3EEiiiiiiiiiiiliiliiiiil,comdat
	.globl	_ZL18flash_attn_ext_f16ILi512ELi512ELi16ELi4ELb0ELb0EEvPKcS1_S1_S1_S1_PKiPfP15HIP_vector_typeIfLj2EEffffjfiS5_IjLj3EEiiiiiiiiiiiliiliiiiil ; -- Begin function _ZL18flash_attn_ext_f16ILi512ELi512ELi16ELi4ELb0ELb0EEvPKcS1_S1_S1_S1_PKiPfP15HIP_vector_typeIfLj2EEffffjfiS5_IjLj3EEiiiiiiiiiiiliiliiiiil
	.p2align	8
	.type	_ZL18flash_attn_ext_f16ILi512ELi512ELi16ELi4ELb0ELb0EEvPKcS1_S1_S1_S1_PKiPfP15HIP_vector_typeIfLj2EEffffjfiS5_IjLj3EEiiiiiiiiiiiliiliiiiil,@function
_ZL18flash_attn_ext_f16ILi512ELi512ELi16ELi4ELb0ELb0EEvPKcS1_S1_S1_S1_PKiPfP15HIP_vector_typeIfLj2EEffffjfiS5_IjLj3EEiiiiiiiiiiiliiliiiiil: ; @_ZL18flash_attn_ext_f16ILi512ELi512ELi16ELi4ELb0ELb0EEvPKcS1_S1_S1_S1_PKiPfP15HIP_vector_typeIfLj2EEffffjfiS5_IjLj3EEiiiiiiiiiiiliiliiiiil
; %bb.0:
	s_add_u32 s8, s0, 0xd0
	s_addc_u32 s9, s1, 0
	s_getpc_b64 s[0:1]
	s_add_u32 s0, s0, _ZL14no_device_codePKciS0_iS0_@rel32@lo+4
	s_addc_u32 s1, s1, _ZL14no_device_codePKciS0_iS0_@rel32@hi+12
	v_mov_b32_e32 v0, 0x6ea
	s_mov_b32 s32, 0
	s_swappc_b64 s[30:31], s[0:1]
	.section	.rodata,"a",@progbits
	.p2align	6, 0x0
	.amdhsa_kernel _ZL18flash_attn_ext_f16ILi512ELi512ELi16ELi4ELb0ELb0EEvPKcS1_S1_S1_S1_PKiPfP15HIP_vector_typeIfLj2EEffffjfiS5_IjLj3EEiiiiiiiiiiiliiliiiiil
		.amdhsa_group_segment_fixed_size 0
		.amdhsa_private_segment_fixed_size 16
		.amdhsa_kernarg_size 464
		.amdhsa_user_sgpr_count 2
		.amdhsa_user_sgpr_dispatch_ptr 0
		.amdhsa_user_sgpr_queue_ptr 0
		.amdhsa_user_sgpr_kernarg_segment_ptr 1
		.amdhsa_user_sgpr_dispatch_id 0
		.amdhsa_user_sgpr_kernarg_preload_length 0
		.amdhsa_user_sgpr_kernarg_preload_offset 0
		.amdhsa_user_sgpr_private_segment_size 0
		.amdhsa_uses_dynamic_stack 0
		.amdhsa_enable_private_segment 1
		.amdhsa_system_sgpr_workgroup_id_x 1
		.amdhsa_system_sgpr_workgroup_id_y 0
		.amdhsa_system_sgpr_workgroup_id_z 0
		.amdhsa_system_sgpr_workgroup_info 0
		.amdhsa_system_vgpr_workitem_id 0
		.amdhsa_next_free_vgpr 52
		.amdhsa_next_free_sgpr 34
		.amdhsa_accum_offset 52
		.amdhsa_reserve_vcc 1
		.amdhsa_float_round_mode_32 0
		.amdhsa_float_round_mode_16_64 0
		.amdhsa_float_denorm_mode_32 3
		.amdhsa_float_denorm_mode_16_64 3
		.amdhsa_dx10_clamp 1
		.amdhsa_ieee_mode 1
		.amdhsa_fp16_overflow 0
		.amdhsa_tg_split 0
		.amdhsa_exception_fp_ieee_invalid_op 0
		.amdhsa_exception_fp_denorm_src 0
		.amdhsa_exception_fp_ieee_div_zero 0
		.amdhsa_exception_fp_ieee_overflow 0
		.amdhsa_exception_fp_ieee_underflow 0
		.amdhsa_exception_fp_ieee_inexact 0
		.amdhsa_exception_int_div_zero 0
	.end_amdhsa_kernel
	.section	.text._ZL18flash_attn_ext_f16ILi512ELi512ELi16ELi4ELb0ELb0EEvPKcS1_S1_S1_S1_PKiPfP15HIP_vector_typeIfLj2EEffffjfiS5_IjLj3EEiiiiiiiiiiiliiliiiiil,"axG",@progbits,_ZL18flash_attn_ext_f16ILi512ELi512ELi16ELi4ELb0ELb0EEvPKcS1_S1_S1_S1_PKiPfP15HIP_vector_typeIfLj2EEffffjfiS5_IjLj3EEiiiiiiiiiiiliiliiiiil,comdat
.Lfunc_end34:
	.size	_ZL18flash_attn_ext_f16ILi512ELi512ELi16ELi4ELb0ELb0EEvPKcS1_S1_S1_S1_PKiPfP15HIP_vector_typeIfLj2EEffffjfiS5_IjLj3EEiiiiiiiiiiiliiliiiiil, .Lfunc_end34-_ZL18flash_attn_ext_f16ILi512ELi512ELi16ELi4ELb0ELb0EEvPKcS1_S1_S1_S1_PKiPfP15HIP_vector_typeIfLj2EEffffjfiS5_IjLj3EEiiiiiiiiiiiliiliiiiil
                                        ; -- End function
	.set _ZL18flash_attn_ext_f16ILi512ELi512ELi16ELi4ELb0ELb0EEvPKcS1_S1_S1_S1_PKiPfP15HIP_vector_typeIfLj2EEffffjfiS5_IjLj3EEiiiiiiiiiiiliiliiiiil.num_vgpr, max(1, .L_ZL14no_device_codePKciS0_iS0_.num_vgpr)
	.set _ZL18flash_attn_ext_f16ILi512ELi512ELi16ELi4ELb0ELb0EEvPKcS1_S1_S1_S1_PKiPfP15HIP_vector_typeIfLj2EEffffjfiS5_IjLj3EEiiiiiiiiiiiliiliiiiil.num_agpr, max(0, .L_ZL14no_device_codePKciS0_iS0_.num_agpr)
	.set _ZL18flash_attn_ext_f16ILi512ELi512ELi16ELi4ELb0ELb0EEvPKcS1_S1_S1_S1_PKiPfP15HIP_vector_typeIfLj2EEffffjfiS5_IjLj3EEiiiiiiiiiiiliiliiiiil.numbered_sgpr, max(33, .L_ZL14no_device_codePKciS0_iS0_.numbered_sgpr)
	.set _ZL18flash_attn_ext_f16ILi512ELi512ELi16ELi4ELb0ELb0EEvPKcS1_S1_S1_S1_PKiPfP15HIP_vector_typeIfLj2EEffffjfiS5_IjLj3EEiiiiiiiiiiiliiliiiiil.num_named_barrier, max(0, .L_ZL14no_device_codePKciS0_iS0_.num_named_barrier)
	.set _ZL18flash_attn_ext_f16ILi512ELi512ELi16ELi4ELb0ELb0EEvPKcS1_S1_S1_S1_PKiPfP15HIP_vector_typeIfLj2EEffffjfiS5_IjLj3EEiiiiiiiiiiiliiliiiiil.private_seg_size, 0+max(.L_ZL14no_device_codePKciS0_iS0_.private_seg_size)
	.set _ZL18flash_attn_ext_f16ILi512ELi512ELi16ELi4ELb0ELb0EEvPKcS1_S1_S1_S1_PKiPfP15HIP_vector_typeIfLj2EEffffjfiS5_IjLj3EEiiiiiiiiiiiliiliiiiil.uses_vcc, or(1, .L_ZL14no_device_codePKciS0_iS0_.uses_vcc)
	.set _ZL18flash_attn_ext_f16ILi512ELi512ELi16ELi4ELb0ELb0EEvPKcS1_S1_S1_S1_PKiPfP15HIP_vector_typeIfLj2EEffffjfiS5_IjLj3EEiiiiiiiiiiiliiliiiiil.uses_flat_scratch, or(0, .L_ZL14no_device_codePKciS0_iS0_.uses_flat_scratch)
	.set _ZL18flash_attn_ext_f16ILi512ELi512ELi16ELi4ELb0ELb0EEvPKcS1_S1_S1_S1_PKiPfP15HIP_vector_typeIfLj2EEffffjfiS5_IjLj3EEiiiiiiiiiiiliiliiiiil.has_dyn_sized_stack, or(0, .L_ZL14no_device_codePKciS0_iS0_.has_dyn_sized_stack)
	.set _ZL18flash_attn_ext_f16ILi512ELi512ELi16ELi4ELb0ELb0EEvPKcS1_S1_S1_S1_PKiPfP15HIP_vector_typeIfLj2EEffffjfiS5_IjLj3EEiiiiiiiiiiiliiliiiiil.has_recursion, or(0, .L_ZL14no_device_codePKciS0_iS0_.has_recursion)
	.set _ZL18flash_attn_ext_f16ILi512ELi512ELi16ELi4ELb0ELb0EEvPKcS1_S1_S1_S1_PKiPfP15HIP_vector_typeIfLj2EEffffjfiS5_IjLj3EEiiiiiiiiiiiliiliiiiil.has_indirect_call, or(0, .L_ZL14no_device_codePKciS0_iS0_.has_indirect_call)
	.section	.AMDGPU.csdata,"",@progbits
; Kernel info:
; codeLenInByte = 48
; TotalNumSgprs: 40
; NumVgprs: 52
; NumAgprs: 0
; TotalNumVgprs: 52
; ScratchSize: 16
; MemoryBound: 0
; FloatMode: 240
; IeeeMode: 1
; LDSByteSize: 0 bytes/workgroup (compile time only)
; SGPRBlocks: 4
; VGPRBlocks: 6
; NumSGPRsForWavesPerEU: 40
; NumVGPRsForWavesPerEU: 52
; AccumOffset: 52
; Occupancy: 8
; WaveLimiterHint : 1
; COMPUTE_PGM_RSRC2:SCRATCH_EN: 1
; COMPUTE_PGM_RSRC2:USER_SGPR: 2
; COMPUTE_PGM_RSRC2:TRAP_HANDLER: 0
; COMPUTE_PGM_RSRC2:TGID_X_EN: 1
; COMPUTE_PGM_RSRC2:TGID_Y_EN: 0
; COMPUTE_PGM_RSRC2:TGID_Z_EN: 0
; COMPUTE_PGM_RSRC2:TIDIG_COMP_CNT: 0
; COMPUTE_PGM_RSRC3_GFX90A:ACCUM_OFFSET: 12
; COMPUTE_PGM_RSRC3_GFX90A:TG_SPLIT: 0
	.section	.text._ZL18flash_attn_ext_f16ILi512ELi512ELi16ELi4ELb1ELb0EEvPKcS1_S1_S1_S1_PKiPfP15HIP_vector_typeIfLj2EEffffjfiS5_IjLj3EEiiiiiiiiiiiliiliiiiil,"axG",@progbits,_ZL18flash_attn_ext_f16ILi512ELi512ELi16ELi4ELb1ELb0EEvPKcS1_S1_S1_S1_PKiPfP15HIP_vector_typeIfLj2EEffffjfiS5_IjLj3EEiiiiiiiiiiiliiliiiiil,comdat
	.globl	_ZL18flash_attn_ext_f16ILi512ELi512ELi16ELi4ELb1ELb0EEvPKcS1_S1_S1_S1_PKiPfP15HIP_vector_typeIfLj2EEffffjfiS5_IjLj3EEiiiiiiiiiiiliiliiiiil ; -- Begin function _ZL18flash_attn_ext_f16ILi512ELi512ELi16ELi4ELb1ELb0EEvPKcS1_S1_S1_S1_PKiPfP15HIP_vector_typeIfLj2EEffffjfiS5_IjLj3EEiiiiiiiiiiiliiliiiiil
	.p2align	8
	.type	_ZL18flash_attn_ext_f16ILi512ELi512ELi16ELi4ELb1ELb0EEvPKcS1_S1_S1_S1_PKiPfP15HIP_vector_typeIfLj2EEffffjfiS5_IjLj3EEiiiiiiiiiiiliiliiiiil,@function
_ZL18flash_attn_ext_f16ILi512ELi512ELi16ELi4ELb1ELb0EEvPKcS1_S1_S1_S1_PKiPfP15HIP_vector_typeIfLj2EEffffjfiS5_IjLj3EEiiiiiiiiiiiliiliiiiil: ; @_ZL18flash_attn_ext_f16ILi512ELi512ELi16ELi4ELb1ELb0EEvPKcS1_S1_S1_S1_PKiPfP15HIP_vector_typeIfLj2EEffffjfiS5_IjLj3EEiiiiiiiiiiiliiliiiiil
; %bb.0:
	s_add_u32 s8, s0, 0xd0
	s_addc_u32 s9, s1, 0
	s_getpc_b64 s[0:1]
	s_add_u32 s0, s0, _ZL14no_device_codePKciS0_iS0_@rel32@lo+4
	s_addc_u32 s1, s1, _ZL14no_device_codePKciS0_iS0_@rel32@hi+12
	v_mov_b32_e32 v0, 0x6ea
	s_mov_b32 s32, 0
	s_swappc_b64 s[30:31], s[0:1]
	.section	.rodata,"a",@progbits
	.p2align	6, 0x0
	.amdhsa_kernel _ZL18flash_attn_ext_f16ILi512ELi512ELi16ELi4ELb1ELb0EEvPKcS1_S1_S1_S1_PKiPfP15HIP_vector_typeIfLj2EEffffjfiS5_IjLj3EEiiiiiiiiiiiliiliiiiil
		.amdhsa_group_segment_fixed_size 0
		.amdhsa_private_segment_fixed_size 16
		.amdhsa_kernarg_size 464
		.amdhsa_user_sgpr_count 2
		.amdhsa_user_sgpr_dispatch_ptr 0
		.amdhsa_user_sgpr_queue_ptr 0
		.amdhsa_user_sgpr_kernarg_segment_ptr 1
		.amdhsa_user_sgpr_dispatch_id 0
		.amdhsa_user_sgpr_kernarg_preload_length 0
		.amdhsa_user_sgpr_kernarg_preload_offset 0
		.amdhsa_user_sgpr_private_segment_size 0
		.amdhsa_uses_dynamic_stack 0
		.amdhsa_enable_private_segment 1
		.amdhsa_system_sgpr_workgroup_id_x 1
		.amdhsa_system_sgpr_workgroup_id_y 0
		.amdhsa_system_sgpr_workgroup_id_z 0
		.amdhsa_system_sgpr_workgroup_info 0
		.amdhsa_system_vgpr_workitem_id 0
		.amdhsa_next_free_vgpr 52
		.amdhsa_next_free_sgpr 34
		.amdhsa_accum_offset 52
		.amdhsa_reserve_vcc 1
		.amdhsa_float_round_mode_32 0
		.amdhsa_float_round_mode_16_64 0
		.amdhsa_float_denorm_mode_32 3
		.amdhsa_float_denorm_mode_16_64 3
		.amdhsa_dx10_clamp 1
		.amdhsa_ieee_mode 1
		.amdhsa_fp16_overflow 0
		.amdhsa_tg_split 0
		.amdhsa_exception_fp_ieee_invalid_op 0
		.amdhsa_exception_fp_denorm_src 0
		.amdhsa_exception_fp_ieee_div_zero 0
		.amdhsa_exception_fp_ieee_overflow 0
		.amdhsa_exception_fp_ieee_underflow 0
		.amdhsa_exception_fp_ieee_inexact 0
		.amdhsa_exception_int_div_zero 0
	.end_amdhsa_kernel
	.section	.text._ZL18flash_attn_ext_f16ILi512ELi512ELi16ELi4ELb1ELb0EEvPKcS1_S1_S1_S1_PKiPfP15HIP_vector_typeIfLj2EEffffjfiS5_IjLj3EEiiiiiiiiiiiliiliiiiil,"axG",@progbits,_ZL18flash_attn_ext_f16ILi512ELi512ELi16ELi4ELb1ELb0EEvPKcS1_S1_S1_S1_PKiPfP15HIP_vector_typeIfLj2EEffffjfiS5_IjLj3EEiiiiiiiiiiiliiliiiiil,comdat
.Lfunc_end35:
	.size	_ZL18flash_attn_ext_f16ILi512ELi512ELi16ELi4ELb1ELb0EEvPKcS1_S1_S1_S1_PKiPfP15HIP_vector_typeIfLj2EEffffjfiS5_IjLj3EEiiiiiiiiiiiliiliiiiil, .Lfunc_end35-_ZL18flash_attn_ext_f16ILi512ELi512ELi16ELi4ELb1ELb0EEvPKcS1_S1_S1_S1_PKiPfP15HIP_vector_typeIfLj2EEffffjfiS5_IjLj3EEiiiiiiiiiiiliiliiiiil
                                        ; -- End function
	.set _ZL18flash_attn_ext_f16ILi512ELi512ELi16ELi4ELb1ELb0EEvPKcS1_S1_S1_S1_PKiPfP15HIP_vector_typeIfLj2EEffffjfiS5_IjLj3EEiiiiiiiiiiiliiliiiiil.num_vgpr, max(1, .L_ZL14no_device_codePKciS0_iS0_.num_vgpr)
	.set _ZL18flash_attn_ext_f16ILi512ELi512ELi16ELi4ELb1ELb0EEvPKcS1_S1_S1_S1_PKiPfP15HIP_vector_typeIfLj2EEffffjfiS5_IjLj3EEiiiiiiiiiiiliiliiiiil.num_agpr, max(0, .L_ZL14no_device_codePKciS0_iS0_.num_agpr)
	.set _ZL18flash_attn_ext_f16ILi512ELi512ELi16ELi4ELb1ELb0EEvPKcS1_S1_S1_S1_PKiPfP15HIP_vector_typeIfLj2EEffffjfiS5_IjLj3EEiiiiiiiiiiiliiliiiiil.numbered_sgpr, max(33, .L_ZL14no_device_codePKciS0_iS0_.numbered_sgpr)
	.set _ZL18flash_attn_ext_f16ILi512ELi512ELi16ELi4ELb1ELb0EEvPKcS1_S1_S1_S1_PKiPfP15HIP_vector_typeIfLj2EEffffjfiS5_IjLj3EEiiiiiiiiiiiliiliiiiil.num_named_barrier, max(0, .L_ZL14no_device_codePKciS0_iS0_.num_named_barrier)
	.set _ZL18flash_attn_ext_f16ILi512ELi512ELi16ELi4ELb1ELb0EEvPKcS1_S1_S1_S1_PKiPfP15HIP_vector_typeIfLj2EEffffjfiS5_IjLj3EEiiiiiiiiiiiliiliiiiil.private_seg_size, 0+max(.L_ZL14no_device_codePKciS0_iS0_.private_seg_size)
	.set _ZL18flash_attn_ext_f16ILi512ELi512ELi16ELi4ELb1ELb0EEvPKcS1_S1_S1_S1_PKiPfP15HIP_vector_typeIfLj2EEffffjfiS5_IjLj3EEiiiiiiiiiiiliiliiiiil.uses_vcc, or(1, .L_ZL14no_device_codePKciS0_iS0_.uses_vcc)
	.set _ZL18flash_attn_ext_f16ILi512ELi512ELi16ELi4ELb1ELb0EEvPKcS1_S1_S1_S1_PKiPfP15HIP_vector_typeIfLj2EEffffjfiS5_IjLj3EEiiiiiiiiiiiliiliiiiil.uses_flat_scratch, or(0, .L_ZL14no_device_codePKciS0_iS0_.uses_flat_scratch)
	.set _ZL18flash_attn_ext_f16ILi512ELi512ELi16ELi4ELb1ELb0EEvPKcS1_S1_S1_S1_PKiPfP15HIP_vector_typeIfLj2EEffffjfiS5_IjLj3EEiiiiiiiiiiiliiliiiiil.has_dyn_sized_stack, or(0, .L_ZL14no_device_codePKciS0_iS0_.has_dyn_sized_stack)
	.set _ZL18flash_attn_ext_f16ILi512ELi512ELi16ELi4ELb1ELb0EEvPKcS1_S1_S1_S1_PKiPfP15HIP_vector_typeIfLj2EEffffjfiS5_IjLj3EEiiiiiiiiiiiliiliiiiil.has_recursion, or(0, .L_ZL14no_device_codePKciS0_iS0_.has_recursion)
	.set _ZL18flash_attn_ext_f16ILi512ELi512ELi16ELi4ELb1ELb0EEvPKcS1_S1_S1_S1_PKiPfP15HIP_vector_typeIfLj2EEffffjfiS5_IjLj3EEiiiiiiiiiiiliiliiiiil.has_indirect_call, or(0, .L_ZL14no_device_codePKciS0_iS0_.has_indirect_call)
	.section	.AMDGPU.csdata,"",@progbits
; Kernel info:
; codeLenInByte = 48
; TotalNumSgprs: 40
; NumVgprs: 52
; NumAgprs: 0
; TotalNumVgprs: 52
; ScratchSize: 16
; MemoryBound: 0
; FloatMode: 240
; IeeeMode: 1
; LDSByteSize: 0 bytes/workgroup (compile time only)
; SGPRBlocks: 4
; VGPRBlocks: 6
; NumSGPRsForWavesPerEU: 40
; NumVGPRsForWavesPerEU: 52
; AccumOffset: 52
; Occupancy: 8
; WaveLimiterHint : 1
; COMPUTE_PGM_RSRC2:SCRATCH_EN: 1
; COMPUTE_PGM_RSRC2:USER_SGPR: 2
; COMPUTE_PGM_RSRC2:TRAP_HANDLER: 0
; COMPUTE_PGM_RSRC2:TGID_X_EN: 1
; COMPUTE_PGM_RSRC2:TGID_Y_EN: 0
; COMPUTE_PGM_RSRC2:TGID_Z_EN: 0
; COMPUTE_PGM_RSRC2:TIDIG_COMP_CNT: 0
; COMPUTE_PGM_RSRC3_GFX90A:ACCUM_OFFSET: 12
; COMPUTE_PGM_RSRC3_GFX90A:TG_SPLIT: 0
	.section	.text._ZL33flash_attn_stream_k_fixup_uniformILi512ELi16ELi4EEvPfPK15HIP_vector_typeIfLj2EEiiiiiiS1_IjLj3EES5_S5_,"axG",@progbits,_ZL33flash_attn_stream_k_fixup_uniformILi512ELi16ELi4EEvPfPK15HIP_vector_typeIfLj2EEiiiiiiS1_IjLj3EES5_S5_,comdat
	.globl	_ZL33flash_attn_stream_k_fixup_uniformILi512ELi16ELi4EEvPfPK15HIP_vector_typeIfLj2EEiiiiiiS1_IjLj3EES5_S5_ ; -- Begin function _ZL33flash_attn_stream_k_fixup_uniformILi512ELi16ELi4EEvPfPK15HIP_vector_typeIfLj2EEiiiiiiS1_IjLj3EES5_S5_
	.p2align	8
	.type	_ZL33flash_attn_stream_k_fixup_uniformILi512ELi16ELi4EEvPfPK15HIP_vector_typeIfLj2EEiiiiiiS1_IjLj3EES5_S5_,@function
_ZL33flash_attn_stream_k_fixup_uniformILi512ELi16ELi4EEvPfPK15HIP_vector_typeIfLj2EEiiiiiiS1_IjLj3EES5_S5_: ; @_ZL33flash_attn_stream_k_fixup_uniformILi512ELi16ELi4EEvPfPK15HIP_vector_typeIfLj2EEiiiiiiS1_IjLj3EES5_S5_
; %bb.0:
	s_load_dwordx8 s[8:15], s[0:1], 0x1c
	s_load_dwordx2 s[6:7], s[0:1], 0x10
	s_load_dwordx4 s[20:23], s[0:1], 0x3c
	s_waitcnt lgkmcnt(0)
	s_mul_hi_u32 s5, s11, s2
	s_add_i32 s5, s2, s5
	s_lshr_b32 s5, s5, s12
	s_mul_i32 s11, s5, s13
	s_sub_i32 s11, s2, s11
	s_mul_hi_u32 s12, s11, s14
	s_add_i32 s12, s11, s12
	s_lshr_b32 s16, s12, s15
	s_mul_i32 s12, s16, s20
	s_sub_i32 s11, s11, s12
	;; [unrolled: 5-line block ×3, first 2 shown]
	s_lshl_b32 s11, s12, 2
	s_lshl_b32 s12, s17, 4
	s_add_i32 s12, s12, s3
	s_cmp_lt_i32 s12, s6
	s_cselect_b64 s[12:13], -1, 0
	s_add_i32 s14, s11, s4
	s_cmp_lt_i32 s14, s9
	s_cselect_b64 s[14:15], -1, 0
	s_and_b64 s[12:13], s[12:13], s[14:15]
	s_andn2_b64 vcc, exec, s[12:13]
	s_cbranch_vccnz .LBB36_6
; %bb.1:
	s_load_dwordx4 s[12:15], s[0:1], 0x0
	s_mul_i32 s0, s5, s6
	s_add_i32 s0, s0, s3
	s_mul_i32 s0, s0, s7
	s_mul_i32 s16, s16, s9
	s_add_i32 s0, s0, s4
	s_add_i32 s0, s0, s16
	s_mul_i32 s1, s7, s17
	s_add_i32 s0, s0, s11
	s_lshl_b32 s1, s1, 13
	s_lshl_b32 s0, s0, 9
	s_add_i32 s1, s1, s0
	v_or_b32_e32 v4, s1, v0
	s_waitcnt lgkmcnt(0)
	v_mov_b32_e32 v2, s12
	v_mov_b32_e32 v3, s13
	v_ashrrev_i32_e32 v5, 31, v4
	v_lshl_add_u64 v[2:3], v[4:5], 2, v[2:3]
	global_load_dword v5, v[2:3], off
	s_mul_i32 s5, s10, s2
	s_lshl_b32 s11, s3, 2
	s_add_i32 s9, s5, s10
	s_add_i32 s0, s11, s4
	s_lshl_b32 s1, s9, 6
	s_add_i32 s0, s0, s1
	s_sub_i32 s0, s0, 64
	s_ashr_i32 s1, s0, 31
	s_lshl_b64 s[0:1], s[0:1], 3
	s_add_u32 s0, s14, s0
	s_addc_u32 s1, s15, s1
	s_load_dword s12, s[0:1], 0x4
	s_add_i32 s6, s9, -2
	s_cmp_lt_i32 s6, s5
	s_cbranch_scc1 .LBB36_4
; %bb.2:
	s_lshl_b32 s6, s8, 8
	s_ashr_i32 s7, s6, 31
	s_lshl_b64 s[6:7], s[6:7], 2
	s_add_u32 s6, s14, s6
	s_addc_u32 s7, s15, s7
	s_add_i32 s2, s2, 1
	s_load_dword s0, s[0:1], 0x0
	s_mul_i32 s1, s10, s2
	s_lshl_b32 s3, s3, 11
	s_lshl_b32 s10, s4, 9
	;; [unrolled: 1-line block ×3, first 2 shown]
	s_add_i32 s3, s10, s3
	s_lshl_b32 s1, s1, 6
	s_add_i32 s3, s3, s2
	s_add_i32 s1, s4, s1
	s_lshl_b32 s2, s8, 6
	s_add_i32 s1, s1, s2
	v_or_b32_e32 v0, s3, v0
	s_add_i32 s1, s1, s11
	s_add_i32 s9, s9, -1
	v_add_u32_e32 v0, 0xffff0000, v0
	s_add_i32 s2, s1, 0xffffff80
	s_waitcnt lgkmcnt(0)
	v_mov_b32_e32 v7, s0
	v_mov_b32_e32 v4, s12
	s_mov_b32 s4, 0x3fb8aa3b
	s_mov_b32 s8, 0xc2ce8ed0
	;; [unrolled: 1-line block ×3, first 2 shown]
	v_mov_b32_e32 v6, 0x7f800000
	s_mov_b32 s11, 0xc1a00000
.LBB36_3:                               ; =>This Inner Loop Header: Depth=1
	v_ashrrev_i32_e32 v1, 31, v0
	v_lshl_add_u64 v[8:9], v[0:1], 2, s[6:7]
	global_load_dword v9, v[8:9], off
	s_ashr_i32 s3, s2, 31
	s_lshl_b64 s[0:1], s[2:3], 3
	s_add_u32 s0, s14, s0
	s_addc_u32 s1, s15, s1
	s_load_dwordx2 s[0:1], s[0:1], 0x0
	v_max_f32_e32 v1, v7, v7
	s_add_i32 s9, s9, -1
	s_sub_i32 s2, s2, 64
	v_add_u32_e32 v0, 0xffff8000, v0
	s_waitcnt lgkmcnt(0)
	v_max_f32_e64 v10, s0, s0
	v_max_f32_e32 v1, v1, v10
	v_sub_f32_e32 v11, s0, v1
	v_sub_f32_e32 v10, v7, v1
	v_mul_f32_e32 v12, 0x3fb8aa3b, v11
	v_mov_b32_e32 v7, v1
	v_mul_f32_e32 v1, 0x3fb8aa3b, v10
	v_fma_f32 v15, v11, s4, -v12
	v_rndne_f32_e32 v16, v12
	v_fma_f32 v13, v10, s4, -v1
	v_rndne_f32_e32 v14, v1
	v_fmac_f32_e32 v15, 0x32a5705f, v11
	v_sub_f32_e32 v12, v12, v16
	v_fmac_f32_e32 v13, 0x32a5705f, v10
	v_sub_f32_e32 v1, v1, v14
	v_add_f32_e32 v12, v12, v15
	v_cvt_i32_f32_e32 v16, v16
	v_add_f32_e32 v1, v1, v13
	v_exp_f32_e32 v12, v12
	v_cvt_i32_f32_e32 v14, v14
	v_exp_f32_e32 v1, v1
	v_cmp_ngt_f32_e32 vcc, s8, v11
	v_ldexp_f32 v12, v12, v16
	v_mov_b32_e32 v8, s1
	v_ldexp_f32 v1, v1, v14
	v_cmp_ngt_f32_e64 s[0:1], s8, v10
	v_cndmask_b32_e32 v12, 0, v12, vcc
	v_cmp_nlt_f32_e32 vcc, s10, v11
	v_cndmask_b32_e64 v1, 0, v1, s[0:1]
	v_cmp_nlt_f32_e64 s[0:1], s10, v10
	v_cndmask_b32_e32 v12, v6, v12, vcc
	v_cmp_le_f32_e32 vcc, s11, v11
	v_cndmask_b32_e64 v1, v6, v1, s[0:1]
	v_cmp_le_f32_e64 s[0:1], s11, v10
	v_cndmask_b32_e32 v12, 0, v12, vcc
	s_cmp_le_i32 s9, s5
	v_cndmask_b32_e64 v10, 0, v1, s[0:1]
	s_waitcnt vmcnt(0)
	v_pk_mul_f32 v[8:9], v[8:9], v[12:13] op_sel_hi:[1,0]
	s_nop 0
	v_pk_fma_f32 v[4:5], v[4:5], v[10:11], v[8:9] op_sel_hi:[1,0,1]
	s_cbranch_scc0 .LBB36_3
	s_branch .LBB36_5
.LBB36_4:
	s_waitcnt lgkmcnt(0)
	v_mov_b32_e32 v4, s12
.LBB36_5:
	s_waitcnt vmcnt(0)
	v_div_scale_f32 v0, s[0:1], v4, v4, v5
	v_rcp_f32_e32 v1, v0
	v_div_scale_f32 v6, vcc, v5, v4, v5
	v_fma_f32 v7, -v0, v1, 1.0
	v_fmac_f32_e32 v1, v7, v1
	v_mul_f32_e32 v7, v6, v1
	v_fma_f32 v8, -v0, v7, v6
	v_fmac_f32_e32 v7, v8, v1
	v_fma_f32 v0, -v0, v7, v6
	v_div_fmas_f32 v0, v0, v1, v7
	v_div_fixup_f32 v0, v0, v4, v5
	global_store_dword v[2:3], v0, off
.LBB36_6:
	s_endpgm
	.section	.rodata,"a",@progbits
	.p2align	6, 0x0
	.amdhsa_kernel _ZL33flash_attn_stream_k_fixup_uniformILi512ELi16ELi4EEvPfPK15HIP_vector_typeIfLj2EEiiiiiiS1_IjLj3EES5_S5_
		.amdhsa_group_segment_fixed_size 0
		.amdhsa_private_segment_fixed_size 0
		.amdhsa_kernarg_size 76
		.amdhsa_user_sgpr_count 2
		.amdhsa_user_sgpr_dispatch_ptr 0
		.amdhsa_user_sgpr_queue_ptr 0
		.amdhsa_user_sgpr_kernarg_segment_ptr 1
		.amdhsa_user_sgpr_dispatch_id 0
		.amdhsa_user_sgpr_kernarg_preload_length 0
		.amdhsa_user_sgpr_kernarg_preload_offset 0
		.amdhsa_user_sgpr_private_segment_size 0
		.amdhsa_uses_dynamic_stack 0
		.amdhsa_enable_private_segment 0
		.amdhsa_system_sgpr_workgroup_id_x 1
		.amdhsa_system_sgpr_workgroup_id_y 1
		.amdhsa_system_sgpr_workgroup_id_z 1
		.amdhsa_system_sgpr_workgroup_info 0
		.amdhsa_system_vgpr_workitem_id 0
		.amdhsa_next_free_vgpr 17
		.amdhsa_next_free_sgpr 24
		.amdhsa_accum_offset 20
		.amdhsa_reserve_vcc 1
		.amdhsa_float_round_mode_32 0
		.amdhsa_float_round_mode_16_64 0
		.amdhsa_float_denorm_mode_32 3
		.amdhsa_float_denorm_mode_16_64 3
		.amdhsa_dx10_clamp 1
		.amdhsa_ieee_mode 1
		.amdhsa_fp16_overflow 0
		.amdhsa_tg_split 0
		.amdhsa_exception_fp_ieee_invalid_op 0
		.amdhsa_exception_fp_denorm_src 0
		.amdhsa_exception_fp_ieee_div_zero 0
		.amdhsa_exception_fp_ieee_overflow 0
		.amdhsa_exception_fp_ieee_underflow 0
		.amdhsa_exception_fp_ieee_inexact 0
		.amdhsa_exception_int_div_zero 0
	.end_amdhsa_kernel
	.section	.text._ZL33flash_attn_stream_k_fixup_uniformILi512ELi16ELi4EEvPfPK15HIP_vector_typeIfLj2EEiiiiiiS1_IjLj3EES5_S5_,"axG",@progbits,_ZL33flash_attn_stream_k_fixup_uniformILi512ELi16ELi4EEvPfPK15HIP_vector_typeIfLj2EEiiiiiiS1_IjLj3EES5_S5_,comdat
.Lfunc_end36:
	.size	_ZL33flash_attn_stream_k_fixup_uniformILi512ELi16ELi4EEvPfPK15HIP_vector_typeIfLj2EEiiiiiiS1_IjLj3EES5_S5_, .Lfunc_end36-_ZL33flash_attn_stream_k_fixup_uniformILi512ELi16ELi4EEvPfPK15HIP_vector_typeIfLj2EEiiiiiiS1_IjLj3EES5_S5_
                                        ; -- End function
	.set _ZL33flash_attn_stream_k_fixup_uniformILi512ELi16ELi4EEvPfPK15HIP_vector_typeIfLj2EEiiiiiiS1_IjLj3EES5_S5_.num_vgpr, 17
	.set _ZL33flash_attn_stream_k_fixup_uniformILi512ELi16ELi4EEvPfPK15HIP_vector_typeIfLj2EEiiiiiiS1_IjLj3EES5_S5_.num_agpr, 0
	.set _ZL33flash_attn_stream_k_fixup_uniformILi512ELi16ELi4EEvPfPK15HIP_vector_typeIfLj2EEiiiiiiS1_IjLj3EES5_S5_.numbered_sgpr, 24
	.set _ZL33flash_attn_stream_k_fixup_uniformILi512ELi16ELi4EEvPfPK15HIP_vector_typeIfLj2EEiiiiiiS1_IjLj3EES5_S5_.num_named_barrier, 0
	.set _ZL33flash_attn_stream_k_fixup_uniformILi512ELi16ELi4EEvPfPK15HIP_vector_typeIfLj2EEiiiiiiS1_IjLj3EES5_S5_.private_seg_size, 0
	.set _ZL33flash_attn_stream_k_fixup_uniformILi512ELi16ELi4EEvPfPK15HIP_vector_typeIfLj2EEiiiiiiS1_IjLj3EES5_S5_.uses_vcc, 1
	.set _ZL33flash_attn_stream_k_fixup_uniformILi512ELi16ELi4EEvPfPK15HIP_vector_typeIfLj2EEiiiiiiS1_IjLj3EES5_S5_.uses_flat_scratch, 0
	.set _ZL33flash_attn_stream_k_fixup_uniformILi512ELi16ELi4EEvPfPK15HIP_vector_typeIfLj2EEiiiiiiS1_IjLj3EES5_S5_.has_dyn_sized_stack, 0
	.set _ZL33flash_attn_stream_k_fixup_uniformILi512ELi16ELi4EEvPfPK15HIP_vector_typeIfLj2EEiiiiiiS1_IjLj3EES5_S5_.has_recursion, 0
	.set _ZL33flash_attn_stream_k_fixup_uniformILi512ELi16ELi4EEvPfPK15HIP_vector_typeIfLj2EEiiiiiiS1_IjLj3EES5_S5_.has_indirect_call, 0
	.section	.AMDGPU.csdata,"",@progbits
; Kernel info:
; codeLenInByte = 840
; TotalNumSgprs: 30
; NumVgprs: 17
; NumAgprs: 0
; TotalNumVgprs: 17
; ScratchSize: 0
; MemoryBound: 0
; FloatMode: 240
; IeeeMode: 1
; LDSByteSize: 0 bytes/workgroup (compile time only)
; SGPRBlocks: 3
; VGPRBlocks: 2
; NumSGPRsForWavesPerEU: 30
; NumVGPRsForWavesPerEU: 17
; AccumOffset: 20
; Occupancy: 8
; WaveLimiterHint : 0
; COMPUTE_PGM_RSRC2:SCRATCH_EN: 0
; COMPUTE_PGM_RSRC2:USER_SGPR: 2
; COMPUTE_PGM_RSRC2:TRAP_HANDLER: 0
; COMPUTE_PGM_RSRC2:TGID_X_EN: 1
; COMPUTE_PGM_RSRC2:TGID_Y_EN: 1
; COMPUTE_PGM_RSRC2:TGID_Z_EN: 1
; COMPUTE_PGM_RSRC2:TIDIG_COMP_CNT: 0
; COMPUTE_PGM_RSRC3_GFX90A:ACCUM_OFFSET: 4
; COMPUTE_PGM_RSRC3_GFX90A:TG_SPLIT: 0
	.section	.text._ZL33flash_attn_stream_k_fixup_generalILi512ELi16ELi4EEvPfPK15HIP_vector_typeIfLj2EEiiiiS1_IjLj3EES5_S5_S5_,"axG",@progbits,_ZL33flash_attn_stream_k_fixup_generalILi512ELi16ELi4EEvPfPK15HIP_vector_typeIfLj2EEiiiiS1_IjLj3EES5_S5_S5_,comdat
	.globl	_ZL33flash_attn_stream_k_fixup_generalILi512ELi16ELi4EEvPfPK15HIP_vector_typeIfLj2EEiiiiS1_IjLj3EES5_S5_S5_ ; -- Begin function _ZL33flash_attn_stream_k_fixup_generalILi512ELi16ELi4EEvPfPK15HIP_vector_typeIfLj2EEiiiiS1_IjLj3EES5_S5_S5_
	.p2align	8
	.type	_ZL33flash_attn_stream_k_fixup_generalILi512ELi16ELi4EEvPfPK15HIP_vector_typeIfLj2EEiiiiS1_IjLj3EES5_S5_S5_,@function
_ZL33flash_attn_stream_k_fixup_generalILi512ELi16ELi4EEvPfPK15HIP_vector_typeIfLj2EEiiiiS1_IjLj3EES5_S5_S5_: ; @_ZL33flash_attn_stream_k_fixup_generalILi512ELi16ELi4EEvPfPK15HIP_vector_typeIfLj2EEiiiiS1_IjLj3EES5_S5_S5_
; %bb.0:
	s_load_dwordx4 s[8:11], s[0:1], 0x10
	s_load_dword s22, s[0:1], 0x50
	s_mov_b32 s12, 0
	s_waitcnt lgkmcnt(0)
	s_mul_hi_i32 s13, s11, s2
	s_cmp_lg_u64 s[12:13], 0
	s_mul_i32 s5, s11, s2
	s_cbranch_scc0 .LBB37_20
; %bb.1:
	s_add_u32 s6, s22, 0
	s_addc_u32 s7, 0, 0
	s_xor_b64 s[6:7], s[6:7], 0
	v_cvt_f32_u32_e32 v1, s6
	v_cvt_f32_u32_e32 v2, s7
	s_sub_u32 s12, 0, s6
	s_subb_u32 s18, 0, s7
	v_fmamk_f32 v1, v2, 0x4f800000, v1
	v_rcp_f32_e32 v1, v1
	s_nop 0
	v_mul_f32_e32 v1, 0x5f7ffffc, v1
	v_mul_f32_e32 v2, 0x2f800000, v1
	v_trunc_f32_e32 v2, v2
	v_fmamk_f32 v1, v2, 0xcf800000, v1
	v_cvt_u32_f32_e32 v2, v2
	v_cvt_u32_f32_e32 v1, v1
	v_readfirstlane_b32 s19, v2
	v_readfirstlane_b32 s14, v1
	s_mul_i32 s15, s12, s19
	s_mul_hi_u32 s21, s12, s14
	s_mul_i32 s20, s18, s14
	s_add_i32 s15, s21, s15
	s_add_i32 s15, s15, s20
	s_mul_i32 s23, s12, s14
	s_mul_i32 s21, s14, s15
	s_mul_hi_u32 s24, s14, s23
	s_mul_hi_u32 s20, s14, s15
	s_add_u32 s21, s24, s21
	s_addc_u32 s20, 0, s20
	s_mul_hi_u32 s25, s19, s23
	s_mul_i32 s23, s19, s23
	s_add_u32 s21, s21, s23
	s_mul_hi_u32 s24, s19, s15
	s_addc_u32 s20, s20, s25
	s_addc_u32 s21, s24, 0
	s_mul_i32 s15, s19, s15
	s_add_u32 s15, s20, s15
	s_addc_u32 s20, 0, s21
	s_add_u32 s21, s14, s15
	s_cselect_b64 s[14:15], -1, 0
	s_cmp_lg_u64 s[14:15], 0
	s_addc_u32 s19, s19, s20
	s_mul_i32 s14, s12, s19
	s_mul_hi_u32 s15, s12, s21
	s_add_i32 s14, s15, s14
	s_mul_i32 s18, s18, s21
	s_add_i32 s14, s14, s18
	s_mul_i32 s12, s12, s21
	s_mul_hi_u32 s18, s19, s12
	s_mul_i32 s20, s19, s12
	s_mul_i32 s24, s21, s14
	s_mul_hi_u32 s12, s21, s12
	s_mul_hi_u32 s23, s21, s14
	s_add_u32 s12, s12, s24
	s_addc_u32 s23, 0, s23
	s_add_u32 s12, s12, s20
	s_mul_hi_u32 s15, s19, s14
	s_addc_u32 s12, s23, s18
	s_addc_u32 s15, s15, 0
	s_mul_i32 s14, s19, s14
	s_add_u32 s12, s12, s14
	s_addc_u32 s18, 0, s15
	s_add_u32 s20, s21, s12
	s_cselect_b64 s[14:15], -1, 0
	s_cmp_lg_u64 s[14:15], 0
	s_addc_u32 s18, s19, s18
	s_ashr_i32 s14, s13, 31
	s_add_u32 s12, s5, s14
	s_mov_b32 s15, s14
	s_addc_u32 s13, s13, s14
	s_xor_b64 s[12:13], s[12:13], s[14:15]
	s_mul_i32 s21, s12, s18
	s_mul_hi_u32 s23, s12, s20
	s_mul_hi_u32 s19, s12, s18
	s_add_u32 s21, s23, s21
	s_addc_u32 s19, 0, s19
	s_mul_hi_u32 s24, s13, s20
	s_mul_i32 s20, s13, s20
	s_add_u32 s20, s21, s20
	s_mul_hi_u32 s23, s13, s18
	s_addc_u32 s19, s19, s24
	s_addc_u32 s20, s23, 0
	s_mul_i32 s18, s13, s18
	s_add_u32 s23, s19, s18
	s_addc_u32 s24, 0, s20
	s_mul_i32 s18, s6, s24
	s_mul_hi_u32 s19, s6, s23
	s_add_i32 s18, s19, s18
	s_mul_i32 s19, s7, s23
	s_add_i32 s25, s18, s19
	s_sub_i32 s20, s13, s25
	s_mul_i32 s18, s6, s23
	s_sub_u32 s12, s12, s18
	s_cselect_b64 s[18:19], -1, 0
	s_cmp_lg_u64 s[18:19], 0
	s_subb_u32 s26, s20, s7
	s_sub_u32 s27, s12, s6
	s_cselect_b64 s[20:21], -1, 0
	s_cmp_lg_u64 s[20:21], 0
	s_subb_u32 s20, s26, 0
	s_cmp_ge_u32 s20, s7
	s_cselect_b32 s21, -1, 0
	s_cmp_ge_u32 s27, s6
	s_cselect_b32 s26, -1, 0
	s_cmp_eq_u32 s20, s7
	s_cselect_b32 s20, s26, s21
	s_add_u32 s21, s23, 1
	s_addc_u32 s26, s24, 0
	s_add_u32 s27, s23, 2
	s_addc_u32 s28, s24, 0
	s_cmp_lg_u32 s20, 0
	s_cselect_b32 s20, s27, s21
	s_cselect_b32 s21, s28, s26
	s_cmp_lg_u64 s[18:19], 0
	s_subb_u32 s13, s13, s25
	s_cmp_ge_u32 s13, s7
	s_cselect_b32 s18, -1, 0
	s_cmp_ge_u32 s12, s6
	s_cselect_b32 s6, -1, 0
	s_cmp_eq_u32 s13, s7
	s_cselect_b32 s6, s6, s18
	s_cmp_lg_u32 s6, 0
	s_cselect_b32 s7, s21, s24
	s_cselect_b32 s6, s20, s23
	s_xor_b64 s[12:13], s[14:15], 0
	s_xor_b64 s[6:7], s[6:7], s[12:13]
	s_sub_u32 s6, s6, s12
	s_load_dwordx4 s[12:15], s[0:1], 0x44
	s_cbranch_execnz .LBB37_3
.LBB37_2:
	v_cvt_f32_u32_e32 v1, s22
	s_sub_i32 s6, 0, s22
	v_rcp_iflag_f32_e32 v1, v1
	s_nop 0
	v_mul_f32_e32 v1, 0x4f7ffffe, v1
	v_cvt_u32_f32_e32 v1, v1
	s_nop 0
	v_readfirstlane_b32 s7, v1
	s_mul_i32 s6, s6, s7
	s_mul_hi_u32 s6, s7, s6
	s_add_i32 s7, s7, s6
	s_mul_hi_u32 s6, s5, s7
	s_waitcnt lgkmcnt(0)
	s_mul_i32 s15, s6, s22
	s_sub_i32 s5, s5, s15
	s_add_i32 s7, s6, 1
	s_sub_i32 s15, s5, s22
	s_cmp_ge_u32 s5, s22
	s_cselect_b32 s6, s7, s6
	s_cselect_b32 s5, s15, s5
	s_add_i32 s7, s6, 1
	s_cmp_ge_u32 s5, s22
	s_cselect_b32 s6, s7, s6
.LBB37_3:
	s_add_i32 s5, s2, 1
	s_mul_hi_i32 s21, s11, s5
	s_mov_b32 s20, 0
	s_cmp_lg_u64 s[20:21], 0
	s_mul_i32 s5, s11, s5
	s_cbranch_scc0 .LBB37_21
; %bb.4:
	s_add_u32 s16, s22, 0
	s_addc_u32 s17, 0, 0
	s_xor_b64 s[18:19], s[16:17], 0
	v_cvt_f32_u32_e32 v1, s18
	v_cvt_f32_u32_e32 v2, s19
	s_sub_u32 s7, 0, s18
	s_waitcnt lgkmcnt(0)
	s_subb_u32 s15, 0, s19
	v_fmamk_f32 v1, v2, 0x4f800000, v1
	v_rcp_f32_e32 v1, v1
	s_nop 0
	v_mul_f32_e32 v1, 0x5f7ffffc, v1
	v_mul_f32_e32 v2, 0x2f800000, v1
	v_trunc_f32_e32 v2, v2
	v_fmamk_f32 v1, v2, 0xcf800000, v1
	v_cvt_u32_f32_e32 v2, v2
	v_cvt_u32_f32_e32 v1, v1
	v_readfirstlane_b32 s20, v2
	v_readfirstlane_b32 s23, v1
	s_mul_i32 s24, s7, s20
	s_mul_hi_u32 s26, s7, s23
	s_mul_i32 s25, s15, s23
	s_add_i32 s24, s26, s24
	s_add_i32 s24, s24, s25
	s_mul_i32 s27, s7, s23
	s_mul_i32 s26, s23, s24
	s_mul_hi_u32 s28, s23, s27
	s_mul_hi_u32 s25, s23, s24
	s_add_u32 s26, s28, s26
	s_addc_u32 s25, 0, s25
	s_mul_hi_u32 s29, s20, s27
	s_mul_i32 s27, s20, s27
	s_add_u32 s26, s26, s27
	s_mul_hi_u32 s28, s20, s24
	s_addc_u32 s25, s25, s29
	s_addc_u32 s26, s28, 0
	s_mul_i32 s24, s20, s24
	s_add_u32 s24, s25, s24
	s_addc_u32 s26, 0, s26
	s_add_u32 s23, s23, s24
	s_cselect_b64 s[24:25], -1, 0
	s_cmp_lg_u64 s[24:25], 0
	s_addc_u32 s20, s20, s26
	s_mul_i32 s24, s7, s20
	s_mul_hi_u32 s25, s7, s23
	s_add_i32 s24, s25, s24
	s_mul_i32 s15, s15, s23
	s_add_i32 s24, s24, s15
	s_mul_i32 s7, s7, s23
	s_mul_hi_u32 s25, s20, s7
	s_mul_i32 s26, s20, s7
	s_mul_i32 s28, s23, s24
	s_mul_hi_u32 s7, s23, s7
	s_mul_hi_u32 s27, s23, s24
	s_add_u32 s7, s7, s28
	s_addc_u32 s27, 0, s27
	s_add_u32 s7, s7, s26
	s_mul_hi_u32 s15, s20, s24
	s_addc_u32 s7, s27, s25
	s_addc_u32 s15, s15, 0
	s_mul_i32 s24, s20, s24
	s_add_u32 s7, s7, s24
	s_addc_u32 s15, 0, s15
	s_add_u32 s7, s23, s7
	s_cselect_b64 s[24:25], -1, 0
	s_cmp_lg_u64 s[24:25], 0
	s_addc_u32 s15, s20, s15
	s_ashr_i32 s24, s21, 31
	s_add_u32 s20, s5, s24
	s_mov_b32 s25, s24
	s_addc_u32 s21, s21, s24
	s_xor_b64 s[20:21], s[20:21], s[24:25]
	s_mul_i32 s26, s20, s15
	s_mul_hi_u32 s27, s20, s7
	s_mul_hi_u32 s23, s20, s15
	s_add_u32 s26, s27, s26
	s_addc_u32 s23, 0, s23
	s_mul_hi_u32 s28, s21, s7
	s_mul_i32 s7, s21, s7
	s_add_u32 s7, s26, s7
	s_mul_hi_u32 s27, s21, s15
	s_addc_u32 s7, s23, s28
	s_addc_u32 s23, s27, 0
	s_mul_i32 s15, s21, s15
	s_add_u32 s7, s7, s15
	s_addc_u32 s15, 0, s23
	s_mul_i32 s23, s18, s15
	s_mul_hi_u32 s26, s18, s7
	s_add_i32 s23, s26, s23
	s_mul_i32 s26, s19, s7
	s_add_i32 s23, s23, s26
	s_sub_i32 s28, s21, s23
	s_mul_i32 s26, s18, s7
	s_sub_u32 s20, s20, s26
	s_cselect_b64 s[26:27], -1, 0
	s_cmp_lg_u64 s[26:27], 0
	s_subb_u32 s30, s28, s19
	s_sub_u32 s31, s20, s18
	s_cselect_b64 s[28:29], -1, 0
	s_cmp_lg_u64 s[28:29], 0
	s_subb_u32 s28, s30, 0
	s_cmp_ge_u32 s28, s19
	s_cselect_b32 s29, -1, 0
	s_cmp_ge_u32 s31, s18
	s_cselect_b32 s30, -1, 0
	s_cmp_eq_u32 s28, s19
	s_cselect_b32 s28, s30, s29
	s_add_u32 s29, s7, 1
	s_addc_u32 s30, s15, 0
	s_add_u32 s31, s7, 2
	s_addc_u32 s33, s15, 0
	s_cmp_lg_u32 s28, 0
	s_cselect_b32 s28, s31, s29
	s_cselect_b32 s29, s33, s30
	s_cmp_lg_u64 s[26:27], 0
	s_subb_u32 s21, s21, s23
	s_cmp_ge_u32 s21, s19
	s_cselect_b32 s23, -1, 0
	s_cmp_ge_u32 s20, s18
	s_cselect_b32 s18, -1, 0
	s_cmp_eq_u32 s21, s19
	s_cselect_b32 s18, s18, s23
	s_cmp_lg_u32 s18, 0
	s_cselect_b32 s19, s29, s15
	s_cselect_b32 s18, s28, s7
	s_xor_b64 s[20:21], s[24:25], 0
	s_xor_b64 s[18:19], s[18:19], s[20:21]
	s_sub_u32 s18, s18, s20
	s_cbranch_execnz .LBB37_6
.LBB37_5:
	v_cvt_f32_u32_e32 v1, s22
	s_sub_i32 s7, 0, s22
	v_rcp_iflag_f32_e32 v1, v1
	s_nop 0
	v_mul_f32_e32 v1, 0x4f7ffffe, v1
	v_cvt_u32_f32_e32 v1, v1
	s_waitcnt lgkmcnt(0)
	v_readfirstlane_b32 s15, v1
	s_mul_i32 s7, s7, s15
	s_mul_hi_u32 s7, s15, s7
	s_add_i32 s15, s15, s7
	s_mul_hi_u32 s7, s5, s15
	s_mul_i32 s16, s7, s22
	s_sub_i32 s5, s5, s16
	s_add_i32 s15, s7, 1
	s_sub_i32 s16, s5, s22
	s_cmp_ge_u32 s5, s22
	s_cselect_b32 s7, s15, s7
	s_cselect_b32 s5, s16, s5
	s_add_i32 s15, s7, 1
	s_cmp_ge_u32 s5, s22
	s_cselect_b32 s18, s15, s7
.LBB37_6:
	s_cmp_eq_u32 s6, s18
	s_waitcnt lgkmcnt(0)
	s_mul_hi_u32 s5, s6, s12
	s_cselect_b64 s[16:17], -1, 0
	s_add_i32 s5, s5, s6
	s_lshr_b32 s7, s5, s13
	s_mul_i32 s5, s7, s14
	s_cmp_eq_u32 s5, s6
	s_mul_hi_u32 s5, s18, s12
	s_cselect_b64 s[20:21], -1, 0
	s_add_i32 s5, s5, s18
	s_lshr_b32 s5, s5, s13
	s_cmp_eq_u32 s7, s5
	s_mul_i32 s5, s5, s14
	s_cselect_b64 s[24:25], -1, 0
	s_cmp_lg_u32 s5, s18
	s_cselect_b64 s[18:19], -1, 0
	s_and_b64 s[18:19], s[24:25], s[18:19]
	s_or_b64 s[16:17], s[16:17], s[20:21]
	s_or_b64 s[16:17], s[16:17], s[18:19]
	s_and_b64 vcc, exec, s[16:17]
	s_cbranch_vccnz .LBB37_23
; %bb.7:
	s_load_dwordx8 s[24:31], s[0:1], 0x20
	s_load_dword s15, s[0:1], 0x40
	s_waitcnt lgkmcnt(0)
	s_mul_hi_u32 s5, s6, s24
	s_add_i32 s5, s5, s6
	s_lshr_b32 s5, s5, s25
	s_mul_i32 s16, s5, s26
	s_sub_i32 s16, s6, s16
	s_mul_hi_u32 s17, s16, s27
	s_add_i32 s17, s16, s17
	s_lshr_b32 s20, s17, s28
	s_mul_i32 s17, s20, s29
	s_sub_i32 s16, s16, s17
	;; [unrolled: 5-line block ×3, first 2 shown]
	s_mul_hi_u32 s16, s15, s12
	s_add_i32 s15, s15, s16
	s_lshr_b32 s23, s15, s13
	s_lshl_b32 s15, s23, 4
	s_lshl_b32 s21, s17, 2
	s_add_i32 s15, s15, s3
	s_cmp_lt_i32 s15, s8
	s_cselect_b64 s[16:17], -1, 0
	s_add_i32 s15, s21, s4
	s_cmp_lt_i32 s15, s10
	s_cselect_b64 s[18:19], -1, 0
	s_and_b64 s[16:17], s[16:17], s[18:19]
	s_andn2_b64 vcc, exec, s[16:17]
	s_cbranch_vccnz .LBB37_23
; %bb.8:
	s_load_dwordx4 s[16:19], s[0:1], 0x0
	s_mov_b32 s0, 0
	s_lshl_b32 s15, s3, 2
	s_lshl_b32 s24, s22, 8
	s_mov_b32 s25, s0
	s_add_i32 s15, s15, s4
	s_waitcnt lgkmcnt(0)
	v_mov_b32_e32 v2, s16
	v_mov_b32_e32 v3, s17
	s_lshl_b64 s[16:17], s[24:25], 2
	s_add_u32 s16, s18, s16
	s_mul_i32 s1, s5, s8
	s_addc_u32 s17, s19, s17
	s_add_i32 s1, s1, s3
	s_mul_i32 s1, s1, s9
	s_mul_i32 s20, s20, s10
	s_add_i32 s1, s1, s4
	s_add_i32 s1, s1, s20
	s_mul_i32 s5, s9, s23
	s_add_i32 s1, s1, s21
	s_lshl_b32 s5, s5, 13
	s_lshl_b32 s1, s1, 9
	s_add_i32 s5, s5, s1
	v_or_b32_e32 v4, s5, v0
	v_ashrrev_i32_e32 v5, 31, v4
	v_lshl_add_u64 v[2:3], v[4:5], 2, v[2:3]
	global_load_dword v1, v[2:3], off
	v_cvt_f32_u32_e32 v4, s22
	s_lshl_b32 s1, s2, 6
	s_add_i32 s4, s15, s1
	s_ashr_i32 s5, s4, 31
	s_lshl_b64 s[4:5], s[4:5], 3
	v_rcp_iflag_f32_e32 v4, v4
	s_add_u32 s4, s18, s4
	s_addc_u32 s5, s19, s5
	s_load_dwordx2 s[4:5], s[4:5], 0x0
	v_mul_f32_e32 v4, 0x4f7ffffe, v4
	v_cvt_u32_f32_e32 v7, v4
	s_add_i32 s24, s2, -1
	v_lshl_or_b32 v6, s15, 9, v0
	s_waitcnt lgkmcnt(0)
	v_mov_b32_e32 v0, s5
	v_mov_b32_e32 v9, s4
	s_mov_b32 s10, 0x3fb8aa3b
	s_mov_b32 s20, 0xc2ce8ed0
	;; [unrolled: 1-line block ×4, first 2 shown]
	v_mov_b32_e32 v8, 0x7f800000
	s_mul_hi_i32 s1, s24, s11
	s_cmp_lg_u64 s[0:1], 0
	s_mul_i32 s8, s24, s11
	s_cbranch_scc0 .LBB37_19
.LBB37_9:
	s_add_u32 s2, s22, 0
	s_addc_u32 s3, 0, 0
	s_xor_b64 s[2:3], s[2:3], 0
	v_cvt_f32_u32_e32 v4, s2
	v_cvt_f32_u32_e32 v5, s3
	s_sub_u32 s9, 0, s2
	s_subb_u32 s25, 0, s3
	v_fmac_f32_e32 v4, 0x4f800000, v5
	v_rcp_f32_e32 v4, v4
	s_nop 0
	v_mul_f32_e32 v4, 0x5f7ffffc, v4
	v_mul_f32_e32 v5, 0x2f800000, v4
	v_trunc_f32_e32 v5, v5
	v_fmac_f32_e32 v4, 0xcf800000, v5
	v_cvt_u32_f32_e32 v5, v5
	v_cvt_u32_f32_e32 v4, v4
	v_readfirstlane_b32 s26, v5
	v_readfirstlane_b32 s4, v4
	s_mul_i32 s5, s9, s26
	s_mul_hi_u32 s28, s9, s4
	s_mul_i32 s27, s25, s4
	s_add_i32 s5, s28, s5
	s_mul_i32 s29, s9, s4
	s_add_i32 s5, s5, s27
	s_mul_i32 s28, s4, s5
	s_mul_hi_u32 s30, s4, s29
	s_mul_hi_u32 s27, s4, s5
	s_add_u32 s28, s30, s28
	s_addc_u32 s27, 0, s27
	s_mul_hi_u32 s31, s26, s29
	s_mul_i32 s29, s26, s29
	s_add_u32 s28, s28, s29
	s_mul_hi_u32 s30, s26, s5
	s_addc_u32 s27, s27, s31
	s_addc_u32 s28, s30, 0
	s_mul_i32 s5, s26, s5
	s_add_u32 s5, s27, s5
	s_addc_u32 s27, 0, s28
	s_add_u32 s28, s4, s5
	s_cselect_b64 s[4:5], -1, 0
	s_cmp_lg_u64 s[4:5], 0
	s_addc_u32 s26, s26, s27
	s_mul_i32 s4, s9, s26
	s_mul_hi_u32 s5, s9, s28
	s_add_i32 s4, s5, s4
	s_mul_i32 s25, s25, s28
	s_add_i32 s4, s4, s25
	s_mul_i32 s9, s9, s28
	s_mul_hi_u32 s25, s26, s9
	s_mul_i32 s27, s26, s9
	s_mul_i32 s30, s28, s4
	s_mul_hi_u32 s9, s28, s9
	s_mul_hi_u32 s29, s28, s4
	s_add_u32 s9, s9, s30
	s_addc_u32 s29, 0, s29
	s_add_u32 s9, s9, s27
	s_mul_hi_u32 s5, s26, s4
	s_addc_u32 s9, s29, s25
	s_addc_u32 s5, s5, 0
	s_mul_i32 s4, s26, s4
	s_add_u32 s4, s9, s4
	s_addc_u32 s9, 0, s5
	s_add_u32 s25, s28, s4
	s_cselect_b64 s[4:5], -1, 0
	s_cmp_lg_u64 s[4:5], 0
	s_addc_u32 s9, s26, s9
	s_ashr_i32 s4, s1, 31
	s_add_u32 s26, s8, s4
	s_mov_b32 s5, s4
	s_addc_u32 s27, s1, s4
	s_xor_b64 s[26:27], s[26:27], s[4:5]
	s_mul_i32 s28, s26, s9
	s_mul_hi_u32 s29, s26, s25
	s_mul_hi_u32 s1, s26, s9
	s_add_u32 s28, s29, s28
	s_addc_u32 s1, 0, s1
	s_mul_hi_u32 s30, s27, s25
	s_mul_i32 s25, s27, s25
	s_add_u32 s25, s28, s25
	s_mul_hi_u32 s29, s27, s9
	s_addc_u32 s1, s1, s30
	s_addc_u32 s25, s29, 0
	s_mul_i32 s9, s27, s9
	s_add_u32 s1, s1, s9
	s_addc_u32 s9, 0, s25
	s_mul_i32 s25, s2, s9
	s_mul_hi_u32 s28, s2, s1
	s_add_i32 s25, s28, s25
	s_mul_i32 s28, s3, s1
	s_add_i32 s25, s25, s28
	s_sub_i32 s30, s27, s25
	s_mul_i32 s28, s2, s1
	s_sub_u32 s26, s26, s28
	s_cselect_b64 s[28:29], -1, 0
	s_cmp_lg_u64 s[28:29], 0
	s_subb_u32 s33, s30, s3
	s_sub_u32 s34, s26, s2
	s_cselect_b64 s[30:31], -1, 0
	s_cmp_lg_u64 s[30:31], 0
	s_subb_u32 s30, s33, 0
	s_cmp_ge_u32 s30, s3
	s_cselect_b32 s31, -1, 0
	s_cmp_ge_u32 s34, s2
	s_cselect_b32 s33, -1, 0
	s_cmp_eq_u32 s30, s3
	s_cselect_b32 s30, s33, s31
	s_add_u32 s31, s1, 1
	s_addc_u32 s33, s9, 0
	s_add_u32 s34, s1, 2
	s_addc_u32 s35, s9, 0
	s_cmp_lg_u32 s30, 0
	s_cselect_b32 s30, s34, s31
	s_cselect_b32 s31, s35, s33
	s_cmp_lg_u64 s[28:29], 0
	s_subb_u32 s25, s27, s25
	s_cmp_ge_u32 s25, s3
	s_cselect_b32 s27, -1, 0
	s_cmp_ge_u32 s26, s2
	s_cselect_b32 s2, -1, 0
	s_cmp_eq_u32 s25, s3
	s_cselect_b32 s2, s2, s27
	s_cmp_lg_u32 s2, 0
	s_cselect_b32 s3, s31, s9
	s_cselect_b32 s2, s30, s1
	s_xor_b64 s[4:5], s[4:5], 0
	s_xor_b64 s[2:3], s[2:3], s[4:5]
	s_sub_u32 s4, s2, s4
	s_cbranch_execnz .LBB37_11
.LBB37_10:
	s_sub_i32 s1, 0, s22
	v_readfirstlane_b32 s2, v7
	s_mul_i32 s1, s1, s2
	s_mul_hi_u32 s1, s2, s1
	s_add_i32 s2, s2, s1
	s_mul_hi_u32 s1, s8, s2
	s_mul_i32 s3, s1, s22
	s_sub_i32 s3, s8, s3
	s_add_i32 s2, s1, 1
	s_sub_i32 s4, s3, s22
	s_cmp_ge_u32 s3, s22
	s_cselect_b32 s1, s2, s1
	s_cselect_b32 s3, s4, s3
	s_add_i32 s2, s1, 1
	s_cmp_ge_u32 s3, s22
	s_cselect_b32 s4, s2, s1
.LBB37_11:
	s_cmp_lg_u32 s6, s4
	s_cbranch_scc0 .LBB37_15
; %bb.12:
	s_add_i32 s1, s24, s22
	s_lshl_b32 s1, s1, 6
	s_add_i32 s2, s1, s15
	s_mov_b32 s3, s0
	s_lshl_b64 s[2:3], s[2:3], 3
	s_add_u32 s8, s18, s2
	s_mul_hi_u32 s1, s4, s12
	s_addc_u32 s9, s19, s3
	s_add_i32 s1, s1, s4
	s_lshr_b32 s1, s1, s13
	s_mul_i32 s2, s1, s14
	s_cmp_eq_u32 s2, s4
	s_cselect_b64 s[2:3], -1, 0
	s_cmp_lt_u32 s1, s7
	s_cselect_b64 s[26:27], -1, 0
	s_or_b64 s[26:27], s[26:27], s[2:3]
	s_mov_b64 s[2:3], -1
	s_and_b64 vcc, exec, s[26:27]
	s_mov_b32 s1, s24
	s_mov_b32 s25, s6
	s_cbranch_vccnz .LBB37_14
; %bb.13:
	s_add_i32 s1, s24, -1
	s_mov_b64 s[2:3], 0
	s_mov_b32 s25, s4
.LBB37_14:
	v_lshl_add_u32 v4, s24, 15, v6
	v_ashrrev_i32_e32 v5, 31, v4
	v_lshl_add_u64 v[4:5], v[4:5], 2, s[16:17]
	global_load_dword v5, v[4:5], off
	s_load_dwordx2 s[4:5], s[8:9], 0x0
	v_max_f32_e32 v4, v9, v9
	s_waitcnt lgkmcnt(0)
	v_max_f32_e64 v10, s4, s4
	v_max_f32_e32 v10, v4, v10
	v_sub_f32_e32 v11, v9, v10
	v_sub_f32_e32 v13, s4, v10
	v_mul_f32_e32 v4, 0x3fb8aa3b, v11
	v_mul_f32_e32 v12, 0x3fb8aa3b, v13
	v_fma_f32 v14, v11, s10, -v4
	v_rndne_f32_e32 v15, v4
	v_fma_f32 v16, v13, s10, -v12
	v_rndne_f32_e32 v17, v12
	v_fmac_f32_e32 v14, 0x32a5705f, v11
	v_sub_f32_e32 v4, v4, v15
	v_fmac_f32_e32 v16, 0x32a5705f, v13
	v_sub_f32_e32 v12, v12, v17
	v_add_f32_e32 v4, v4, v14
	v_cvt_i32_f32_e32 v15, v15
	v_add_f32_e32 v12, v12, v16
	v_exp_f32_e32 v14, v4
	v_cvt_i32_f32_e32 v17, v17
	v_exp_f32_e32 v12, v12
	v_cmp_ngt_f32_e32 vcc, s20, v11
	v_ldexp_f32 v14, v14, v15
	v_mov_b32_e32 v4, s5
	v_ldexp_f32 v12, v12, v17
	v_cndmask_b32_e32 v14, 0, v14, vcc
	v_cmp_ngt_f32_e32 vcc, s20, v13
	s_nop 1
	v_cndmask_b32_e32 v12, 0, v12, vcc
	v_cmp_nlt_f32_e32 vcc, s21, v11
	s_nop 1
	v_cndmask_b32_e32 v14, v8, v14, vcc
	v_cmp_nlt_f32_e32 vcc, s21, v13
	s_nop 1
	v_cndmask_b32_e32 v15, v8, v12, vcc
	v_cmp_le_f32_e32 vcc, s23, v11
	s_nop 1
	v_cndmask_b32_e32 v12, 0, v14, vcc
	v_cmp_le_f32_e32 vcc, s23, v13
	s_nop 1
	v_cndmask_b32_e32 v14, 0, v15, vcc
	s_waitcnt vmcnt(0)
	v_pk_mul_f32 v[4:5], v[4:5], v[14:15] op_sel_hi:[1,0]
	s_nop 0
	v_pk_fma_f32 v[4:5], v[0:1], v[12:13], v[4:5] op_sel_hi:[1,0,1]
	s_cbranch_execz .LBB37_16
	s_branch .LBB37_17
.LBB37_15:
                                        ; implicit-def: $vgpr4_vgpr5
                                        ; implicit-def: $sgpr2_sgpr3
                                        ; implicit-def: $vgpr10
                                        ; implicit-def: $sgpr1
                                        ; implicit-def: $sgpr25
.LBB37_16:
	s_add_i32 s1, s24, -1
	s_mov_b64 s[2:3], 0
	s_mov_b32 s25, s6
	v_mov_b32_e32 v10, v9
	s_waitcnt vmcnt(0)
	v_mov_b64_e32 v[4:5], v[0:1]
.LBB37_17:
	s_andn2_b64 vcc, exec, s[2:3]
	s_cbranch_vccz .LBB37_22
; %bb.18:
	s_mov_b32 s6, s25
	s_mov_b32 s24, s1
	v_mov_b32_e32 v9, v10
	s_waitcnt vmcnt(0)
	v_mov_b64_e32 v[0:1], v[4:5]
	s_mul_hi_i32 s1, s24, s11
	s_cmp_lg_u64 s[0:1], 0
	s_mul_i32 s8, s24, s11
	s_cbranch_scc1 .LBB37_9
.LBB37_19:
                                        ; implicit-def: $sgpr4_sgpr5
	s_branch .LBB37_10
.LBB37_20:
                                        ; implicit-def: $sgpr6_sgpr7
	s_load_dwordx4 s[12:15], s[0:1], 0x44
	s_branch .LBB37_2
.LBB37_21:
                                        ; implicit-def: $sgpr18_sgpr19
	s_branch .LBB37_5
.LBB37_22:
	v_div_scale_f32 v0, s[0:1], v4, v4, v5
	s_waitcnt vmcnt(0)
	v_rcp_f32_e32 v1, v0
	v_div_scale_f32 v6, vcc, v5, v4, v5
	v_fma_f32 v7, -v0, v1, 1.0
	v_fmac_f32_e32 v1, v7, v1
	v_mul_f32_e32 v7, v6, v1
	v_fma_f32 v8, -v0, v7, v6
	v_fmac_f32_e32 v7, v8, v1
	v_fma_f32 v0, -v0, v7, v6
	v_div_fmas_f32 v0, v0, v1, v7
	v_div_fixup_f32 v0, v0, v4, v5
	global_store_dword v[2:3], v0, off
.LBB37_23:
	s_endpgm
	.section	.rodata,"a",@progbits
	.p2align	6, 0x0
	.amdhsa_kernel _ZL33flash_attn_stream_k_fixup_generalILi512ELi16ELi4EEvPfPK15HIP_vector_typeIfLj2EEiiiiS1_IjLj3EES5_S5_S5_
		.amdhsa_group_segment_fixed_size 0
		.amdhsa_private_segment_fixed_size 0
		.amdhsa_kernarg_size 336
		.amdhsa_user_sgpr_count 2
		.amdhsa_user_sgpr_dispatch_ptr 0
		.amdhsa_user_sgpr_queue_ptr 0
		.amdhsa_user_sgpr_kernarg_segment_ptr 1
		.amdhsa_user_sgpr_dispatch_id 0
		.amdhsa_user_sgpr_kernarg_preload_length 0
		.amdhsa_user_sgpr_kernarg_preload_offset 0
		.amdhsa_user_sgpr_private_segment_size 0
		.amdhsa_uses_dynamic_stack 0
		.amdhsa_enable_private_segment 0
		.amdhsa_system_sgpr_workgroup_id_x 1
		.amdhsa_system_sgpr_workgroup_id_y 1
		.amdhsa_system_sgpr_workgroup_id_z 1
		.amdhsa_system_sgpr_workgroup_info 0
		.amdhsa_system_vgpr_workitem_id 0
		.amdhsa_next_free_vgpr 18
		.amdhsa_next_free_sgpr 36
		.amdhsa_accum_offset 20
		.amdhsa_reserve_vcc 1
		.amdhsa_float_round_mode_32 0
		.amdhsa_float_round_mode_16_64 0
		.amdhsa_float_denorm_mode_32 3
		.amdhsa_float_denorm_mode_16_64 3
		.amdhsa_dx10_clamp 1
		.amdhsa_ieee_mode 1
		.amdhsa_fp16_overflow 0
		.amdhsa_tg_split 0
		.amdhsa_exception_fp_ieee_invalid_op 0
		.amdhsa_exception_fp_denorm_src 0
		.amdhsa_exception_fp_ieee_div_zero 0
		.amdhsa_exception_fp_ieee_overflow 0
		.amdhsa_exception_fp_ieee_underflow 0
		.amdhsa_exception_fp_ieee_inexact 0
		.amdhsa_exception_int_div_zero 0
	.end_amdhsa_kernel
	.section	.text._ZL33flash_attn_stream_k_fixup_generalILi512ELi16ELi4EEvPfPK15HIP_vector_typeIfLj2EEiiiiS1_IjLj3EES5_S5_S5_,"axG",@progbits,_ZL33flash_attn_stream_k_fixup_generalILi512ELi16ELi4EEvPfPK15HIP_vector_typeIfLj2EEiiiiS1_IjLj3EES5_S5_S5_,comdat
.Lfunc_end37:
	.size	_ZL33flash_attn_stream_k_fixup_generalILi512ELi16ELi4EEvPfPK15HIP_vector_typeIfLj2EEiiiiS1_IjLj3EES5_S5_S5_, .Lfunc_end37-_ZL33flash_attn_stream_k_fixup_generalILi512ELi16ELi4EEvPfPK15HIP_vector_typeIfLj2EEiiiiS1_IjLj3EES5_S5_S5_
                                        ; -- End function
	.set _ZL33flash_attn_stream_k_fixup_generalILi512ELi16ELi4EEvPfPK15HIP_vector_typeIfLj2EEiiiiS1_IjLj3EES5_S5_S5_.num_vgpr, 18
	.set _ZL33flash_attn_stream_k_fixup_generalILi512ELi16ELi4EEvPfPK15HIP_vector_typeIfLj2EEiiiiS1_IjLj3EES5_S5_S5_.num_agpr, 0
	.set _ZL33flash_attn_stream_k_fixup_generalILi512ELi16ELi4EEvPfPK15HIP_vector_typeIfLj2EEiiiiS1_IjLj3EES5_S5_S5_.numbered_sgpr, 36
	.set _ZL33flash_attn_stream_k_fixup_generalILi512ELi16ELi4EEvPfPK15HIP_vector_typeIfLj2EEiiiiS1_IjLj3EES5_S5_S5_.num_named_barrier, 0
	.set _ZL33flash_attn_stream_k_fixup_generalILi512ELi16ELi4EEvPfPK15HIP_vector_typeIfLj2EEiiiiS1_IjLj3EES5_S5_S5_.private_seg_size, 0
	.set _ZL33flash_attn_stream_k_fixup_generalILi512ELi16ELi4EEvPfPK15HIP_vector_typeIfLj2EEiiiiS1_IjLj3EES5_S5_S5_.uses_vcc, 1
	.set _ZL33flash_attn_stream_k_fixup_generalILi512ELi16ELi4EEvPfPK15HIP_vector_typeIfLj2EEiiiiS1_IjLj3EES5_S5_S5_.uses_flat_scratch, 0
	.set _ZL33flash_attn_stream_k_fixup_generalILi512ELi16ELi4EEvPfPK15HIP_vector_typeIfLj2EEiiiiS1_IjLj3EES5_S5_S5_.has_dyn_sized_stack, 0
	.set _ZL33flash_attn_stream_k_fixup_generalILi512ELi16ELi4EEvPfPK15HIP_vector_typeIfLj2EEiiiiS1_IjLj3EES5_S5_S5_.has_recursion, 0
	.set _ZL33flash_attn_stream_k_fixup_generalILi512ELi16ELi4EEvPfPK15HIP_vector_typeIfLj2EEiiiiS1_IjLj3EES5_S5_S5_.has_indirect_call, 0
	.section	.AMDGPU.csdata,"",@progbits
; Kernel info:
; codeLenInByte = 2940
; TotalNumSgprs: 42
; NumVgprs: 18
; NumAgprs: 0
; TotalNumVgprs: 18
; ScratchSize: 0
; MemoryBound: 0
; FloatMode: 240
; IeeeMode: 1
; LDSByteSize: 0 bytes/workgroup (compile time only)
; SGPRBlocks: 5
; VGPRBlocks: 2
; NumSGPRsForWavesPerEU: 42
; NumVGPRsForWavesPerEU: 18
; AccumOffset: 20
; Occupancy: 8
; WaveLimiterHint : 0
; COMPUTE_PGM_RSRC2:SCRATCH_EN: 0
; COMPUTE_PGM_RSRC2:USER_SGPR: 2
; COMPUTE_PGM_RSRC2:TRAP_HANDLER: 0
; COMPUTE_PGM_RSRC2:TGID_X_EN: 1
; COMPUTE_PGM_RSRC2:TGID_Y_EN: 1
; COMPUTE_PGM_RSRC2:TGID_Z_EN: 1
; COMPUTE_PGM_RSRC2:TIDIG_COMP_CNT: 0
; COMPUTE_PGM_RSRC3_GFX90A:ACCUM_OFFSET: 4
; COMPUTE_PGM_RSRC3_GFX90A:TG_SPLIT: 0
	.section	.text._ZL26flash_attn_combine_resultsILi512EEvPKfPK15HIP_vector_typeIfLj2EEPfi,"axG",@progbits,_ZL26flash_attn_combine_resultsILi512EEvPKfPK15HIP_vector_typeIfLj2EEPfi,comdat
	.globl	_ZL26flash_attn_combine_resultsILi512EEvPKfPK15HIP_vector_typeIfLj2EEPfi ; -- Begin function _ZL26flash_attn_combine_resultsILi512EEvPKfPK15HIP_vector_typeIfLj2EEPfi
	.p2align	8
	.type	_ZL26flash_attn_combine_resultsILi512EEvPKfPK15HIP_vector_typeIfLj2EEPfi,@function
_ZL26flash_attn_combine_resultsILi512EEvPKfPK15HIP_vector_typeIfLj2EEPfi: ; @_ZL26flash_attn_combine_resultsILi512EEvPKfPK15HIP_vector_typeIfLj2EEPfi
; %bb.0:
	s_load_dwordx2 s[6:7], s[0:1], 0x20
	s_load_dword s19, s[0:1], 0x18
	s_load_dwordx4 s[8:11], s[0:1], 0x0
	s_load_dwordx2 s[14:15], s[0:1], 0x10
	s_waitcnt lgkmcnt(0)
	s_mul_i32 s0, s6, s4
	s_add_i32 s0, s0, s2
	s_mul_i32 s18, s0, s7
	s_add_i32 s18, s18, s3
	s_lshl_b32 s20, s19, 1
	s_mul_i32 s2, s18, s19
	v_cmp_gt_i32_e32 vcc, s20, v0
	s_and_saveexec_b64 s[0:1], vcc
	s_cbranch_execz .LBB38_13
; %bb.1:
	v_xad_u32 v1, v0, -1, s20
	s_movk_i32 s4, 0x1ff
	s_ashr_i32 s3, s2, 31
	v_cmp_lt_u32_e32 vcc, s4, v1
	s_mov_b64 s[6:7], -1
	v_mov_b32_e32 v2, v0
	s_and_saveexec_b64 s[4:5], vcc
	s_cbranch_execz .LBB38_10
; %bb.2:
	v_lshrrev_b32_e32 v6, 9, v1
	s_lshl_b64 s[6:7], s[2:3], 3
	v_add_u32_e32 v2, -1, v6
	s_add_u32 s6, s10, s6
	v_or_b32_e32 v1, 0x200, v0
	v_lshrrev_b32_e32 v3, 1, v2
	s_addc_u32 s7, s11, s7
	s_mov_b32 s21, 0
	v_add_u32_e32 v7, 1, v3
	v_cmp_lt_u32_e32 vcc, 13, v2
	v_mov_b32_e32 v4, 0
	v_mov_b64_e32 v[2:3], v[0:1]
	s_and_saveexec_b64 s[12:13], vcc
	s_cbranch_execz .LBB38_6
; %bb.3:
	v_and_b32_e32 v8, -8, v7
	v_lshl_add_u32 v9, v0, 2, 0
	s_mov_b64 s[16:17], 0
	v_mov_b32_e32 v5, 0
	v_mov_b64_e32 v[2:3], v[0:1]
.LBB38_4:                               ; =>This Inner Loop Header: Depth=1
	v_mov_b32_e32 v4, v2
	v_lshl_add_u64 v[24:25], v[4:5], 2, s[6:7]
	v_mov_b32_e32 v4, v3
	v_add_u32_e32 v10, 0x400, v3
	v_mov_b32_e32 v11, v5
	v_lshl_add_u64 v[26:27], v[4:5], 2, s[6:7]
	v_add_u32_e32 v4, 0x400, v2
	v_lshl_add_u64 v[10:11], v[10:11], 2, s[6:7]
	global_load_dword v1, v[24:25], off
	v_lshl_add_u64 v[24:25], v[4:5], 2, s[6:7]
	v_add_u32_e32 v4, 0x800, v2
	global_load_dword v28, v[26:27], off
	global_load_dword v29, v[24:25], off
	;; [unrolled: 1-line block ×3, first 2 shown]
	v_lshl_add_u64 v[10:11], v[4:5], 2, s[6:7]
	v_add_u32_e32 v4, 0xc00, v2
	v_add_u32_e32 v12, 0x800, v3
	v_mov_b32_e32 v13, v5
	v_add_u32_e32 v14, 0xc00, v3
	v_mov_b32_e32 v15, v5
	v_lshl_add_u64 v[24:25], v[4:5], 2, s[6:7]
	v_add_u32_e32 v4, 0x1000, v2
	v_lshl_add_u64 v[12:13], v[12:13], 2, s[6:7]
	v_lshl_add_u64 v[14:15], v[14:15], 2, s[6:7]
	global_load_dword v26, v[10:11], off
	global_load_dword v27, v[12:13], off
	;; [unrolled: 1-line block ×4, first 2 shown]
	v_lshl_add_u64 v[10:11], v[4:5], 2, s[6:7]
	v_add_u32_e32 v4, 0x1400, v2
	v_add_u32_e32 v16, 0x1000, v3
	v_mov_b32_e32 v17, v5
	v_add_u32_e32 v18, 0x1400, v3
	v_mov_b32_e32 v19, v5
	v_lshl_add_u64 v[12:13], v[4:5], 2, s[6:7]
	v_add_u32_e32 v4, 0x1800, v2
	v_add_u32_e32 v20, 0x1800, v3
	v_mov_b32_e32 v21, v5
	v_add_u32_e32 v22, 0x1c00, v3
	v_mov_b32_e32 v23, v5
	v_lshl_add_u64 v[16:17], v[16:17], 2, s[6:7]
	v_lshl_add_u64 v[18:19], v[18:19], 2, s[6:7]
	global_load_dword v14, v[10:11], off
	global_load_dword v15, v[16:17], off
	;; [unrolled: 1-line block ×4, first 2 shown]
	v_lshl_add_u64 v[10:11], v[4:5], 2, s[6:7]
	v_add_u32_e32 v4, 0x1c00, v2
	v_lshl_add_u64 v[20:21], v[20:21], 2, s[6:7]
	v_lshl_add_u64 v[22:23], v[22:23], 2, s[6:7]
	;; [unrolled: 1-line block ×3, first 2 shown]
	global_load_dword v16, v[10:11], off
	global_load_dword v17, v[20:21], off
	;; [unrolled: 1-line block ×4, first 2 shown]
	v_add_u32_e32 v8, -8, v8
	s_add_i32 s21, s21, 16
	v_cmp_eq_u32_e32 vcc, 0, v8
	v_add_u32_e32 v3, 0x2000, v3
	v_mov_b32_e32 v4, s21
	s_or_b64 s[16:17], vcc, s[16:17]
	v_add_u32_e32 v2, 0x2000, v2
	s_waitcnt vmcnt(14)
	ds_write2st64_b32 v9, v1, v28 offset1:8
	s_waitcnt vmcnt(12)
	ds_write2st64_b32 v9, v29, v30 offset0:16 offset1:24
	s_waitcnt vmcnt(10)
	ds_write2st64_b32 v9, v26, v27 offset0:32 offset1:40
	;; [unrolled: 2-line block ×7, first 2 shown]
	v_add_u32_e32 v9, 0x8000, v9
	s_andn2_b64 exec, exec, s[16:17]
	s_cbranch_execnz .LBB38_4
; %bb.5:
	s_or_b64 exec, exec, s[16:17]
.LBB38_6:
	s_or_b64 exec, exec, s[12:13]
	v_and_b32_e32 v1, 7, v7
	v_cmp_ne_u32_e32 vcc, 0, v1
	s_and_saveexec_b64 s[12:13], vcc
	s_cbranch_execz .LBB38_9
; %bb.7:
	v_lshlrev_b32_e32 v5, 2, v0
	v_lshl_or_b32 v4, v4, 11, v5
	v_add_u32_e32 v7, 0, v4
	s_mov_b64 s[16:17], 0
	v_mov_b32_e32 v5, 0
.LBB38_8:                               ; =>This Inner Loop Header: Depth=1
	v_mov_b32_e32 v4, v2
	v_lshl_add_u64 v[8:9], v[4:5], 2, s[6:7]
	v_mov_b32_e32 v4, v3
	v_lshl_add_u64 v[10:11], v[4:5], 2, s[6:7]
	global_load_dword v4, v[8:9], off
	global_load_dword v12, v[10:11], off
	v_add_u32_e32 v1, -1, v1
	v_cmp_eq_u32_e32 vcc, 0, v1
	v_add_u32_e32 v2, 0x400, v2
	v_add_u32_e32 v3, 0x400, v3
	s_or_b64 s[16:17], vcc, s[16:17]
	s_waitcnt vmcnt(0)
	ds_write2st64_b32 v7, v4, v12 offset1:8
	v_add_u32_e32 v7, 0x1000, v7
	s_andn2_b64 exec, exec, s[16:17]
	s_cbranch_execnz .LBB38_8
.LBB38_9:
	s_or_b64 exec, exec, s[12:13]
	v_add_u32_e32 v1, 1, v6
	v_and_b32_e32 v3, 0xfffffe, v1
	v_cmp_ne_u32_e32 vcc, v1, v3
	v_lshl_or_b32 v2, v3, 9, v0
	s_orn2_b64 s[6:7], vcc, exec
.LBB38_10:
	s_or_b64 exec, exec, s[4:5]
	s_and_b64 exec, exec, s[6:7]
	s_cbranch_execz .LBB38_13
; %bb.11:
	s_lshl_b64 s[4:5], s[2:3], 3
	s_add_u32 s4, s10, s4
	v_mov_b32_e32 v3, 0
	s_addc_u32 s5, s11, s5
	v_lshl_add_u64 v[4:5], v[2:3], 2, s[4:5]
	v_lshl_add_u32 v1, v2, 2, 0
	s_mov_b64 s[4:5], 0
	s_mov_b64 s[6:7], 0x800
.LBB38_12:                              ; =>This Inner Loop Header: Depth=1
	global_load_dword v3, v[4:5], off
	v_add_u32_e32 v2, 0x200, v2
	v_cmp_le_i32_e32 vcc, s20, v2
	v_lshl_add_u64 v[4:5], v[4:5], 0, s[6:7]
	s_or_b64 s[4:5], vcc, s[4:5]
	s_waitcnt vmcnt(0)
	ds_write_b32 v1, v3
	v_add_u32_e32 v1, 0x800, v1
	s_andn2_b64 exec, exec, s[4:5]
	s_cbranch_execnz .LBB38_12
.LBB38_13:
	s_or_b64 exec, exec, s[0:1]
	v_mov_b32_e32 v1, 0
	s_waitcnt lgkmcnt(0)
	s_barrier
	ds_read_b32 v1, v1
	s_cmp_lt_i32 s19, 2
	s_cbranch_scc1 .LBB38_21
; %bb.14:
	s_cmp_eq_u32 s19, 2
	s_cbranch_scc1 .LBB38_18
; %bb.15:
	s_add_i32 s3, s19, -1
	s_and_b32 s4, s3, -2
	s_add_i32 s6, 0, 8
	s_mov_b32 s5, 2
	s_waitcnt lgkmcnt(0)
	v_mov_b32_e32 v4, v1
.LBB38_16:                              ; =>This Inner Loop Header: Depth=1
	v_mov_b32_e32 v2, v1
	v_mov_b32_e32 v1, s6
	;; [unrolled: 1-line block ×3, first 2 shown]
	ds_read2_b32 v[4:5], v1 offset1:2
	s_cmp_lg_u32 s4, s5
	s_cselect_b64 s[10:11], -1, 0
	v_max_f32_e32 v1, v3, v3
	v_max_f32_e32 v6, v2, v2
	s_waitcnt lgkmcnt(0)
	v_cmp_u_f32_e32 vcc, v5, v5
	v_max_f32_e32 v7, v5, v5
	v_max_f32_e32 v8, v4, v4
	v_cndmask_b32_e64 v5, 0, 1, vcc
	v_cmp_u_f32_e32 vcc, v4, v4
	v_readfirstlane_b32 s0, v5
	s_lshl_b32 s0, s0, 1
	v_cndmask_b32_e64 v9, 0, 1, vcc
	v_max_f32_e32 v4, v1, v7
	v_readfirstlane_b32 s1, v9
	s_or_b32 s0, s1, s0
	s_and_b32 s7, s0, 3
	s_cmp_lg_u32 s7, 0
	s_cselect_b64 s[0:1], -1, 0
	s_cmp_eq_u32 s7, 0
	s_cselect_b64 s[12:13], -1, 0
	s_and_b64 s[10:11], s[12:13], s[10:11]
	v_max_f32_e32 v1, v6, v8
	s_add_i32 s5, s5, 2
	s_add_i32 s6, s6, 16
	s_and_b64 vcc, exec, s[10:11]
	s_cbranch_vccnz .LBB38_16
; %bb.17:
	s_add_i32 s5, s5, -4
	s_and_b64 s[6:7], s[0:1], exec
	s_cselect_b32 s5, s5, s3
	s_or_b32 s5, s5, 1
	v_cndmask_b32_e64 v1, v1, v2, s[0:1]
	v_cndmask_b32_e64 v2, v4, v3, s[0:1]
	s_cmp_lg_u32 s3, s4
	v_max_f32_e32 v2, v2, v2
	v_max_f32_e32 v1, v1, v1
	s_cselect_b64 s[6:7], -1, 0
	v_max_f32_e32 v1, v1, v2
	s_or_b64 s[0:1], s[6:7], s[0:1]
	s_and_b64 vcc, exec, s[0:1]
	s_cbranch_vccnz .LBB38_19
	s_branch .LBB38_21
.LBB38_18:
	s_mov_b32 s5, 1
	s_cbranch_execz .LBB38_21
.LBB38_19:
	s_lshl_b32 s1, s5, 3
	s_sub_i32 s0, s19, s5
	s_add_i32 s1, s1, 0
.LBB38_20:                              ; =>This Inner Loop Header: Depth=1
	v_mov_b32_e32 v2, s1
	ds_read_b32 v2, v2
	s_waitcnt lgkmcnt(1)
	v_max_f32_e32 v1, v1, v1
	s_add_i32 s0, s0, -1
	s_add_i32 s1, s1, 8
	s_cmp_eq_u32 s0, 0
	s_waitcnt lgkmcnt(0)
	v_max_f32_e32 v2, v2, v2
	v_max_f32_e32 v1, v1, v2
	s_cbranch_scc0 .LBB38_20
.LBB38_21:
	s_cmp_lt_i32 s19, 1
	s_cbranch_scc1 .LBB38_26
; %bb.22:
	s_lshl_b32 s0, s2, 9
	s_ashr_i32 s1, s0, 31
	s_lshl_b64 s[0:1], s[0:1], 2
	s_add_u32 s16, s8, s0
	s_addc_u32 s17, s9, s1
	s_cmp_lt_u32 s19, 8
	s_cbranch_scc1 .LBB38_27
; %bb.23:
	v_mov_b32_e32 v7, 0
	s_and_b32 s20, s19, 0x7ffffff8
	v_or_b32_e32 v4, 0xe00, v0
	s_mov_b32 s21, 0
	s_mov_b32 s22, 0x3fb8aa3b
	;; [unrolled: 1-line block ×4, first 2 shown]
	v_mov_b32_e32 v8, 0x7f800000
	s_mov_b32 s25, 0
	v_mov_b32_e32 v2, v7
	v_mov_b32_e32 v3, v7
.LBB38_24:                              ; =>This Inner Loop Header: Depth=1
	v_add_u32_e32 v6, 0xfffff200, v4
	v_lshl_add_u64 v[26:27], v[6:7], 2, s[16:17]
	v_add_u32_e32 v6, 0xfffff400, v4
	v_mov_b32_e32 v9, s21
	v_lshl_add_u64 v[30:31], v[6:7], 2, s[16:17]
	v_add_u32_e32 v6, 0xfffff600, v4
	ds_read2_b64 v[10:13], v9 offset1:1
	ds_read2_b64 v[14:17], v9 offset0:2 offset1:3
	ds_read2_b64 v[18:21], v9 offset0:4 offset1:5
	ds_read2_b64 v[22:25], v9 offset0:6 offset1:7
	global_load_dword v33, v[26:27], off
	global_load_dword v35, v[30:31], off
	v_lshl_add_u64 v[26:27], v[6:7], 2, s[16:17]
	v_add_u32_e32 v6, 0xfffff800, v4
	v_lshl_add_u64 v[30:31], v[6:7], 2, s[16:17]
	v_add_u32_e32 v6, 0xfffffa00, v4
	global_load_dword v37, v[26:27], off
	global_load_dword v39, v[30:31], off
	v_lshl_add_u64 v[26:27], v[6:7], 2, s[16:17]
	v_add_u32_e32 v6, 0xfffffc00, v4
	s_waitcnt lgkmcnt(3)
	v_mov_b32_e32 v32, v11
	v_sub_f32_e32 v9, v12, v1
	v_mov_b32_e32 v34, v13
	global_load_dword v11, v[26:27], off
	v_lshl_add_u64 v[12:13], v[6:7], 2, s[16:17]
	s_waitcnt lgkmcnt(2)
	v_mov_b32_e32 v36, v15
	v_add_u32_e32 v6, 0xfffffe00, v4
	global_load_dword v15, v[12:13], off
	v_mov_b32_e32 v5, v7
	v_lshl_add_u64 v[12:13], v[6:7], 2, s[16:17]
	v_lshl_add_u64 v[28:29], v[4:5], 2, s[16:17]
	v_sub_f32_e32 v5, v10, v1
	v_mov_b32_e32 v38, v17
	s_waitcnt lgkmcnt(1)
	v_mov_b32_e32 v10, v19
	global_load_dword v17, v[12:13], off
	global_load_dword v19, v[28:29], off
	v_sub_f32_e32 v30, v14, v1
	v_sub_f32_e32 v31, v16, v1
	;; [unrolled: 1-line block ×3, first 2 shown]
	v_mov_b32_e32 v14, v21
	s_waitcnt lgkmcnt(0)
	v_sub_f32_e32 v21, v22, v1
	v_mov_b32_e32 v16, v23
	v_sub_f32_e32 v22, v24, v1
	v_mul_f32_e32 v23, 0x3fb8aa3b, v5
	v_mov_b32_e32 v18, v25
	v_mul_f32_e32 v24, 0x3fb8aa3b, v9
	v_mul_f32_e32 v25, 0x3fb8aa3b, v30
	;; [unrolled: 1-line block ×5, first 2 shown]
	v_fma_f32 v43, v5, s22, -v23
	v_rndne_f32_e32 v44, v23
	v_sub_f32_e32 v20, v20, v1
	v_fma_f32 v45, v9, s22, -v24
	v_rndne_f32_e32 v46, v24
	v_fma_f32 v47, v30, s22, -v25
	v_rndne_f32_e32 v48, v25
	v_fma_f32 v51, v40, s22, -v27
	v_rndne_f32_e32 v52, v27
	v_fma_f32 v55, v21, s22, -v42
	v_rndne_f32_e32 v56, v42
	v_fma_f32 v57, v22, s22, -v6
	v_rndne_f32_e32 v58, v6
	v_fmac_f32_e32 v43, 0x32a5705f, v5
	v_sub_f32_e32 v12, v23, v44
	v_mul_f32_e32 v26, 0x3fb8aa3b, v31
	v_mul_f32_e32 v41, 0x3fb8aa3b, v20
	v_fmac_f32_e32 v45, 0x32a5705f, v9
	v_sub_f32_e32 v23, v24, v46
	v_fmac_f32_e32 v47, 0x32a5705f, v30
	v_sub_f32_e32 v25, v25, v48
	v_fmac_f32_e32 v51, 0x32a5705f, v40
	v_sub_f32_e32 v27, v27, v52
	v_fmac_f32_e32 v55, 0x32a5705f, v21
	v_sub_f32_e32 v42, v42, v56
	v_fmac_f32_e32 v57, 0x32a5705f, v22
	v_sub_f32_e32 v6, v6, v58
	v_add_f32_e32 v12, v12, v43
	v_fma_f32 v49, v31, s22, -v26
	v_rndne_f32_e32 v50, v26
	v_fma_f32 v53, v20, s22, -v41
	v_rndne_f32_e32 v54, v41
	v_cvt_i32_f32_e32 v13, v44
	v_add_f32_e32 v23, v23, v45
	v_add_f32_e32 v25, v25, v47
	;; [unrolled: 1-line block ×5, first 2 shown]
	v_exp_f32_e32 v12, v12
	v_cvt_i32_f32_e32 v24, v46
	v_cvt_i32_f32_e32 v28, v48
	v_fmac_f32_e32 v49, 0x32a5705f, v31
	v_sub_f32_e32 v26, v26, v50
	v_cvt_i32_f32_e32 v29, v50
	v_cvt_i32_f32_e32 v44, v52
	v_fmac_f32_e32 v53, 0x32a5705f, v20
	v_sub_f32_e32 v41, v41, v54
	v_cvt_i32_f32_e32 v48, v56
	v_cvt_i32_f32_e32 v50, v58
	v_exp_f32_e32 v23, v23
	v_exp_f32_e32 v25, v25
	;; [unrolled: 1-line block ×5, first 2 shown]
	v_add_f32_e32 v26, v26, v49
	v_add_f32_e32 v41, v41, v53
	v_cvt_i32_f32_e32 v46, v54
	v_exp_f32_e32 v26, v26
	v_exp_f32_e32 v41, v41
	v_ldexp_f32 v12, v12, v13
	v_cmp_ngt_f32_e64 s[12:13], s23, v5
	v_ldexp_f32 v13, v23, v24
	v_cmp_ngt_f32_e32 vcc, s23, v9
	v_ldexp_f32 v23, v25, v28
	v_ldexp_f32 v25, v27, v44
	v_ldexp_f32 v27, v42, v48
	v_cmp_ngt_f32_e64 s[8:9], s23, v21
	v_ldexp_f32 v6, v6, v50
	v_cmp_ngt_f32_e64 s[10:11], s23, v22
	v_cndmask_b32_e64 v12, 0, v12, s[12:13]
	v_cmp_nlt_f32_e64 s[12:13], s24, v5
	v_cmp_ngt_f32_e64 s[0:1], s23, v30
	v_cndmask_b32_e32 v13, 0, v13, vcc
	v_cmp_nlt_f32_e32 vcc, s24, v9
	v_cndmask_b32_e64 v27, 0, v27, s[8:9]
	v_cmp_nlt_f32_e64 s[8:9], s24, v21
	v_cndmask_b32_e64 v21, 0, v6, s[10:11]
	v_cndmask_b32_e64 v6, v8, v12, s[12:13]
	v_ldexp_f32 v24, v26, v29
	v_cmp_ngt_f32_e64 s[2:3], s23, v31
	v_cmp_ngt_f32_e64 s[4:5], s23, v40
	v_ldexp_f32 v26, v41, v46
	v_cmp_ngt_f32_e64 s[6:7], s23, v20
	v_cndmask_b32_e64 v9, 0, v23, s[0:1]
	v_cmp_nlt_f32_e64 s[0:1], s24, v30
	v_cndmask_b32_e32 v12, v8, v13, vcc
	s_waitcnt vmcnt(7)
	v_pk_fma_f32 v[2:3], v[6:7], v[32:33], v[2:3] op_sel_hi:[0,1,1]
	v_cndmask_b32_e64 v23, 0, v24, s[2:3]
	v_cmp_nlt_f32_e64 s[2:3], s24, v31
	v_cndmask_b32_e64 v24, 0, v25, s[4:5]
	v_cndmask_b32_e64 v25, 0, v26, s[6:7]
	v_cmp_nlt_f32_e64 s[6:7], s24, v20
	v_cndmask_b32_e64 v20, v8, v9, s[0:1]
	s_waitcnt vmcnt(6)
	v_pk_fma_f32 v[2:3], v[12:13], v[34:35], v[2:3] op_sel_hi:[0,1,1]
	v_cmp_nlt_f32_e64 s[4:5], s24, v40
	v_cmp_nlt_f32_e64 s[10:11], s24, v22
	v_cndmask_b32_e64 v22, v8, v23, s[2:3]
	s_waitcnt vmcnt(5)
	v_pk_fma_f32 v[2:3], v[20:21], v[36:37], v[2:3] op_sel_hi:[0,1,1]
	v_cndmask_b32_e64 v24, v8, v24, s[4:5]
	s_waitcnt vmcnt(4)
	v_pk_fma_f32 v[2:3], v[22:23], v[38:39], v[2:3] op_sel_hi:[0,1,1]
	;; [unrolled: 3-line block ×4, first 2 shown]
	s_add_i32 s25, s25, 8
	s_add_i32 s21, s21, 64
	v_cndmask_b32_e64 v30, v8, v21, s[10:11]
	s_waitcnt vmcnt(1)
	v_pk_fma_f32 v[2:3], v[28:29], v[16:17], v[2:3] op_sel_hi:[0,1,1]
	s_cmp_eq_u32 s20, s25
	v_add_u32_e32 v4, 0x1000, v4
	s_waitcnt vmcnt(0)
	v_pk_fma_f32 v[2:3], v[30:31], v[18:19], v[2:3] op_sel_hi:[0,1,1]
	s_cbranch_scc0 .LBB38_24
; %bb.25:
	s_and_b32 s0, s19, 7
	s_cmp_eq_u32 s0, 0
	s_cbranch_scc0 .LBB38_28
	s_branch .LBB38_30
.LBB38_26:
	s_waitcnt lgkmcnt(0)
	v_mov_b32_e32 v1, 0x7fc00000
	s_branch .LBB38_31
.LBB38_27:
	v_mov_b32_e32 v2, 0
	s_mov_b32 s20, 0
	v_mov_b32_e32 v3, v2
	s_and_b32 s0, s19, 7
	s_cmp_eq_u32 s0, 0
	s_cbranch_scc1 .LBB38_30
.LBB38_28:
	s_lshl_b32 s1, s20, 3
	v_lshl_or_b32 v4, s20, 9, v0
	s_add_i32 s1, s1, 0
	s_mov_b32 s2, 0x3fb8aa3b
	s_mov_b32 s3, 0xc2ce8ed0
	;; [unrolled: 1-line block ×3, first 2 shown]
	v_mov_b32_e32 v6, 0x7f800000
	v_mov_b32_e32 v5, 0
.LBB38_29:                              ; =>This Inner Loop Header: Depth=1
	v_lshl_add_u64 v[8:9], v[4:5], 2, s[16:17]
	global_load_dword v9, v[8:9], off
	v_mov_b32_e32 v7, s1
	ds_read_b64 v[10:11], v7
	s_add_i32 s1, s1, 8
	s_add_i32 s0, s0, -1
	v_add_u32_e32 v4, 0x200, v4
	s_cmp_lg_u32 s0, 0
	s_waitcnt lgkmcnt(0)
	v_sub_f32_e32 v7, v10, v1
	v_mul_f32_e32 v8, 0x3fb8aa3b, v7
	v_fma_f32 v10, v7, s2, -v8
	v_rndne_f32_e32 v12, v8
	v_fmac_f32_e32 v10, 0x32a5705f, v7
	v_sub_f32_e32 v8, v8, v12
	v_add_f32_e32 v8, v8, v10
	v_cvt_i32_f32_e32 v12, v12
	v_exp_f32_e32 v10, v8
	v_cmp_ngt_f32_e32 vcc, s3, v7
	v_mov_b32_e32 v8, v11
	v_ldexp_f32 v10, v10, v12
	v_cndmask_b32_e32 v10, 0, v10, vcc
	v_cmp_nlt_f32_e32 vcc, s4, v7
	s_nop 1
	v_cndmask_b32_e32 v10, v6, v10, vcc
	s_waitcnt vmcnt(0)
	v_pk_fma_f32 v[2:3], v[10:11], v[8:9], v[2:3] op_sel_hi:[0,1,1]
	s_cbranch_scc1 .LBB38_29
.LBB38_30:
	s_waitcnt lgkmcnt(0)
	v_div_scale_f32 v1, s[0:1], v2, v2, v3
	v_rcp_f32_e32 v4, v1
	v_div_scale_f32 v5, vcc, v3, v2, v3
	v_fma_f32 v6, -v1, v4, 1.0
	v_fmac_f32_e32 v4, v6, v4
	v_mul_f32_e32 v6, v5, v4
	v_fma_f32 v7, -v1, v6, v5
	v_fmac_f32_e32 v6, v7, v4
	v_fma_f32 v1, -v1, v6, v5
	v_div_fmas_f32 v1, v1, v4, v6
	v_div_fixup_f32 v1, v1, v2, v3
.LBB38_31:
	s_lshl_b32 s0, s18, 9
	s_ashr_i32 s1, s0, 31
	s_lshl_b64 s[0:1], s[0:1], 2
	s_add_u32 s0, s14, s0
	s_addc_u32 s1, s15, s1
	v_lshlrev_b32_e32 v0, 2, v0
	global_store_dword v0, v1, s[0:1]
	s_endpgm
	.section	.rodata,"a",@progbits
	.p2align	6, 0x0
	.amdhsa_kernel _ZL26flash_attn_combine_resultsILi512EEvPKfPK15HIP_vector_typeIfLj2EEPfi
		.amdhsa_group_segment_fixed_size 0
		.amdhsa_private_segment_fixed_size 0
		.amdhsa_kernarg_size 288
		.amdhsa_user_sgpr_count 2
		.amdhsa_user_sgpr_dispatch_ptr 0
		.amdhsa_user_sgpr_queue_ptr 0
		.amdhsa_user_sgpr_kernarg_segment_ptr 1
		.amdhsa_user_sgpr_dispatch_id 0
		.amdhsa_user_sgpr_kernarg_preload_length 0
		.amdhsa_user_sgpr_kernarg_preload_offset 0
		.amdhsa_user_sgpr_private_segment_size 0
		.amdhsa_uses_dynamic_stack 0
		.amdhsa_enable_private_segment 0
		.amdhsa_system_sgpr_workgroup_id_x 1
		.amdhsa_system_sgpr_workgroup_id_y 1
		.amdhsa_system_sgpr_workgroup_id_z 1
		.amdhsa_system_sgpr_workgroup_info 0
		.amdhsa_system_vgpr_workitem_id 0
		.amdhsa_next_free_vgpr 59
		.amdhsa_next_free_sgpr 26
		.amdhsa_accum_offset 60
		.amdhsa_reserve_vcc 1
		.amdhsa_float_round_mode_32 0
		.amdhsa_float_round_mode_16_64 0
		.amdhsa_float_denorm_mode_32 3
		.amdhsa_float_denorm_mode_16_64 3
		.amdhsa_dx10_clamp 1
		.amdhsa_ieee_mode 1
		.amdhsa_fp16_overflow 0
		.amdhsa_tg_split 0
		.amdhsa_exception_fp_ieee_invalid_op 0
		.amdhsa_exception_fp_denorm_src 0
		.amdhsa_exception_fp_ieee_div_zero 0
		.amdhsa_exception_fp_ieee_overflow 0
		.amdhsa_exception_fp_ieee_underflow 0
		.amdhsa_exception_fp_ieee_inexact 0
		.amdhsa_exception_int_div_zero 0
	.end_amdhsa_kernel
	.section	.text._ZL26flash_attn_combine_resultsILi512EEvPKfPK15HIP_vector_typeIfLj2EEPfi,"axG",@progbits,_ZL26flash_attn_combine_resultsILi512EEvPKfPK15HIP_vector_typeIfLj2EEPfi,comdat
.Lfunc_end38:
	.size	_ZL26flash_attn_combine_resultsILi512EEvPKfPK15HIP_vector_typeIfLj2EEPfi, .Lfunc_end38-_ZL26flash_attn_combine_resultsILi512EEvPKfPK15HIP_vector_typeIfLj2EEPfi
                                        ; -- End function
	.set _ZL26flash_attn_combine_resultsILi512EEvPKfPK15HIP_vector_typeIfLj2EEPfi.num_vgpr, 59
	.set _ZL26flash_attn_combine_resultsILi512EEvPKfPK15HIP_vector_typeIfLj2EEPfi.num_agpr, 0
	.set _ZL26flash_attn_combine_resultsILi512EEvPKfPK15HIP_vector_typeIfLj2EEPfi.numbered_sgpr, 26
	.set _ZL26flash_attn_combine_resultsILi512EEvPKfPK15HIP_vector_typeIfLj2EEPfi.num_named_barrier, 0
	.set _ZL26flash_attn_combine_resultsILi512EEvPKfPK15HIP_vector_typeIfLj2EEPfi.private_seg_size, 0
	.set _ZL26flash_attn_combine_resultsILi512EEvPKfPK15HIP_vector_typeIfLj2EEPfi.uses_vcc, 1
	.set _ZL26flash_attn_combine_resultsILi512EEvPKfPK15HIP_vector_typeIfLj2EEPfi.uses_flat_scratch, 0
	.set _ZL26flash_attn_combine_resultsILi512EEvPKfPK15HIP_vector_typeIfLj2EEPfi.has_dyn_sized_stack, 0
	.set _ZL26flash_attn_combine_resultsILi512EEvPKfPK15HIP_vector_typeIfLj2EEPfi.has_recursion, 0
	.set _ZL26flash_attn_combine_resultsILi512EEvPKfPK15HIP_vector_typeIfLj2EEPfi.has_indirect_call, 0
	.section	.AMDGPU.csdata,"",@progbits
; Kernel info:
; codeLenInByte = 2924
; TotalNumSgprs: 32
; NumVgprs: 59
; NumAgprs: 0
; TotalNumVgprs: 59
; ScratchSize: 0
; MemoryBound: 0
; FloatMode: 240
; IeeeMode: 1
; LDSByteSize: 0 bytes/workgroup (compile time only)
; SGPRBlocks: 3
; VGPRBlocks: 7
; NumSGPRsForWavesPerEU: 32
; NumVGPRsForWavesPerEU: 59
; AccumOffset: 60
; Occupancy: 8
; WaveLimiterHint : 0
; COMPUTE_PGM_RSRC2:SCRATCH_EN: 0
; COMPUTE_PGM_RSRC2:USER_SGPR: 2
; COMPUTE_PGM_RSRC2:TRAP_HANDLER: 0
; COMPUTE_PGM_RSRC2:TGID_X_EN: 1
; COMPUTE_PGM_RSRC2:TGID_Y_EN: 1
; COMPUTE_PGM_RSRC2:TGID_Z_EN: 1
; COMPUTE_PGM_RSRC2:TIDIG_COMP_CNT: 0
; COMPUTE_PGM_RSRC3_GFX90A:ACCUM_OFFSET: 14
; COMPUTE_PGM_RSRC3_GFX90A:TG_SPLIT: 0
	.section	.text._ZL18flash_attn_ext_f16ILi576ELi512ELi16ELi4ELb0ELb1EEvPKcS1_S1_S1_S1_PKiPfP15HIP_vector_typeIfLj2EEffffjfiS5_IjLj3EEiiiiiiiiiiiliiliiiiil,"axG",@progbits,_ZL18flash_attn_ext_f16ILi576ELi512ELi16ELi4ELb0ELb1EEvPKcS1_S1_S1_S1_PKiPfP15HIP_vector_typeIfLj2EEffffjfiS5_IjLj3EEiiiiiiiiiiiliiliiiiil,comdat
	.globl	_ZL18flash_attn_ext_f16ILi576ELi512ELi16ELi4ELb0ELb1EEvPKcS1_S1_S1_S1_PKiPfP15HIP_vector_typeIfLj2EEffffjfiS5_IjLj3EEiiiiiiiiiiiliiliiiiil ; -- Begin function _ZL18flash_attn_ext_f16ILi576ELi512ELi16ELi4ELb0ELb1EEvPKcS1_S1_S1_S1_PKiPfP15HIP_vector_typeIfLj2EEffffjfiS5_IjLj3EEiiiiiiiiiiiliiliiiiil
	.p2align	8
	.type	_ZL18flash_attn_ext_f16ILi576ELi512ELi16ELi4ELb0ELb1EEvPKcS1_S1_S1_S1_PKiPfP15HIP_vector_typeIfLj2EEffffjfiS5_IjLj3EEiiiiiiiiiiiliiliiiiil,@function
_ZL18flash_attn_ext_f16ILi576ELi512ELi16ELi4ELb0ELb1EEvPKcS1_S1_S1_S1_PKiPfP15HIP_vector_typeIfLj2EEffffjfiS5_IjLj3EEiiiiiiiiiiiliiliiiiil: ; @_ZL18flash_attn_ext_f16ILi576ELi512ELi16ELi4ELb0ELb1EEvPKcS1_S1_S1_S1_PKiPfP15HIP_vector_typeIfLj2EEffffjfiS5_IjLj3EEiiiiiiiiiiiliiliiiiil
; %bb.0:
	s_add_u32 s8, s0, 0xd0
	s_addc_u32 s9, s1, 0
	s_getpc_b64 s[0:1]
	s_add_u32 s0, s0, _ZL14no_device_codePKciS0_iS0_@rel32@lo+4
	s_addc_u32 s1, s1, _ZL14no_device_codePKciS0_iS0_@rel32@hi+12
	v_mov_b32_e32 v0, 0x6ea
	s_mov_b32 s32, 0
	s_swappc_b64 s[30:31], s[0:1]
	.section	.rodata,"a",@progbits
	.p2align	6, 0x0
	.amdhsa_kernel _ZL18flash_attn_ext_f16ILi576ELi512ELi16ELi4ELb0ELb1EEvPKcS1_S1_S1_S1_PKiPfP15HIP_vector_typeIfLj2EEffffjfiS5_IjLj3EEiiiiiiiiiiiliiliiiiil
		.amdhsa_group_segment_fixed_size 0
		.amdhsa_private_segment_fixed_size 16
		.amdhsa_kernarg_size 464
		.amdhsa_user_sgpr_count 2
		.amdhsa_user_sgpr_dispatch_ptr 0
		.amdhsa_user_sgpr_queue_ptr 0
		.amdhsa_user_sgpr_kernarg_segment_ptr 1
		.amdhsa_user_sgpr_dispatch_id 0
		.amdhsa_user_sgpr_kernarg_preload_length 0
		.amdhsa_user_sgpr_kernarg_preload_offset 0
		.amdhsa_user_sgpr_private_segment_size 0
		.amdhsa_uses_dynamic_stack 0
		.amdhsa_enable_private_segment 1
		.amdhsa_system_sgpr_workgroup_id_x 1
		.amdhsa_system_sgpr_workgroup_id_y 0
		.amdhsa_system_sgpr_workgroup_id_z 0
		.amdhsa_system_sgpr_workgroup_info 0
		.amdhsa_system_vgpr_workitem_id 0
		.amdhsa_next_free_vgpr 52
		.amdhsa_next_free_sgpr 34
		.amdhsa_accum_offset 52
		.amdhsa_reserve_vcc 1
		.amdhsa_float_round_mode_32 0
		.amdhsa_float_round_mode_16_64 0
		.amdhsa_float_denorm_mode_32 3
		.amdhsa_float_denorm_mode_16_64 3
		.amdhsa_dx10_clamp 1
		.amdhsa_ieee_mode 1
		.amdhsa_fp16_overflow 0
		.amdhsa_tg_split 0
		.amdhsa_exception_fp_ieee_invalid_op 0
		.amdhsa_exception_fp_denorm_src 0
		.amdhsa_exception_fp_ieee_div_zero 0
		.amdhsa_exception_fp_ieee_overflow 0
		.amdhsa_exception_fp_ieee_underflow 0
		.amdhsa_exception_fp_ieee_inexact 0
		.amdhsa_exception_int_div_zero 0
	.end_amdhsa_kernel
	.section	.text._ZL18flash_attn_ext_f16ILi576ELi512ELi16ELi4ELb0ELb1EEvPKcS1_S1_S1_S1_PKiPfP15HIP_vector_typeIfLj2EEffffjfiS5_IjLj3EEiiiiiiiiiiiliiliiiiil,"axG",@progbits,_ZL18flash_attn_ext_f16ILi576ELi512ELi16ELi4ELb0ELb1EEvPKcS1_S1_S1_S1_PKiPfP15HIP_vector_typeIfLj2EEffffjfiS5_IjLj3EEiiiiiiiiiiiliiliiiiil,comdat
.Lfunc_end39:
	.size	_ZL18flash_attn_ext_f16ILi576ELi512ELi16ELi4ELb0ELb1EEvPKcS1_S1_S1_S1_PKiPfP15HIP_vector_typeIfLj2EEffffjfiS5_IjLj3EEiiiiiiiiiiiliiliiiiil, .Lfunc_end39-_ZL18flash_attn_ext_f16ILi576ELi512ELi16ELi4ELb0ELb1EEvPKcS1_S1_S1_S1_PKiPfP15HIP_vector_typeIfLj2EEffffjfiS5_IjLj3EEiiiiiiiiiiiliiliiiiil
                                        ; -- End function
	.set _ZL18flash_attn_ext_f16ILi576ELi512ELi16ELi4ELb0ELb1EEvPKcS1_S1_S1_S1_PKiPfP15HIP_vector_typeIfLj2EEffffjfiS5_IjLj3EEiiiiiiiiiiiliiliiiiil.num_vgpr, max(1, .L_ZL14no_device_codePKciS0_iS0_.num_vgpr)
	.set _ZL18flash_attn_ext_f16ILi576ELi512ELi16ELi4ELb0ELb1EEvPKcS1_S1_S1_S1_PKiPfP15HIP_vector_typeIfLj2EEffffjfiS5_IjLj3EEiiiiiiiiiiiliiliiiiil.num_agpr, max(0, .L_ZL14no_device_codePKciS0_iS0_.num_agpr)
	.set _ZL18flash_attn_ext_f16ILi576ELi512ELi16ELi4ELb0ELb1EEvPKcS1_S1_S1_S1_PKiPfP15HIP_vector_typeIfLj2EEffffjfiS5_IjLj3EEiiiiiiiiiiiliiliiiiil.numbered_sgpr, max(33, .L_ZL14no_device_codePKciS0_iS0_.numbered_sgpr)
	.set _ZL18flash_attn_ext_f16ILi576ELi512ELi16ELi4ELb0ELb1EEvPKcS1_S1_S1_S1_PKiPfP15HIP_vector_typeIfLj2EEffffjfiS5_IjLj3EEiiiiiiiiiiiliiliiiiil.num_named_barrier, max(0, .L_ZL14no_device_codePKciS0_iS0_.num_named_barrier)
	.set _ZL18flash_attn_ext_f16ILi576ELi512ELi16ELi4ELb0ELb1EEvPKcS1_S1_S1_S1_PKiPfP15HIP_vector_typeIfLj2EEffffjfiS5_IjLj3EEiiiiiiiiiiiliiliiiiil.private_seg_size, 0+max(.L_ZL14no_device_codePKciS0_iS0_.private_seg_size)
	.set _ZL18flash_attn_ext_f16ILi576ELi512ELi16ELi4ELb0ELb1EEvPKcS1_S1_S1_S1_PKiPfP15HIP_vector_typeIfLj2EEffffjfiS5_IjLj3EEiiiiiiiiiiiliiliiiiil.uses_vcc, or(1, .L_ZL14no_device_codePKciS0_iS0_.uses_vcc)
	.set _ZL18flash_attn_ext_f16ILi576ELi512ELi16ELi4ELb0ELb1EEvPKcS1_S1_S1_S1_PKiPfP15HIP_vector_typeIfLj2EEffffjfiS5_IjLj3EEiiiiiiiiiiiliiliiiiil.uses_flat_scratch, or(0, .L_ZL14no_device_codePKciS0_iS0_.uses_flat_scratch)
	.set _ZL18flash_attn_ext_f16ILi576ELi512ELi16ELi4ELb0ELb1EEvPKcS1_S1_S1_S1_PKiPfP15HIP_vector_typeIfLj2EEffffjfiS5_IjLj3EEiiiiiiiiiiiliiliiiiil.has_dyn_sized_stack, or(0, .L_ZL14no_device_codePKciS0_iS0_.has_dyn_sized_stack)
	.set _ZL18flash_attn_ext_f16ILi576ELi512ELi16ELi4ELb0ELb1EEvPKcS1_S1_S1_S1_PKiPfP15HIP_vector_typeIfLj2EEffffjfiS5_IjLj3EEiiiiiiiiiiiliiliiiiil.has_recursion, or(0, .L_ZL14no_device_codePKciS0_iS0_.has_recursion)
	.set _ZL18flash_attn_ext_f16ILi576ELi512ELi16ELi4ELb0ELb1EEvPKcS1_S1_S1_S1_PKiPfP15HIP_vector_typeIfLj2EEffffjfiS5_IjLj3EEiiiiiiiiiiiliiliiiiil.has_indirect_call, or(0, .L_ZL14no_device_codePKciS0_iS0_.has_indirect_call)
	.section	.AMDGPU.csdata,"",@progbits
; Kernel info:
; codeLenInByte = 48
; TotalNumSgprs: 40
; NumVgprs: 52
; NumAgprs: 0
; TotalNumVgprs: 52
; ScratchSize: 16
; MemoryBound: 0
; FloatMode: 240
; IeeeMode: 1
; LDSByteSize: 0 bytes/workgroup (compile time only)
; SGPRBlocks: 4
; VGPRBlocks: 6
; NumSGPRsForWavesPerEU: 40
; NumVGPRsForWavesPerEU: 52
; AccumOffset: 52
; Occupancy: 8
; WaveLimiterHint : 1
; COMPUTE_PGM_RSRC2:SCRATCH_EN: 1
; COMPUTE_PGM_RSRC2:USER_SGPR: 2
; COMPUTE_PGM_RSRC2:TRAP_HANDLER: 0
; COMPUTE_PGM_RSRC2:TGID_X_EN: 1
; COMPUTE_PGM_RSRC2:TGID_Y_EN: 0
; COMPUTE_PGM_RSRC2:TGID_Z_EN: 0
; COMPUTE_PGM_RSRC2:TIDIG_COMP_CNT: 0
; COMPUTE_PGM_RSRC3_GFX90A:ACCUM_OFFSET: 12
; COMPUTE_PGM_RSRC3_GFX90A:TG_SPLIT: 0
	.section	.text._ZL18flash_attn_ext_f16ILi576ELi512ELi16ELi4ELb1ELb1EEvPKcS1_S1_S1_S1_PKiPfP15HIP_vector_typeIfLj2EEffffjfiS5_IjLj3EEiiiiiiiiiiiliiliiiiil,"axG",@progbits,_ZL18flash_attn_ext_f16ILi576ELi512ELi16ELi4ELb1ELb1EEvPKcS1_S1_S1_S1_PKiPfP15HIP_vector_typeIfLj2EEffffjfiS5_IjLj3EEiiiiiiiiiiiliiliiiiil,comdat
	.globl	_ZL18flash_attn_ext_f16ILi576ELi512ELi16ELi4ELb1ELb1EEvPKcS1_S1_S1_S1_PKiPfP15HIP_vector_typeIfLj2EEffffjfiS5_IjLj3EEiiiiiiiiiiiliiliiiiil ; -- Begin function _ZL18flash_attn_ext_f16ILi576ELi512ELi16ELi4ELb1ELb1EEvPKcS1_S1_S1_S1_PKiPfP15HIP_vector_typeIfLj2EEffffjfiS5_IjLj3EEiiiiiiiiiiiliiliiiiil
	.p2align	8
	.type	_ZL18flash_attn_ext_f16ILi576ELi512ELi16ELi4ELb1ELb1EEvPKcS1_S1_S1_S1_PKiPfP15HIP_vector_typeIfLj2EEffffjfiS5_IjLj3EEiiiiiiiiiiiliiliiiiil,@function
_ZL18flash_attn_ext_f16ILi576ELi512ELi16ELi4ELb1ELb1EEvPKcS1_S1_S1_S1_PKiPfP15HIP_vector_typeIfLj2EEffffjfiS5_IjLj3EEiiiiiiiiiiiliiliiiiil: ; @_ZL18flash_attn_ext_f16ILi576ELi512ELi16ELi4ELb1ELb1EEvPKcS1_S1_S1_S1_PKiPfP15HIP_vector_typeIfLj2EEffffjfiS5_IjLj3EEiiiiiiiiiiiliiliiiiil
; %bb.0:
	s_add_u32 s8, s0, 0xd0
	s_addc_u32 s9, s1, 0
	s_getpc_b64 s[0:1]
	s_add_u32 s0, s0, _ZL14no_device_codePKciS0_iS0_@rel32@lo+4
	s_addc_u32 s1, s1, _ZL14no_device_codePKciS0_iS0_@rel32@hi+12
	v_mov_b32_e32 v0, 0x6cc
	s_mov_b32 s32, 0
	s_swappc_b64 s[30:31], s[0:1]
	.section	.rodata,"a",@progbits
	.p2align	6, 0x0
	.amdhsa_kernel _ZL18flash_attn_ext_f16ILi576ELi512ELi16ELi4ELb1ELb1EEvPKcS1_S1_S1_S1_PKiPfP15HIP_vector_typeIfLj2EEffffjfiS5_IjLj3EEiiiiiiiiiiiliiliiiiil
		.amdhsa_group_segment_fixed_size 0
		.amdhsa_private_segment_fixed_size 16
		.amdhsa_kernarg_size 464
		.amdhsa_user_sgpr_count 2
		.amdhsa_user_sgpr_dispatch_ptr 0
		.amdhsa_user_sgpr_queue_ptr 0
		.amdhsa_user_sgpr_kernarg_segment_ptr 1
		.amdhsa_user_sgpr_dispatch_id 0
		.amdhsa_user_sgpr_kernarg_preload_length 0
		.amdhsa_user_sgpr_kernarg_preload_offset 0
		.amdhsa_user_sgpr_private_segment_size 0
		.amdhsa_uses_dynamic_stack 0
		.amdhsa_enable_private_segment 1
		.amdhsa_system_sgpr_workgroup_id_x 1
		.amdhsa_system_sgpr_workgroup_id_y 0
		.amdhsa_system_sgpr_workgroup_id_z 0
		.amdhsa_system_sgpr_workgroup_info 0
		.amdhsa_system_vgpr_workitem_id 0
		.amdhsa_next_free_vgpr 52
		.amdhsa_next_free_sgpr 34
		.amdhsa_accum_offset 52
		.amdhsa_reserve_vcc 1
		.amdhsa_float_round_mode_32 0
		.amdhsa_float_round_mode_16_64 0
		.amdhsa_float_denorm_mode_32 3
		.amdhsa_float_denorm_mode_16_64 3
		.amdhsa_dx10_clamp 1
		.amdhsa_ieee_mode 1
		.amdhsa_fp16_overflow 0
		.amdhsa_tg_split 0
		.amdhsa_exception_fp_ieee_invalid_op 0
		.amdhsa_exception_fp_denorm_src 0
		.amdhsa_exception_fp_ieee_div_zero 0
		.amdhsa_exception_fp_ieee_overflow 0
		.amdhsa_exception_fp_ieee_underflow 0
		.amdhsa_exception_fp_ieee_inexact 0
		.amdhsa_exception_int_div_zero 0
	.end_amdhsa_kernel
	.section	.text._ZL18flash_attn_ext_f16ILi576ELi512ELi16ELi4ELb1ELb1EEvPKcS1_S1_S1_S1_PKiPfP15HIP_vector_typeIfLj2EEffffjfiS5_IjLj3EEiiiiiiiiiiiliiliiiiil,"axG",@progbits,_ZL18flash_attn_ext_f16ILi576ELi512ELi16ELi4ELb1ELb1EEvPKcS1_S1_S1_S1_PKiPfP15HIP_vector_typeIfLj2EEffffjfiS5_IjLj3EEiiiiiiiiiiiliiliiiiil,comdat
.Lfunc_end40:
	.size	_ZL18flash_attn_ext_f16ILi576ELi512ELi16ELi4ELb1ELb1EEvPKcS1_S1_S1_S1_PKiPfP15HIP_vector_typeIfLj2EEffffjfiS5_IjLj3EEiiiiiiiiiiiliiliiiiil, .Lfunc_end40-_ZL18flash_attn_ext_f16ILi576ELi512ELi16ELi4ELb1ELb1EEvPKcS1_S1_S1_S1_PKiPfP15HIP_vector_typeIfLj2EEffffjfiS5_IjLj3EEiiiiiiiiiiiliiliiiiil
                                        ; -- End function
	.set _ZL18flash_attn_ext_f16ILi576ELi512ELi16ELi4ELb1ELb1EEvPKcS1_S1_S1_S1_PKiPfP15HIP_vector_typeIfLj2EEffffjfiS5_IjLj3EEiiiiiiiiiiiliiliiiiil.num_vgpr, max(1, .L_ZL14no_device_codePKciS0_iS0_.num_vgpr)
	.set _ZL18flash_attn_ext_f16ILi576ELi512ELi16ELi4ELb1ELb1EEvPKcS1_S1_S1_S1_PKiPfP15HIP_vector_typeIfLj2EEffffjfiS5_IjLj3EEiiiiiiiiiiiliiliiiiil.num_agpr, max(0, .L_ZL14no_device_codePKciS0_iS0_.num_agpr)
	.set _ZL18flash_attn_ext_f16ILi576ELi512ELi16ELi4ELb1ELb1EEvPKcS1_S1_S1_S1_PKiPfP15HIP_vector_typeIfLj2EEffffjfiS5_IjLj3EEiiiiiiiiiiiliiliiiiil.numbered_sgpr, max(33, .L_ZL14no_device_codePKciS0_iS0_.numbered_sgpr)
	.set _ZL18flash_attn_ext_f16ILi576ELi512ELi16ELi4ELb1ELb1EEvPKcS1_S1_S1_S1_PKiPfP15HIP_vector_typeIfLj2EEffffjfiS5_IjLj3EEiiiiiiiiiiiliiliiiiil.num_named_barrier, max(0, .L_ZL14no_device_codePKciS0_iS0_.num_named_barrier)
	.set _ZL18flash_attn_ext_f16ILi576ELi512ELi16ELi4ELb1ELb1EEvPKcS1_S1_S1_S1_PKiPfP15HIP_vector_typeIfLj2EEffffjfiS5_IjLj3EEiiiiiiiiiiiliiliiiiil.private_seg_size, 0+max(.L_ZL14no_device_codePKciS0_iS0_.private_seg_size)
	.set _ZL18flash_attn_ext_f16ILi576ELi512ELi16ELi4ELb1ELb1EEvPKcS1_S1_S1_S1_PKiPfP15HIP_vector_typeIfLj2EEffffjfiS5_IjLj3EEiiiiiiiiiiiliiliiiiil.uses_vcc, or(1, .L_ZL14no_device_codePKciS0_iS0_.uses_vcc)
	.set _ZL18flash_attn_ext_f16ILi576ELi512ELi16ELi4ELb1ELb1EEvPKcS1_S1_S1_S1_PKiPfP15HIP_vector_typeIfLj2EEffffjfiS5_IjLj3EEiiiiiiiiiiiliiliiiiil.uses_flat_scratch, or(0, .L_ZL14no_device_codePKciS0_iS0_.uses_flat_scratch)
	.set _ZL18flash_attn_ext_f16ILi576ELi512ELi16ELi4ELb1ELb1EEvPKcS1_S1_S1_S1_PKiPfP15HIP_vector_typeIfLj2EEffffjfiS5_IjLj3EEiiiiiiiiiiiliiliiiiil.has_dyn_sized_stack, or(0, .L_ZL14no_device_codePKciS0_iS0_.has_dyn_sized_stack)
	.set _ZL18flash_attn_ext_f16ILi576ELi512ELi16ELi4ELb1ELb1EEvPKcS1_S1_S1_S1_PKiPfP15HIP_vector_typeIfLj2EEffffjfiS5_IjLj3EEiiiiiiiiiiiliiliiiiil.has_recursion, or(0, .L_ZL14no_device_codePKciS0_iS0_.has_recursion)
	.set _ZL18flash_attn_ext_f16ILi576ELi512ELi16ELi4ELb1ELb1EEvPKcS1_S1_S1_S1_PKiPfP15HIP_vector_typeIfLj2EEffffjfiS5_IjLj3EEiiiiiiiiiiiliiliiiiil.has_indirect_call, or(0, .L_ZL14no_device_codePKciS0_iS0_.has_indirect_call)
	.section	.AMDGPU.csdata,"",@progbits
; Kernel info:
; codeLenInByte = 48
; TotalNumSgprs: 40
; NumVgprs: 52
; NumAgprs: 0
; TotalNumVgprs: 52
; ScratchSize: 16
; MemoryBound: 0
; FloatMode: 240
; IeeeMode: 1
; LDSByteSize: 0 bytes/workgroup (compile time only)
; SGPRBlocks: 4
; VGPRBlocks: 6
; NumSGPRsForWavesPerEU: 40
; NumVGPRsForWavesPerEU: 52
; AccumOffset: 52
; Occupancy: 8
; WaveLimiterHint : 1
; COMPUTE_PGM_RSRC2:SCRATCH_EN: 1
; COMPUTE_PGM_RSRC2:USER_SGPR: 2
; COMPUTE_PGM_RSRC2:TRAP_HANDLER: 0
; COMPUTE_PGM_RSRC2:TGID_X_EN: 1
; COMPUTE_PGM_RSRC2:TGID_Y_EN: 0
; COMPUTE_PGM_RSRC2:TGID_Z_EN: 0
; COMPUTE_PGM_RSRC2:TIDIG_COMP_CNT: 0
; COMPUTE_PGM_RSRC3_GFX90A:ACCUM_OFFSET: 12
; COMPUTE_PGM_RSRC3_GFX90A:TG_SPLIT: 0
	.text
	.p2alignl 6, 3212836864
	.fill 256, 4, 3212836864
	.section	.AMDGPU.gpr_maximums,"",@progbits
	.set amdgpu.max_num_vgpr, 52
	.set amdgpu.max_num_agpr, 0
	.set amdgpu.max_num_sgpr, 34
	.text
	.type	.str.3,@object                  ; @.str.3
	.section	.rodata.str1.1,"aMS",@progbits,1
.str.3:
	.asciz	"/root/src/amdgpu-assembly/repos/ggml-org__llama.cpp/ggml/src/ggml-cuda/template-instances/../fattn-mma-f16.cuh"
	.size	.str.3, 111

	.type	__FUNCTION__._ZL18flash_attn_ext_f16ILi64ELi64ELi16ELi4ELb1ELb0EEvPKcS1_S1_S1_S1_PKiPfP15HIP_vector_typeIfLj2EEffffjfiS5_IjLj3EEiiiiiiiiiiiliiliiiiil,@object ; @__FUNCTION__._ZL18flash_attn_ext_f16ILi64ELi64ELi16ELi4ELb1ELb0EEvPKcS1_S1_S1_S1_PKiPfP15HIP_vector_typeIfLj2EEffffjfiS5_IjLj3EEiiiiiiiiiiiliiliiiiil
__FUNCTION__._ZL18flash_attn_ext_f16ILi64ELi64ELi16ELi4ELb1ELb0EEvPKcS1_S1_S1_S1_PKiPfP15HIP_vector_typeIfLj2EEffffjfiS5_IjLj3EEiiiiiiiiiiiliiliiiiil:
	.asciz	"flash_attn_ext_f16"
	.size	__FUNCTION__._ZL18flash_attn_ext_f16ILi64ELi64ELi16ELi4ELb1ELb0EEvPKcS1_S1_S1_S1_PKiPfP15HIP_vector_typeIfLj2EEffffjfiS5_IjLj3EEiiiiiiiiiiiliiliiiiil, 19

	.type	.str.5,@object                  ; @.str.5
.str.5:
	.asciz	"%s:%d: ERROR: HIP kernel %s has no device code compatible with HIP arch %d.\n"
	.size	.str.5, 77

	.type	__hip_cuid_699725d558665c54,@object ; @__hip_cuid_699725d558665c54
	.section	.bss,"aw",@nobits
	.globl	__hip_cuid_699725d558665c54
__hip_cuid_699725d558665c54:
	.byte	0                               ; 0x0
	.size	__hip_cuid_699725d558665c54, 1

	.ident	"AMD clang version 22.0.0git (https://github.com/RadeonOpenCompute/llvm-project roc-7.2.4 26084 f58b06dce1f9c15707c5f808fd002e18c2accf7e)"
	.section	".note.GNU-stack","",@progbits
	.addrsig
	.addrsig_sym __hip_cuid_699725d558665c54
	.amdgpu_metadata
---
amdhsa.kernels:
  - .agpr_count:     0
    .args:
      - .address_space:  global
        .offset:         0
        .size:           8
        .value_kind:     global_buffer
      - .address_space:  global
        .offset:         8
        .size:           8
        .value_kind:     global_buffer
      - .address_space:  global
        .offset:         16
        .size:           8
        .value_kind:     global_buffer
      - .address_space:  global
        .offset:         24
        .size:           8
        .value_kind:     global_buffer
      - .address_space:  global
        .offset:         32
        .size:           8
        .value_kind:     global_buffer
      - .address_space:  global
        .offset:         40
        .size:           8
        .value_kind:     global_buffer
      - .address_space:  global
        .offset:         48
        .size:           8
        .value_kind:     global_buffer
      - .address_space:  global
        .offset:         56
        .size:           8
        .value_kind:     global_buffer
      - .offset:         64
        .size:           4
        .value_kind:     by_value
      - .offset:         68
        .size:           4
        .value_kind:     by_value
      - .offset:         72
        .size:           4
        .value_kind:     by_value
      - .offset:         76
        .size:           4
        .value_kind:     by_value
      - .offset:         80
        .size:           4
        .value_kind:     by_value
      - .offset:         84
        .size:           4
        .value_kind:     by_value
      - .offset:         88
        .size:           4
        .value_kind:     by_value
      - .offset:         92
        .size:           12
        .value_kind:     by_value
      - .offset:         104
        .size:           4
        .value_kind:     by_value
      - .offset:         108
        .size:           4
        .value_kind:     by_value
      - .offset:         112
        .size:           4
        .value_kind:     by_value
      - .offset:         116
        .size:           4
        .value_kind:     by_value
      - .offset:         120
        .size:           4
        .value_kind:     by_value
      - .offset:         124
        .size:           4
        .value_kind:     by_value
      - .offset:         128
        .size:           4
        .value_kind:     by_value
      - .offset:         132
        .size:           4
        .value_kind:     by_value
      - .offset:         136
        .size:           4
        .value_kind:     by_value
      - .offset:         140
        .size:           4
        .value_kind:     by_value
      - .offset:         144
        .size:           4
        .value_kind:     by_value
      - .offset:         152
        .size:           8
        .value_kind:     by_value
      - .offset:         160
        .size:           4
        .value_kind:     by_value
      - .offset:         164
        .size:           4
        .value_kind:     by_value
      - .offset:         168
        .size:           8
        .value_kind:     by_value
      - .offset:         176
        .size:           4
        .value_kind:     by_value
      - .offset:         180
        .size:           4
        .value_kind:     by_value
      - .offset:         184
        .size:           4
        .value_kind:     by_value
      - .offset:         188
        .size:           4
        .value_kind:     by_value
      - .offset:         192
        .size:           4
        .value_kind:     by_value
      - .offset:         200
        .size:           8
        .value_kind:     by_value
      - .offset:         208
        .size:           4
        .value_kind:     hidden_block_count_x
      - .offset:         212
        .size:           4
        .value_kind:     hidden_block_count_y
      - .offset:         216
        .size:           4
        .value_kind:     hidden_block_count_z
      - .offset:         220
        .size:           2
        .value_kind:     hidden_group_size_x
      - .offset:         222
        .size:           2
        .value_kind:     hidden_group_size_y
      - .offset:         224
        .size:           2
        .value_kind:     hidden_group_size_z
      - .offset:         226
        .size:           2
        .value_kind:     hidden_remainder_x
      - .offset:         228
        .size:           2
        .value_kind:     hidden_remainder_y
      - .offset:         230
        .size:           2
        .value_kind:     hidden_remainder_z
      - .offset:         248
        .size:           8
        .value_kind:     hidden_global_offset_x
      - .offset:         256
        .size:           8
        .value_kind:     hidden_global_offset_y
      - .offset:         264
        .size:           8
        .value_kind:     hidden_global_offset_z
      - .offset:         272
        .size:           2
        .value_kind:     hidden_grid_dims
      - .offset:         328
        .size:           4
        .value_kind:     hidden_dynamic_lds_size
    .group_segment_fixed_size: 0
    .kernarg_segment_align: 8
    .kernarg_segment_size: 464
    .language:       OpenCL C
    .language_version:
      - 2
      - 0
    .max_flat_workgroup_size: 256
    .name:           _ZL18flash_attn_ext_f16ILi64ELi64ELi16ELi4ELb0ELb0EEvPKcS1_S1_S1_S1_PKiPfP15HIP_vector_typeIfLj2EEffffjfiS5_IjLj3EEiiiiiiiiiiiliiliiiiil
    .private_segment_fixed_size: 112
    .sgpr_count:     106
    .sgpr_spill_count: 36
    .symbol:         _ZL18flash_attn_ext_f16ILi64ELi64ELi16ELi4ELb0ELb0EEvPKcS1_S1_S1_S1_PKiPfP15HIP_vector_typeIfLj2EEffffjfiS5_IjLj3EEiiiiiiiiiiiliiliiiiil.kd
    .uniform_work_group_size: 1
    .uses_dynamic_stack: false
    .vgpr_count:     128
    .vgpr_spill_count: 27
    .wavefront_size: 64
  - .agpr_count:     0
    .args:
      - .address_space:  global
        .offset:         0
        .size:           8
        .value_kind:     global_buffer
      - .address_space:  global
        .offset:         8
        .size:           8
        .value_kind:     global_buffer
      - .address_space:  global
        .offset:         16
        .size:           8
        .value_kind:     global_buffer
      - .address_space:  global
        .offset:         24
        .size:           8
        .value_kind:     global_buffer
      - .address_space:  global
        .offset:         32
        .size:           8
        .value_kind:     global_buffer
      - .address_space:  global
        .offset:         40
        .size:           8
        .value_kind:     global_buffer
      - .address_space:  global
        .offset:         48
        .size:           8
        .value_kind:     global_buffer
      - .address_space:  global
        .offset:         56
        .size:           8
        .value_kind:     global_buffer
      - .offset:         64
        .size:           4
        .value_kind:     by_value
      - .offset:         68
        .size:           4
        .value_kind:     by_value
      - .offset:         72
        .size:           4
        .value_kind:     by_value
      - .offset:         76
        .size:           4
        .value_kind:     by_value
      - .offset:         80
        .size:           4
        .value_kind:     by_value
      - .offset:         84
        .size:           4
        .value_kind:     by_value
      - .offset:         88
        .size:           4
        .value_kind:     by_value
      - .offset:         92
        .size:           12
        .value_kind:     by_value
      - .offset:         104
        .size:           4
        .value_kind:     by_value
      - .offset:         108
        .size:           4
        .value_kind:     by_value
      - .offset:         112
        .size:           4
        .value_kind:     by_value
      - .offset:         116
        .size:           4
        .value_kind:     by_value
      - .offset:         120
        .size:           4
        .value_kind:     by_value
      - .offset:         124
        .size:           4
        .value_kind:     by_value
      - .offset:         128
        .size:           4
        .value_kind:     by_value
      - .offset:         132
        .size:           4
        .value_kind:     by_value
      - .offset:         136
        .size:           4
        .value_kind:     by_value
      - .offset:         140
        .size:           4
        .value_kind:     by_value
      - .offset:         144
        .size:           4
        .value_kind:     by_value
      - .offset:         152
        .size:           8
        .value_kind:     by_value
      - .offset:         160
        .size:           4
        .value_kind:     by_value
      - .offset:         164
        .size:           4
        .value_kind:     by_value
      - .offset:         168
        .size:           8
        .value_kind:     by_value
      - .offset:         176
        .size:           4
        .value_kind:     by_value
      - .offset:         180
        .size:           4
        .value_kind:     by_value
      - .offset:         184
        .size:           4
        .value_kind:     by_value
      - .offset:         188
        .size:           4
        .value_kind:     by_value
      - .offset:         192
        .size:           4
        .value_kind:     by_value
      - .offset:         200
        .size:           8
        .value_kind:     by_value
      - .offset:         208
        .size:           4
        .value_kind:     hidden_block_count_x
      - .offset:         212
        .size:           4
        .value_kind:     hidden_block_count_y
      - .offset:         216
        .size:           4
        .value_kind:     hidden_block_count_z
      - .offset:         220
        .size:           2
        .value_kind:     hidden_group_size_x
      - .offset:         222
        .size:           2
        .value_kind:     hidden_group_size_y
      - .offset:         224
        .size:           2
        .value_kind:     hidden_group_size_z
      - .offset:         226
        .size:           2
        .value_kind:     hidden_remainder_x
      - .offset:         228
        .size:           2
        .value_kind:     hidden_remainder_y
      - .offset:         230
        .size:           2
        .value_kind:     hidden_remainder_z
      - .offset:         248
        .size:           8
        .value_kind:     hidden_global_offset_x
      - .offset:         256
        .size:           8
        .value_kind:     hidden_global_offset_y
      - .offset:         264
        .size:           8
        .value_kind:     hidden_global_offset_z
      - .offset:         272
        .size:           2
        .value_kind:     hidden_grid_dims
      - .offset:         288
        .size:           8
        .value_kind:     hidden_hostcall_buffer
    .group_segment_fixed_size: 0
    .kernarg_segment_align: 8
    .kernarg_segment_size: 464
    .language:       OpenCL C
    .language_version:
      - 2
      - 0
    .max_flat_workgroup_size: 256
    .name:           _ZL18flash_attn_ext_f16ILi64ELi64ELi16ELi4ELb1ELb0EEvPKcS1_S1_S1_S1_PKiPfP15HIP_vector_typeIfLj2EEffffjfiS5_IjLj3EEiiiiiiiiiiiliiliiiiil
    .private_segment_fixed_size: 16
    .sgpr_count:     40
    .sgpr_spill_count: 0
    .symbol:         _ZL18flash_attn_ext_f16ILi64ELi64ELi16ELi4ELb1ELb0EEvPKcS1_S1_S1_S1_PKiPfP15HIP_vector_typeIfLj2EEffffjfiS5_IjLj3EEiiiiiiiiiiiliiliiiiil.kd
    .uniform_work_group_size: 1
    .uses_dynamic_stack: false
    .vgpr_count:     52
    .vgpr_spill_count: 0
    .wavefront_size: 64
  - .agpr_count:     0
    .args:
      - .actual_access:  read_only
        .address_space:  global
        .offset:         0
        .size:           8
        .value_kind:     global_buffer
      - .actual_access:  write_only
        .address_space:  global
        .offset:         8
        .size:           8
        .value_kind:     global_buffer
      - .offset:         16
        .size:           4
        .value_kind:     by_value
      - .offset:         20
        .size:           4
        .value_kind:     by_value
      - .offset:         24
        .size:           4
        .value_kind:     by_value
      - .offset:         32
        .size:           4
        .value_kind:     hidden_block_count_x
      - .offset:         36
        .size:           4
        .value_kind:     hidden_block_count_y
      - .offset:         40
        .size:           4
        .value_kind:     hidden_block_count_z
      - .offset:         44
        .size:           2
        .value_kind:     hidden_group_size_x
      - .offset:         46
        .size:           2
        .value_kind:     hidden_group_size_y
      - .offset:         48
        .size:           2
        .value_kind:     hidden_group_size_z
      - .offset:         50
        .size:           2
        .value_kind:     hidden_remainder_x
      - .offset:         52
        .size:           2
        .value_kind:     hidden_remainder_y
      - .offset:         54
        .size:           2
        .value_kind:     hidden_remainder_z
      - .offset:         72
        .size:           8
        .value_kind:     hidden_global_offset_x
      - .offset:         80
        .size:           8
        .value_kind:     hidden_global_offset_y
      - .offset:         88
        .size:           8
        .value_kind:     hidden_global_offset_z
      - .offset:         96
        .size:           2
        .value_kind:     hidden_grid_dims
    .group_segment_fixed_size: 128
    .kernarg_segment_align: 8
    .kernarg_segment_size: 288
    .language:       OpenCL C
    .language_version:
      - 2
      - 0
    .max_flat_workgroup_size: 128
    .name:           _ZL25flash_attn_mask_to_KV_maxILi16EEvPK7__half2Piiii
    .private_segment_fixed_size: 0
    .sgpr_count:     84
    .sgpr_spill_count: 0
    .symbol:         _ZL25flash_attn_mask_to_KV_maxILi16EEvPK7__half2Piiii.kd
    .uniform_work_group_size: 1
    .uses_dynamic_stack: false
    .vgpr_count:     12
    .vgpr_spill_count: 0
    .wavefront_size: 64
  - .agpr_count:     0
    .args:
      - .address_space:  global
        .offset:         0
        .size:           8
        .value_kind:     global_buffer
      - .address_space:  global
        .offset:         8
        .size:           8
        .value_kind:     global_buffer
      - .offset:         16
        .size:           4
        .value_kind:     by_value
      - .offset:         20
        .size:           4
        .value_kind:     by_value
      - .offset:         24
        .size:           4
        .value_kind:     by_value
      - .offset:         28
        .size:           4
        .value_kind:     by_value
      - .offset:         32
        .size:           4
        .value_kind:     by_value
      - .offset:         36
        .size:           4
        .value_kind:     by_value
      - .offset:         40
        .size:           12
        .value_kind:     by_value
      - .offset:         52
        .size:           12
        .value_kind:     by_value
      - .offset:         64
        .size:           12
        .value_kind:     by_value
    .group_segment_fixed_size: 0
    .kernarg_segment_align: 8
    .kernarg_segment_size: 76
    .language:       OpenCL C
    .language_version:
      - 2
      - 0
    .max_flat_workgroup_size: 64
    .name:           _ZL33flash_attn_stream_k_fixup_uniformILi64ELi16ELi4EEvPfPK15HIP_vector_typeIfLj2EEiiiiiiS1_IjLj3EES5_S5_
    .private_segment_fixed_size: 0
    .sgpr_count:     30
    .sgpr_spill_count: 0
    .symbol:         _ZL33flash_attn_stream_k_fixup_uniformILi64ELi16ELi4EEvPfPK15HIP_vector_typeIfLj2EEiiiiiiS1_IjLj3EES5_S5_.kd
    .uniform_work_group_size: 1
    .uses_dynamic_stack: false
    .vgpr_count:     17
    .vgpr_spill_count: 0
    .wavefront_size: 64
  - .agpr_count:     0
    .args:
      - .address_space:  global
        .offset:         0
        .size:           8
        .value_kind:     global_buffer
      - .address_space:  global
        .offset:         8
        .size:           8
        .value_kind:     global_buffer
      - .offset:         16
        .size:           4
        .value_kind:     by_value
      - .offset:         20
        .size:           4
        .value_kind:     by_value
      - .offset:         24
        .size:           4
        .value_kind:     by_value
      - .offset:         28
        .size:           4
        .value_kind:     by_value
      - .offset:         32
        .size:           12
        .value_kind:     by_value
      - .offset:         44
        .size:           12
        .value_kind:     by_value
      - .offset:         56
        .size:           12
        .value_kind:     by_value
      - .offset:         68
        .size:           12
        .value_kind:     by_value
      - .offset:         80
        .size:           4
        .value_kind:     hidden_block_count_x
      - .offset:         84
        .size:           4
        .value_kind:     hidden_block_count_y
      - .offset:         88
        .size:           4
        .value_kind:     hidden_block_count_z
      - .offset:         92
        .size:           2
        .value_kind:     hidden_group_size_x
      - .offset:         94
        .size:           2
        .value_kind:     hidden_group_size_y
      - .offset:         96
        .size:           2
        .value_kind:     hidden_group_size_z
      - .offset:         98
        .size:           2
        .value_kind:     hidden_remainder_x
      - .offset:         100
        .size:           2
        .value_kind:     hidden_remainder_y
      - .offset:         102
        .size:           2
        .value_kind:     hidden_remainder_z
      - .offset:         120
        .size:           8
        .value_kind:     hidden_global_offset_x
      - .offset:         128
        .size:           8
        .value_kind:     hidden_global_offset_y
      - .offset:         136
        .size:           8
        .value_kind:     hidden_global_offset_z
      - .offset:         144
        .size:           2
        .value_kind:     hidden_grid_dims
    .group_segment_fixed_size: 0
    .kernarg_segment_align: 8
    .kernarg_segment_size: 336
    .language:       OpenCL C
    .language_version:
      - 2
      - 0
    .max_flat_workgroup_size: 64
    .name:           _ZL33flash_attn_stream_k_fixup_generalILi64ELi16ELi4EEvPfPK15HIP_vector_typeIfLj2EEiiiiS1_IjLj3EES5_S5_S5_
    .private_segment_fixed_size: 0
    .sgpr_count:     42
    .sgpr_spill_count: 0
    .symbol:         _ZL33flash_attn_stream_k_fixup_generalILi64ELi16ELi4EEvPfPK15HIP_vector_typeIfLj2EEiiiiS1_IjLj3EES5_S5_S5_.kd
    .uniform_work_group_size: 1
    .uses_dynamic_stack: false
    .vgpr_count:     18
    .vgpr_spill_count: 0
    .wavefront_size: 64
  - .agpr_count:     0
    .args:
      - .address_space:  global
        .offset:         0
        .size:           8
        .value_kind:     global_buffer
      - .address_space:  global
        .offset:         8
        .size:           8
        .value_kind:     global_buffer
      - .address_space:  global
        .offset:         16
        .size:           8
        .value_kind:     global_buffer
      - .offset:         24
        .size:           4
        .value_kind:     by_value
      - .offset:         32
        .size:           4
        .value_kind:     hidden_block_count_x
      - .offset:         36
        .size:           4
        .value_kind:     hidden_block_count_y
      - .offset:         40
        .size:           4
        .value_kind:     hidden_block_count_z
      - .offset:         44
        .size:           2
        .value_kind:     hidden_group_size_x
      - .offset:         46
        .size:           2
        .value_kind:     hidden_group_size_y
      - .offset:         48
        .size:           2
        .value_kind:     hidden_group_size_z
      - .offset:         50
        .size:           2
        .value_kind:     hidden_remainder_x
      - .offset:         52
        .size:           2
        .value_kind:     hidden_remainder_y
      - .offset:         54
        .size:           2
        .value_kind:     hidden_remainder_z
      - .offset:         72
        .size:           8
        .value_kind:     hidden_global_offset_x
      - .offset:         80
        .size:           8
        .value_kind:     hidden_global_offset_y
      - .offset:         88
        .size:           8
        .value_kind:     hidden_global_offset_z
      - .offset:         96
        .size:           2
        .value_kind:     hidden_grid_dims
      - .offset:         152
        .size:           4
        .value_kind:     hidden_dynamic_lds_size
    .group_segment_fixed_size: 0
    .kernarg_segment_align: 8
    .kernarg_segment_size: 288
    .language:       OpenCL C
    .language_version:
      - 2
      - 0
    .max_flat_workgroup_size: 64
    .name:           _ZL26flash_attn_combine_resultsILi64EEvPKfPK15HIP_vector_typeIfLj2EEPfi
    .private_segment_fixed_size: 0
    .sgpr_count:     32
    .sgpr_spill_count: 0
    .symbol:         _ZL26flash_attn_combine_resultsILi64EEvPKfPK15HIP_vector_typeIfLj2EEPfi.kd
    .uniform_work_group_size: 1
    .uses_dynamic_stack: false
    .vgpr_count:     59
    .vgpr_spill_count: 0
    .wavefront_size: 64
  - .agpr_count:     0
    .args:
      - .address_space:  global
        .offset:         0
        .size:           8
        .value_kind:     global_buffer
      - .address_space:  global
        .offset:         8
        .size:           8
        .value_kind:     global_buffer
      - .address_space:  global
        .offset:         16
        .size:           8
        .value_kind:     global_buffer
      - .address_space:  global
        .offset:         24
        .size:           8
        .value_kind:     global_buffer
      - .address_space:  global
        .offset:         32
        .size:           8
        .value_kind:     global_buffer
      - .address_space:  global
        .offset:         40
        .size:           8
        .value_kind:     global_buffer
      - .address_space:  global
        .offset:         48
        .size:           8
        .value_kind:     global_buffer
      - .address_space:  global
        .offset:         56
        .size:           8
        .value_kind:     global_buffer
      - .offset:         64
        .size:           4
        .value_kind:     by_value
      - .offset:         68
        .size:           4
        .value_kind:     by_value
      - .offset:         72
        .size:           4
        .value_kind:     by_value
      - .offset:         76
        .size:           4
        .value_kind:     by_value
      - .offset:         80
        .size:           4
        .value_kind:     by_value
      - .offset:         84
        .size:           4
        .value_kind:     by_value
      - .offset:         88
        .size:           4
        .value_kind:     by_value
      - .offset:         92
        .size:           12
        .value_kind:     by_value
      - .offset:         104
        .size:           4
        .value_kind:     by_value
      - .offset:         108
        .size:           4
        .value_kind:     by_value
      - .offset:         112
        .size:           4
        .value_kind:     by_value
      - .offset:         116
        .size:           4
        .value_kind:     by_value
      - .offset:         120
        .size:           4
        .value_kind:     by_value
      - .offset:         124
        .size:           4
        .value_kind:     by_value
      - .offset:         128
        .size:           4
        .value_kind:     by_value
      - .offset:         132
        .size:           4
        .value_kind:     by_value
      - .offset:         136
        .size:           4
        .value_kind:     by_value
      - .offset:         140
        .size:           4
        .value_kind:     by_value
      - .offset:         144
        .size:           4
        .value_kind:     by_value
      - .offset:         152
        .size:           8
        .value_kind:     by_value
      - .offset:         160
        .size:           4
        .value_kind:     by_value
      - .offset:         164
        .size:           4
        .value_kind:     by_value
      - .offset:         168
        .size:           8
        .value_kind:     by_value
      - .offset:         176
        .size:           4
        .value_kind:     by_value
      - .offset:         180
        .size:           4
        .value_kind:     by_value
      - .offset:         184
        .size:           4
        .value_kind:     by_value
      - .offset:         188
        .size:           4
        .value_kind:     by_value
      - .offset:         192
        .size:           4
        .value_kind:     by_value
      - .offset:         200
        .size:           8
        .value_kind:     by_value
      - .offset:         208
        .size:           4
        .value_kind:     hidden_block_count_x
      - .offset:         212
        .size:           4
        .value_kind:     hidden_block_count_y
      - .offset:         216
        .size:           4
        .value_kind:     hidden_block_count_z
      - .offset:         220
        .size:           2
        .value_kind:     hidden_group_size_x
      - .offset:         222
        .size:           2
        .value_kind:     hidden_group_size_y
      - .offset:         224
        .size:           2
        .value_kind:     hidden_group_size_z
      - .offset:         226
        .size:           2
        .value_kind:     hidden_remainder_x
      - .offset:         228
        .size:           2
        .value_kind:     hidden_remainder_y
      - .offset:         230
        .size:           2
        .value_kind:     hidden_remainder_z
      - .offset:         248
        .size:           8
        .value_kind:     hidden_global_offset_x
      - .offset:         256
        .size:           8
        .value_kind:     hidden_global_offset_y
      - .offset:         264
        .size:           8
        .value_kind:     hidden_global_offset_z
      - .offset:         272
        .size:           2
        .value_kind:     hidden_grid_dims
      - .offset:         328
        .size:           4
        .value_kind:     hidden_dynamic_lds_size
    .group_segment_fixed_size: 0
    .kernarg_segment_align: 8
    .kernarg_segment_size: 464
    .language:       OpenCL C
    .language_version:
      - 2
      - 0
    .max_flat_workgroup_size: 256
    .name:           _ZL18flash_attn_ext_f16ILi80ELi80ELi16ELi4ELb0ELb0EEvPKcS1_S1_S1_S1_PKiPfP15HIP_vector_typeIfLj2EEffffjfiS5_IjLj3EEiiiiiiiiiiiliiliiiiil
    .private_segment_fixed_size: 0
    .sgpr_count:     106
    .sgpr_spill_count: 40
    .symbol:         _ZL18flash_attn_ext_f16ILi80ELi80ELi16ELi4ELb0ELb0EEvPKcS1_S1_S1_S1_PKiPfP15HIP_vector_typeIfLj2EEffffjfiS5_IjLj3EEiiiiiiiiiiiliiliiiiil.kd
    .uniform_work_group_size: 1
    .uses_dynamic_stack: false
    .vgpr_count:     188
    .vgpr_spill_count: 0
    .wavefront_size: 64
  - .agpr_count:     0
    .args:
      - .address_space:  global
        .offset:         0
        .size:           8
        .value_kind:     global_buffer
      - .address_space:  global
        .offset:         8
        .size:           8
        .value_kind:     global_buffer
      - .address_space:  global
        .offset:         16
        .size:           8
        .value_kind:     global_buffer
      - .address_space:  global
        .offset:         24
        .size:           8
        .value_kind:     global_buffer
      - .address_space:  global
        .offset:         32
        .size:           8
        .value_kind:     global_buffer
      - .address_space:  global
        .offset:         40
        .size:           8
        .value_kind:     global_buffer
      - .address_space:  global
        .offset:         48
        .size:           8
        .value_kind:     global_buffer
      - .address_space:  global
        .offset:         56
        .size:           8
        .value_kind:     global_buffer
      - .offset:         64
        .size:           4
        .value_kind:     by_value
      - .offset:         68
        .size:           4
        .value_kind:     by_value
      - .offset:         72
        .size:           4
        .value_kind:     by_value
      - .offset:         76
        .size:           4
        .value_kind:     by_value
      - .offset:         80
        .size:           4
        .value_kind:     by_value
      - .offset:         84
        .size:           4
        .value_kind:     by_value
      - .offset:         88
        .size:           4
        .value_kind:     by_value
      - .offset:         92
        .size:           12
        .value_kind:     by_value
      - .offset:         104
        .size:           4
        .value_kind:     by_value
      - .offset:         108
        .size:           4
        .value_kind:     by_value
      - .offset:         112
        .size:           4
        .value_kind:     by_value
      - .offset:         116
        .size:           4
        .value_kind:     by_value
      - .offset:         120
        .size:           4
        .value_kind:     by_value
      - .offset:         124
        .size:           4
        .value_kind:     by_value
      - .offset:         128
        .size:           4
        .value_kind:     by_value
      - .offset:         132
        .size:           4
        .value_kind:     by_value
      - .offset:         136
        .size:           4
        .value_kind:     by_value
      - .offset:         140
        .size:           4
        .value_kind:     by_value
      - .offset:         144
        .size:           4
        .value_kind:     by_value
      - .offset:         152
        .size:           8
        .value_kind:     by_value
      - .offset:         160
        .size:           4
        .value_kind:     by_value
      - .offset:         164
        .size:           4
        .value_kind:     by_value
      - .offset:         168
        .size:           8
        .value_kind:     by_value
      - .offset:         176
        .size:           4
        .value_kind:     by_value
      - .offset:         180
        .size:           4
        .value_kind:     by_value
      - .offset:         184
        .size:           4
        .value_kind:     by_value
      - .offset:         188
        .size:           4
        .value_kind:     by_value
      - .offset:         192
        .size:           4
        .value_kind:     by_value
      - .offset:         200
        .size:           8
        .value_kind:     by_value
      - .offset:         208
        .size:           4
        .value_kind:     hidden_block_count_x
      - .offset:         212
        .size:           4
        .value_kind:     hidden_block_count_y
      - .offset:         216
        .size:           4
        .value_kind:     hidden_block_count_z
      - .offset:         220
        .size:           2
        .value_kind:     hidden_group_size_x
      - .offset:         222
        .size:           2
        .value_kind:     hidden_group_size_y
      - .offset:         224
        .size:           2
        .value_kind:     hidden_group_size_z
      - .offset:         226
        .size:           2
        .value_kind:     hidden_remainder_x
      - .offset:         228
        .size:           2
        .value_kind:     hidden_remainder_y
      - .offset:         230
        .size:           2
        .value_kind:     hidden_remainder_z
      - .offset:         248
        .size:           8
        .value_kind:     hidden_global_offset_x
      - .offset:         256
        .size:           8
        .value_kind:     hidden_global_offset_y
      - .offset:         264
        .size:           8
        .value_kind:     hidden_global_offset_z
      - .offset:         272
        .size:           2
        .value_kind:     hidden_grid_dims
      - .offset:         288
        .size:           8
        .value_kind:     hidden_hostcall_buffer
    .group_segment_fixed_size: 0
    .kernarg_segment_align: 8
    .kernarg_segment_size: 464
    .language:       OpenCL C
    .language_version:
      - 2
      - 0
    .max_flat_workgroup_size: 256
    .name:           _ZL18flash_attn_ext_f16ILi80ELi80ELi16ELi4ELb1ELb0EEvPKcS1_S1_S1_S1_PKiPfP15HIP_vector_typeIfLj2EEffffjfiS5_IjLj3EEiiiiiiiiiiiliiliiiiil
    .private_segment_fixed_size: 16
    .sgpr_count:     40
    .sgpr_spill_count: 0
    .symbol:         _ZL18flash_attn_ext_f16ILi80ELi80ELi16ELi4ELb1ELb0EEvPKcS1_S1_S1_S1_PKiPfP15HIP_vector_typeIfLj2EEffffjfiS5_IjLj3EEiiiiiiiiiiiliiliiiiil.kd
    .uniform_work_group_size: 1
    .uses_dynamic_stack: false
    .vgpr_count:     52
    .vgpr_spill_count: 0
    .wavefront_size: 64
  - .agpr_count:     0
    .args:
      - .address_space:  global
        .offset:         0
        .size:           8
        .value_kind:     global_buffer
      - .address_space:  global
        .offset:         8
        .size:           8
        .value_kind:     global_buffer
      - .offset:         16
        .size:           4
        .value_kind:     by_value
      - .offset:         20
        .size:           4
        .value_kind:     by_value
      - .offset:         24
        .size:           4
        .value_kind:     by_value
      - .offset:         28
        .size:           4
        .value_kind:     by_value
      - .offset:         32
        .size:           4
        .value_kind:     by_value
      - .offset:         36
        .size:           4
        .value_kind:     by_value
      - .offset:         40
        .size:           12
        .value_kind:     by_value
      - .offset:         52
        .size:           12
        .value_kind:     by_value
      - .offset:         64
        .size:           12
        .value_kind:     by_value
    .group_segment_fixed_size: 0
    .kernarg_segment_align: 8
    .kernarg_segment_size: 76
    .language:       OpenCL C
    .language_version:
      - 2
      - 0
    .max_flat_workgroup_size: 80
    .name:           _ZL33flash_attn_stream_k_fixup_uniformILi80ELi16ELi4EEvPfPK15HIP_vector_typeIfLj2EEiiiiiiS1_IjLj3EES5_S5_
    .private_segment_fixed_size: 0
    .sgpr_count:     26
    .sgpr_spill_count: 0
    .symbol:         _ZL33flash_attn_stream_k_fixup_uniformILi80ELi16ELi4EEvPfPK15HIP_vector_typeIfLj2EEiiiiiiS1_IjLj3EES5_S5_.kd
    .uniform_work_group_size: 1
    .uses_dynamic_stack: false
    .vgpr_count:     17
    .vgpr_spill_count: 0
    .wavefront_size: 64
  - .agpr_count:     0
    .args:
      - .address_space:  global
        .offset:         0
        .size:           8
        .value_kind:     global_buffer
      - .address_space:  global
        .offset:         8
        .size:           8
        .value_kind:     global_buffer
      - .offset:         16
        .size:           4
        .value_kind:     by_value
      - .offset:         20
        .size:           4
        .value_kind:     by_value
      - .offset:         24
        .size:           4
        .value_kind:     by_value
      - .offset:         28
        .size:           4
        .value_kind:     by_value
      - .offset:         32
        .size:           12
        .value_kind:     by_value
      - .offset:         44
        .size:           12
        .value_kind:     by_value
      - .offset:         56
        .size:           12
        .value_kind:     by_value
      - .offset:         68
        .size:           12
        .value_kind:     by_value
      - .offset:         80
        .size:           4
        .value_kind:     hidden_block_count_x
      - .offset:         84
        .size:           4
        .value_kind:     hidden_block_count_y
      - .offset:         88
        .size:           4
        .value_kind:     hidden_block_count_z
      - .offset:         92
        .size:           2
        .value_kind:     hidden_group_size_x
      - .offset:         94
        .size:           2
        .value_kind:     hidden_group_size_y
      - .offset:         96
        .size:           2
        .value_kind:     hidden_group_size_z
      - .offset:         98
        .size:           2
        .value_kind:     hidden_remainder_x
      - .offset:         100
        .size:           2
        .value_kind:     hidden_remainder_y
      - .offset:         102
        .size:           2
        .value_kind:     hidden_remainder_z
      - .offset:         120
        .size:           8
        .value_kind:     hidden_global_offset_x
      - .offset:         128
        .size:           8
        .value_kind:     hidden_global_offset_y
      - .offset:         136
        .size:           8
        .value_kind:     hidden_global_offset_z
      - .offset:         144
        .size:           2
        .value_kind:     hidden_grid_dims
    .group_segment_fixed_size: 0
    .kernarg_segment_align: 8
    .kernarg_segment_size: 336
    .language:       OpenCL C
    .language_version:
      - 2
      - 0
    .max_flat_workgroup_size: 80
    .name:           _ZL33flash_attn_stream_k_fixup_generalILi80ELi16ELi4EEvPfPK15HIP_vector_typeIfLj2EEiiiiS1_IjLj3EES5_S5_S5_
    .private_segment_fixed_size: 0
    .sgpr_count:     42
    .sgpr_spill_count: 0
    .symbol:         _ZL33flash_attn_stream_k_fixup_generalILi80ELi16ELi4EEvPfPK15HIP_vector_typeIfLj2EEiiiiS1_IjLj3EES5_S5_S5_.kd
    .uniform_work_group_size: 1
    .uses_dynamic_stack: false
    .vgpr_count:     18
    .vgpr_spill_count: 0
    .wavefront_size: 64
  - .agpr_count:     0
    .args:
      - .address_space:  global
        .offset:         0
        .size:           8
        .value_kind:     global_buffer
      - .address_space:  global
        .offset:         8
        .size:           8
        .value_kind:     global_buffer
      - .address_space:  global
        .offset:         16
        .size:           8
        .value_kind:     global_buffer
      - .offset:         24
        .size:           4
        .value_kind:     by_value
      - .offset:         32
        .size:           4
        .value_kind:     hidden_block_count_x
      - .offset:         36
        .size:           4
        .value_kind:     hidden_block_count_y
      - .offset:         40
        .size:           4
        .value_kind:     hidden_block_count_z
      - .offset:         44
        .size:           2
        .value_kind:     hidden_group_size_x
      - .offset:         46
        .size:           2
        .value_kind:     hidden_group_size_y
      - .offset:         48
        .size:           2
        .value_kind:     hidden_group_size_z
      - .offset:         50
        .size:           2
        .value_kind:     hidden_remainder_x
      - .offset:         52
        .size:           2
        .value_kind:     hidden_remainder_y
      - .offset:         54
        .size:           2
        .value_kind:     hidden_remainder_z
      - .offset:         72
        .size:           8
        .value_kind:     hidden_global_offset_x
      - .offset:         80
        .size:           8
        .value_kind:     hidden_global_offset_y
      - .offset:         88
        .size:           8
        .value_kind:     hidden_global_offset_z
      - .offset:         96
        .size:           2
        .value_kind:     hidden_grid_dims
      - .offset:         152
        .size:           4
        .value_kind:     hidden_dynamic_lds_size
    .group_segment_fixed_size: 0
    .kernarg_segment_align: 8
    .kernarg_segment_size: 288
    .language:       OpenCL C
    .language_version:
      - 2
      - 0
    .max_flat_workgroup_size: 80
    .name:           _ZL26flash_attn_combine_resultsILi80EEvPKfPK15HIP_vector_typeIfLj2EEPfi
    .private_segment_fixed_size: 0
    .sgpr_count:     36
    .sgpr_spill_count: 0
    .symbol:         _ZL26flash_attn_combine_resultsILi80EEvPKfPK15HIP_vector_typeIfLj2EEPfi.kd
    .uniform_work_group_size: 1
    .uses_dynamic_stack: false
    .vgpr_count:     57
    .vgpr_spill_count: 0
    .wavefront_size: 64
  - .agpr_count:     0
    .args:
      - .address_space:  global
        .offset:         0
        .size:           8
        .value_kind:     global_buffer
      - .address_space:  global
        .offset:         8
        .size:           8
        .value_kind:     global_buffer
      - .address_space:  global
        .offset:         16
        .size:           8
        .value_kind:     global_buffer
      - .address_space:  global
        .offset:         24
        .size:           8
        .value_kind:     global_buffer
      - .address_space:  global
        .offset:         32
        .size:           8
        .value_kind:     global_buffer
      - .address_space:  global
        .offset:         40
        .size:           8
        .value_kind:     global_buffer
      - .address_space:  global
        .offset:         48
        .size:           8
        .value_kind:     global_buffer
      - .address_space:  global
        .offset:         56
        .size:           8
        .value_kind:     global_buffer
      - .offset:         64
        .size:           4
        .value_kind:     by_value
      - .offset:         68
        .size:           4
        .value_kind:     by_value
      - .offset:         72
        .size:           4
        .value_kind:     by_value
      - .offset:         76
        .size:           4
        .value_kind:     by_value
      - .offset:         80
        .size:           4
        .value_kind:     by_value
      - .offset:         84
        .size:           4
        .value_kind:     by_value
      - .offset:         88
        .size:           4
        .value_kind:     by_value
      - .offset:         92
        .size:           12
        .value_kind:     by_value
      - .offset:         104
        .size:           4
        .value_kind:     by_value
      - .offset:         108
        .size:           4
        .value_kind:     by_value
      - .offset:         112
        .size:           4
        .value_kind:     by_value
      - .offset:         116
        .size:           4
        .value_kind:     by_value
      - .offset:         120
        .size:           4
        .value_kind:     by_value
      - .offset:         124
        .size:           4
        .value_kind:     by_value
      - .offset:         128
        .size:           4
        .value_kind:     by_value
      - .offset:         132
        .size:           4
        .value_kind:     by_value
      - .offset:         136
        .size:           4
        .value_kind:     by_value
      - .offset:         140
        .size:           4
        .value_kind:     by_value
      - .offset:         144
        .size:           4
        .value_kind:     by_value
      - .offset:         152
        .size:           8
        .value_kind:     by_value
      - .offset:         160
        .size:           4
        .value_kind:     by_value
      - .offset:         164
        .size:           4
        .value_kind:     by_value
      - .offset:         168
        .size:           8
        .value_kind:     by_value
      - .offset:         176
        .size:           4
        .value_kind:     by_value
      - .offset:         180
        .size:           4
        .value_kind:     by_value
      - .offset:         184
        .size:           4
        .value_kind:     by_value
      - .offset:         188
        .size:           4
        .value_kind:     by_value
      - .offset:         192
        .size:           4
        .value_kind:     by_value
      - .offset:         200
        .size:           8
        .value_kind:     by_value
      - .offset:         208
        .size:           4
        .value_kind:     hidden_block_count_x
      - .offset:         212
        .size:           4
        .value_kind:     hidden_block_count_y
      - .offset:         216
        .size:           4
        .value_kind:     hidden_block_count_z
      - .offset:         220
        .size:           2
        .value_kind:     hidden_group_size_x
      - .offset:         222
        .size:           2
        .value_kind:     hidden_group_size_y
      - .offset:         224
        .size:           2
        .value_kind:     hidden_group_size_z
      - .offset:         226
        .size:           2
        .value_kind:     hidden_remainder_x
      - .offset:         228
        .size:           2
        .value_kind:     hidden_remainder_y
      - .offset:         230
        .size:           2
        .value_kind:     hidden_remainder_z
      - .offset:         248
        .size:           8
        .value_kind:     hidden_global_offset_x
      - .offset:         256
        .size:           8
        .value_kind:     hidden_global_offset_y
      - .offset:         264
        .size:           8
        .value_kind:     hidden_global_offset_z
      - .offset:         272
        .size:           2
        .value_kind:     hidden_grid_dims
      - .offset:         328
        .size:           4
        .value_kind:     hidden_dynamic_lds_size
    .group_segment_fixed_size: 0
    .kernarg_segment_align: 8
    .kernarg_segment_size: 464
    .language:       OpenCL C
    .language_version:
      - 2
      - 0
    .max_flat_workgroup_size: 256
    .name:           _ZL18flash_attn_ext_f16ILi96ELi96ELi16ELi4ELb0ELb0EEvPKcS1_S1_S1_S1_PKiPfP15HIP_vector_typeIfLj2EEffffjfiS5_IjLj3EEiiiiiiiiiiiliiliiiiil
    .private_segment_fixed_size: 0
    .sgpr_count:     106
    .sgpr_spill_count: 16
    .symbol:         _ZL18flash_attn_ext_f16ILi96ELi96ELi16ELi4ELb0ELb0EEvPKcS1_S1_S1_S1_PKiPfP15HIP_vector_typeIfLj2EEffffjfiS5_IjLj3EEiiiiiiiiiiiliiliiiiil.kd
    .uniform_work_group_size: 1
    .uses_dynamic_stack: false
    .vgpr_count:     233
    .vgpr_spill_count: 0
    .wavefront_size: 64
  - .agpr_count:     0
    .args:
      - .address_space:  global
        .offset:         0
        .size:           8
        .value_kind:     global_buffer
      - .address_space:  global
        .offset:         8
        .size:           8
        .value_kind:     global_buffer
      - .address_space:  global
        .offset:         16
        .size:           8
        .value_kind:     global_buffer
      - .address_space:  global
        .offset:         24
        .size:           8
        .value_kind:     global_buffer
      - .address_space:  global
        .offset:         32
        .size:           8
        .value_kind:     global_buffer
      - .address_space:  global
        .offset:         40
        .size:           8
        .value_kind:     global_buffer
      - .address_space:  global
        .offset:         48
        .size:           8
        .value_kind:     global_buffer
      - .address_space:  global
        .offset:         56
        .size:           8
        .value_kind:     global_buffer
      - .offset:         64
        .size:           4
        .value_kind:     by_value
      - .offset:         68
        .size:           4
        .value_kind:     by_value
      - .offset:         72
        .size:           4
        .value_kind:     by_value
      - .offset:         76
        .size:           4
        .value_kind:     by_value
      - .offset:         80
        .size:           4
        .value_kind:     by_value
      - .offset:         84
        .size:           4
        .value_kind:     by_value
      - .offset:         88
        .size:           4
        .value_kind:     by_value
      - .offset:         92
        .size:           12
        .value_kind:     by_value
      - .offset:         104
        .size:           4
        .value_kind:     by_value
      - .offset:         108
        .size:           4
        .value_kind:     by_value
      - .offset:         112
        .size:           4
        .value_kind:     by_value
      - .offset:         116
        .size:           4
        .value_kind:     by_value
      - .offset:         120
        .size:           4
        .value_kind:     by_value
      - .offset:         124
        .size:           4
        .value_kind:     by_value
      - .offset:         128
        .size:           4
        .value_kind:     by_value
      - .offset:         132
        .size:           4
        .value_kind:     by_value
      - .offset:         136
        .size:           4
        .value_kind:     by_value
      - .offset:         140
        .size:           4
        .value_kind:     by_value
      - .offset:         144
        .size:           4
        .value_kind:     by_value
      - .offset:         152
        .size:           8
        .value_kind:     by_value
      - .offset:         160
        .size:           4
        .value_kind:     by_value
      - .offset:         164
        .size:           4
        .value_kind:     by_value
      - .offset:         168
        .size:           8
        .value_kind:     by_value
      - .offset:         176
        .size:           4
        .value_kind:     by_value
      - .offset:         180
        .size:           4
        .value_kind:     by_value
      - .offset:         184
        .size:           4
        .value_kind:     by_value
      - .offset:         188
        .size:           4
        .value_kind:     by_value
      - .offset:         192
        .size:           4
        .value_kind:     by_value
      - .offset:         200
        .size:           8
        .value_kind:     by_value
      - .offset:         208
        .size:           4
        .value_kind:     hidden_block_count_x
      - .offset:         212
        .size:           4
        .value_kind:     hidden_block_count_y
      - .offset:         216
        .size:           4
        .value_kind:     hidden_block_count_z
      - .offset:         220
        .size:           2
        .value_kind:     hidden_group_size_x
      - .offset:         222
        .size:           2
        .value_kind:     hidden_group_size_y
      - .offset:         224
        .size:           2
        .value_kind:     hidden_group_size_z
      - .offset:         226
        .size:           2
        .value_kind:     hidden_remainder_x
      - .offset:         228
        .size:           2
        .value_kind:     hidden_remainder_y
      - .offset:         230
        .size:           2
        .value_kind:     hidden_remainder_z
      - .offset:         248
        .size:           8
        .value_kind:     hidden_global_offset_x
      - .offset:         256
        .size:           8
        .value_kind:     hidden_global_offset_y
      - .offset:         264
        .size:           8
        .value_kind:     hidden_global_offset_z
      - .offset:         272
        .size:           2
        .value_kind:     hidden_grid_dims
      - .offset:         288
        .size:           8
        .value_kind:     hidden_hostcall_buffer
    .group_segment_fixed_size: 0
    .kernarg_segment_align: 8
    .kernarg_segment_size: 464
    .language:       OpenCL C
    .language_version:
      - 2
      - 0
    .max_flat_workgroup_size: 256
    .name:           _ZL18flash_attn_ext_f16ILi96ELi96ELi16ELi4ELb1ELb0EEvPKcS1_S1_S1_S1_PKiPfP15HIP_vector_typeIfLj2EEffffjfiS5_IjLj3EEiiiiiiiiiiiliiliiiiil
    .private_segment_fixed_size: 16
    .sgpr_count:     40
    .sgpr_spill_count: 0
    .symbol:         _ZL18flash_attn_ext_f16ILi96ELi96ELi16ELi4ELb1ELb0EEvPKcS1_S1_S1_S1_PKiPfP15HIP_vector_typeIfLj2EEffffjfiS5_IjLj3EEiiiiiiiiiiiliiliiiiil.kd
    .uniform_work_group_size: 1
    .uses_dynamic_stack: false
    .vgpr_count:     52
    .vgpr_spill_count: 0
    .wavefront_size: 64
  - .agpr_count:     0
    .args:
      - .address_space:  global
        .offset:         0
        .size:           8
        .value_kind:     global_buffer
      - .address_space:  global
        .offset:         8
        .size:           8
        .value_kind:     global_buffer
      - .offset:         16
        .size:           4
        .value_kind:     by_value
      - .offset:         20
        .size:           4
        .value_kind:     by_value
      - .offset:         24
        .size:           4
        .value_kind:     by_value
      - .offset:         28
        .size:           4
        .value_kind:     by_value
      - .offset:         32
        .size:           4
        .value_kind:     by_value
      - .offset:         36
        .size:           4
        .value_kind:     by_value
      - .offset:         40
        .size:           12
        .value_kind:     by_value
      - .offset:         52
        .size:           12
        .value_kind:     by_value
      - .offset:         64
        .size:           12
        .value_kind:     by_value
    .group_segment_fixed_size: 0
    .kernarg_segment_align: 8
    .kernarg_segment_size: 76
    .language:       OpenCL C
    .language_version:
      - 2
      - 0
    .max_flat_workgroup_size: 96
    .name:           _ZL33flash_attn_stream_k_fixup_uniformILi96ELi16ELi4EEvPfPK15HIP_vector_typeIfLj2EEiiiiiiS1_IjLj3EES5_S5_
    .private_segment_fixed_size: 0
    .sgpr_count:     26
    .sgpr_spill_count: 0
    .symbol:         _ZL33flash_attn_stream_k_fixup_uniformILi96ELi16ELi4EEvPfPK15HIP_vector_typeIfLj2EEiiiiiiS1_IjLj3EES5_S5_.kd
    .uniform_work_group_size: 1
    .uses_dynamic_stack: false
    .vgpr_count:     17
    .vgpr_spill_count: 0
    .wavefront_size: 64
  - .agpr_count:     0
    .args:
      - .address_space:  global
        .offset:         0
        .size:           8
        .value_kind:     global_buffer
      - .address_space:  global
        .offset:         8
        .size:           8
        .value_kind:     global_buffer
      - .offset:         16
        .size:           4
        .value_kind:     by_value
      - .offset:         20
        .size:           4
        .value_kind:     by_value
      - .offset:         24
        .size:           4
        .value_kind:     by_value
      - .offset:         28
        .size:           4
        .value_kind:     by_value
      - .offset:         32
        .size:           12
        .value_kind:     by_value
      - .offset:         44
        .size:           12
        .value_kind:     by_value
      - .offset:         56
        .size:           12
        .value_kind:     by_value
      - .offset:         68
        .size:           12
        .value_kind:     by_value
      - .offset:         80
        .size:           4
        .value_kind:     hidden_block_count_x
      - .offset:         84
        .size:           4
        .value_kind:     hidden_block_count_y
      - .offset:         88
        .size:           4
        .value_kind:     hidden_block_count_z
      - .offset:         92
        .size:           2
        .value_kind:     hidden_group_size_x
      - .offset:         94
        .size:           2
        .value_kind:     hidden_group_size_y
      - .offset:         96
        .size:           2
        .value_kind:     hidden_group_size_z
      - .offset:         98
        .size:           2
        .value_kind:     hidden_remainder_x
      - .offset:         100
        .size:           2
        .value_kind:     hidden_remainder_y
      - .offset:         102
        .size:           2
        .value_kind:     hidden_remainder_z
      - .offset:         120
        .size:           8
        .value_kind:     hidden_global_offset_x
      - .offset:         128
        .size:           8
        .value_kind:     hidden_global_offset_y
      - .offset:         136
        .size:           8
        .value_kind:     hidden_global_offset_z
      - .offset:         144
        .size:           2
        .value_kind:     hidden_grid_dims
    .group_segment_fixed_size: 0
    .kernarg_segment_align: 8
    .kernarg_segment_size: 336
    .language:       OpenCL C
    .language_version:
      - 2
      - 0
    .max_flat_workgroup_size: 96
    .name:           _ZL33flash_attn_stream_k_fixup_generalILi96ELi16ELi4EEvPfPK15HIP_vector_typeIfLj2EEiiiiS1_IjLj3EES5_S5_S5_
    .private_segment_fixed_size: 0
    .sgpr_count:     42
    .sgpr_spill_count: 0
    .symbol:         _ZL33flash_attn_stream_k_fixup_generalILi96ELi16ELi4EEvPfPK15HIP_vector_typeIfLj2EEiiiiS1_IjLj3EES5_S5_S5_.kd
    .uniform_work_group_size: 1
    .uses_dynamic_stack: false
    .vgpr_count:     18
    .vgpr_spill_count: 0
    .wavefront_size: 64
  - .agpr_count:     0
    .args:
      - .address_space:  global
        .offset:         0
        .size:           8
        .value_kind:     global_buffer
      - .address_space:  global
        .offset:         8
        .size:           8
        .value_kind:     global_buffer
      - .address_space:  global
        .offset:         16
        .size:           8
        .value_kind:     global_buffer
      - .offset:         24
        .size:           4
        .value_kind:     by_value
      - .offset:         32
        .size:           4
        .value_kind:     hidden_block_count_x
      - .offset:         36
        .size:           4
        .value_kind:     hidden_block_count_y
      - .offset:         40
        .size:           4
        .value_kind:     hidden_block_count_z
      - .offset:         44
        .size:           2
        .value_kind:     hidden_group_size_x
      - .offset:         46
        .size:           2
        .value_kind:     hidden_group_size_y
      - .offset:         48
        .size:           2
        .value_kind:     hidden_group_size_z
      - .offset:         50
        .size:           2
        .value_kind:     hidden_remainder_x
      - .offset:         52
        .size:           2
        .value_kind:     hidden_remainder_y
      - .offset:         54
        .size:           2
        .value_kind:     hidden_remainder_z
      - .offset:         72
        .size:           8
        .value_kind:     hidden_global_offset_x
      - .offset:         80
        .size:           8
        .value_kind:     hidden_global_offset_y
      - .offset:         88
        .size:           8
        .value_kind:     hidden_global_offset_z
      - .offset:         96
        .size:           2
        .value_kind:     hidden_grid_dims
      - .offset:         152
        .size:           4
        .value_kind:     hidden_dynamic_lds_size
    .group_segment_fixed_size: 0
    .kernarg_segment_align: 8
    .kernarg_segment_size: 288
    .language:       OpenCL C
    .language_version:
      - 2
      - 0
    .max_flat_workgroup_size: 96
    .name:           _ZL26flash_attn_combine_resultsILi96EEvPKfPK15HIP_vector_typeIfLj2EEPfi
    .private_segment_fixed_size: 0
    .sgpr_count:     38
    .sgpr_spill_count: 0
    .symbol:         _ZL26flash_attn_combine_resultsILi96EEvPKfPK15HIP_vector_typeIfLj2EEPfi.kd
    .uniform_work_group_size: 1
    .uses_dynamic_stack: false
    .vgpr_count:     57
    .vgpr_spill_count: 0
    .wavefront_size: 64
  - .agpr_count:     0
    .args:
      - .address_space:  global
        .offset:         0
        .size:           8
        .value_kind:     global_buffer
      - .address_space:  global
        .offset:         8
        .size:           8
        .value_kind:     global_buffer
      - .address_space:  global
        .offset:         16
        .size:           8
        .value_kind:     global_buffer
      - .address_space:  global
        .offset:         24
        .size:           8
        .value_kind:     global_buffer
      - .address_space:  global
        .offset:         32
        .size:           8
        .value_kind:     global_buffer
      - .address_space:  global
        .offset:         40
        .size:           8
        .value_kind:     global_buffer
      - .address_space:  global
        .offset:         48
        .size:           8
        .value_kind:     global_buffer
      - .address_space:  global
        .offset:         56
        .size:           8
        .value_kind:     global_buffer
      - .offset:         64
        .size:           4
        .value_kind:     by_value
      - .offset:         68
        .size:           4
        .value_kind:     by_value
      - .offset:         72
        .size:           4
        .value_kind:     by_value
      - .offset:         76
        .size:           4
        .value_kind:     by_value
      - .offset:         80
        .size:           4
        .value_kind:     by_value
      - .offset:         84
        .size:           4
        .value_kind:     by_value
      - .offset:         88
        .size:           4
        .value_kind:     by_value
      - .offset:         92
        .size:           12
        .value_kind:     by_value
      - .offset:         104
        .size:           4
        .value_kind:     by_value
      - .offset:         108
        .size:           4
        .value_kind:     by_value
      - .offset:         112
        .size:           4
        .value_kind:     by_value
      - .offset:         116
        .size:           4
        .value_kind:     by_value
      - .offset:         120
        .size:           4
        .value_kind:     by_value
      - .offset:         124
        .size:           4
        .value_kind:     by_value
      - .offset:         128
        .size:           4
        .value_kind:     by_value
      - .offset:         132
        .size:           4
        .value_kind:     by_value
      - .offset:         136
        .size:           4
        .value_kind:     by_value
      - .offset:         140
        .size:           4
        .value_kind:     by_value
      - .offset:         144
        .size:           4
        .value_kind:     by_value
      - .offset:         152
        .size:           8
        .value_kind:     by_value
      - .offset:         160
        .size:           4
        .value_kind:     by_value
      - .offset:         164
        .size:           4
        .value_kind:     by_value
      - .offset:         168
        .size:           8
        .value_kind:     by_value
      - .offset:         176
        .size:           4
        .value_kind:     by_value
      - .offset:         180
        .size:           4
        .value_kind:     by_value
      - .offset:         184
        .size:           4
        .value_kind:     by_value
      - .offset:         188
        .size:           4
        .value_kind:     by_value
      - .offset:         192
        .size:           4
        .value_kind:     by_value
      - .offset:         200
        .size:           8
        .value_kind:     by_value
      - .offset:         208
        .size:           4
        .value_kind:     hidden_block_count_x
      - .offset:         212
        .size:           4
        .value_kind:     hidden_block_count_y
      - .offset:         216
        .size:           4
        .value_kind:     hidden_block_count_z
      - .offset:         220
        .size:           2
        .value_kind:     hidden_group_size_x
      - .offset:         222
        .size:           2
        .value_kind:     hidden_group_size_y
      - .offset:         224
        .size:           2
        .value_kind:     hidden_group_size_z
      - .offset:         226
        .size:           2
        .value_kind:     hidden_remainder_x
      - .offset:         228
        .size:           2
        .value_kind:     hidden_remainder_y
      - .offset:         230
        .size:           2
        .value_kind:     hidden_remainder_z
      - .offset:         248
        .size:           8
        .value_kind:     hidden_global_offset_x
      - .offset:         256
        .size:           8
        .value_kind:     hidden_global_offset_y
      - .offset:         264
        .size:           8
        .value_kind:     hidden_global_offset_z
      - .offset:         272
        .size:           2
        .value_kind:     hidden_grid_dims
      - .offset:         328
        .size:           4
        .value_kind:     hidden_dynamic_lds_size
    .group_segment_fixed_size: 0
    .kernarg_segment_align: 8
    .kernarg_segment_size: 464
    .language:       OpenCL C
    .language_version:
      - 2
      - 0
    .max_flat_workgroup_size: 256
    .name:           _ZL18flash_attn_ext_f16ILi112ELi112ELi16ELi4ELb0ELb0EEvPKcS1_S1_S1_S1_PKiPfP15HIP_vector_typeIfLj2EEffffjfiS5_IjLj3EEiiiiiiiiiiiliiliiiiil
    .private_segment_fixed_size: 0
    .sgpr_count:     106
    .sgpr_spill_count: 25
    .symbol:         _ZL18flash_attn_ext_f16ILi112ELi112ELi16ELi4ELb0ELb0EEvPKcS1_S1_S1_S1_PKiPfP15HIP_vector_typeIfLj2EEffffjfiS5_IjLj3EEiiiiiiiiiiiliiliiiiil.kd
    .uniform_work_group_size: 1
    .uses_dynamic_stack: false
    .vgpr_count:     251
    .vgpr_spill_count: 0
    .wavefront_size: 64
  - .agpr_count:     0
    .args:
      - .address_space:  global
        .offset:         0
        .size:           8
        .value_kind:     global_buffer
      - .address_space:  global
        .offset:         8
        .size:           8
        .value_kind:     global_buffer
      - .address_space:  global
        .offset:         16
        .size:           8
        .value_kind:     global_buffer
      - .address_space:  global
        .offset:         24
        .size:           8
        .value_kind:     global_buffer
      - .address_space:  global
        .offset:         32
        .size:           8
        .value_kind:     global_buffer
      - .address_space:  global
        .offset:         40
        .size:           8
        .value_kind:     global_buffer
      - .address_space:  global
        .offset:         48
        .size:           8
        .value_kind:     global_buffer
      - .address_space:  global
        .offset:         56
        .size:           8
        .value_kind:     global_buffer
      - .offset:         64
        .size:           4
        .value_kind:     by_value
      - .offset:         68
        .size:           4
        .value_kind:     by_value
      - .offset:         72
        .size:           4
        .value_kind:     by_value
      - .offset:         76
        .size:           4
        .value_kind:     by_value
      - .offset:         80
        .size:           4
        .value_kind:     by_value
      - .offset:         84
        .size:           4
        .value_kind:     by_value
      - .offset:         88
        .size:           4
        .value_kind:     by_value
      - .offset:         92
        .size:           12
        .value_kind:     by_value
      - .offset:         104
        .size:           4
        .value_kind:     by_value
      - .offset:         108
        .size:           4
        .value_kind:     by_value
      - .offset:         112
        .size:           4
        .value_kind:     by_value
      - .offset:         116
        .size:           4
        .value_kind:     by_value
      - .offset:         120
        .size:           4
        .value_kind:     by_value
      - .offset:         124
        .size:           4
        .value_kind:     by_value
      - .offset:         128
        .size:           4
        .value_kind:     by_value
      - .offset:         132
        .size:           4
        .value_kind:     by_value
      - .offset:         136
        .size:           4
        .value_kind:     by_value
      - .offset:         140
        .size:           4
        .value_kind:     by_value
      - .offset:         144
        .size:           4
        .value_kind:     by_value
      - .offset:         152
        .size:           8
        .value_kind:     by_value
      - .offset:         160
        .size:           4
        .value_kind:     by_value
      - .offset:         164
        .size:           4
        .value_kind:     by_value
      - .offset:         168
        .size:           8
        .value_kind:     by_value
      - .offset:         176
        .size:           4
        .value_kind:     by_value
      - .offset:         180
        .size:           4
        .value_kind:     by_value
      - .offset:         184
        .size:           4
        .value_kind:     by_value
      - .offset:         188
        .size:           4
        .value_kind:     by_value
      - .offset:         192
        .size:           4
        .value_kind:     by_value
      - .offset:         200
        .size:           8
        .value_kind:     by_value
      - .offset:         208
        .size:           4
        .value_kind:     hidden_block_count_x
      - .offset:         212
        .size:           4
        .value_kind:     hidden_block_count_y
      - .offset:         216
        .size:           4
        .value_kind:     hidden_block_count_z
      - .offset:         220
        .size:           2
        .value_kind:     hidden_group_size_x
      - .offset:         222
        .size:           2
        .value_kind:     hidden_group_size_y
      - .offset:         224
        .size:           2
        .value_kind:     hidden_group_size_z
      - .offset:         226
        .size:           2
        .value_kind:     hidden_remainder_x
      - .offset:         228
        .size:           2
        .value_kind:     hidden_remainder_y
      - .offset:         230
        .size:           2
        .value_kind:     hidden_remainder_z
      - .offset:         248
        .size:           8
        .value_kind:     hidden_global_offset_x
      - .offset:         256
        .size:           8
        .value_kind:     hidden_global_offset_y
      - .offset:         264
        .size:           8
        .value_kind:     hidden_global_offset_z
      - .offset:         272
        .size:           2
        .value_kind:     hidden_grid_dims
      - .offset:         288
        .size:           8
        .value_kind:     hidden_hostcall_buffer
    .group_segment_fixed_size: 0
    .kernarg_segment_align: 8
    .kernarg_segment_size: 464
    .language:       OpenCL C
    .language_version:
      - 2
      - 0
    .max_flat_workgroup_size: 256
    .name:           _ZL18flash_attn_ext_f16ILi112ELi112ELi16ELi4ELb1ELb0EEvPKcS1_S1_S1_S1_PKiPfP15HIP_vector_typeIfLj2EEffffjfiS5_IjLj3EEiiiiiiiiiiiliiliiiiil
    .private_segment_fixed_size: 16
    .sgpr_count:     40
    .sgpr_spill_count: 0
    .symbol:         _ZL18flash_attn_ext_f16ILi112ELi112ELi16ELi4ELb1ELb0EEvPKcS1_S1_S1_S1_PKiPfP15HIP_vector_typeIfLj2EEffffjfiS5_IjLj3EEiiiiiiiiiiiliiliiiiil.kd
    .uniform_work_group_size: 1
    .uses_dynamic_stack: false
    .vgpr_count:     52
    .vgpr_spill_count: 0
    .wavefront_size: 64
  - .agpr_count:     0
    .args:
      - .address_space:  global
        .offset:         0
        .size:           8
        .value_kind:     global_buffer
      - .address_space:  global
        .offset:         8
        .size:           8
        .value_kind:     global_buffer
      - .offset:         16
        .size:           4
        .value_kind:     by_value
      - .offset:         20
        .size:           4
        .value_kind:     by_value
      - .offset:         24
        .size:           4
        .value_kind:     by_value
      - .offset:         28
        .size:           4
        .value_kind:     by_value
      - .offset:         32
        .size:           4
        .value_kind:     by_value
      - .offset:         36
        .size:           4
        .value_kind:     by_value
      - .offset:         40
        .size:           12
        .value_kind:     by_value
      - .offset:         52
        .size:           12
        .value_kind:     by_value
      - .offset:         64
        .size:           12
        .value_kind:     by_value
    .group_segment_fixed_size: 0
    .kernarg_segment_align: 8
    .kernarg_segment_size: 76
    .language:       OpenCL C
    .language_version:
      - 2
      - 0
    .max_flat_workgroup_size: 112
    .name:           _ZL33flash_attn_stream_k_fixup_uniformILi112ELi16ELi4EEvPfPK15HIP_vector_typeIfLj2EEiiiiiiS1_IjLj3EES5_S5_
    .private_segment_fixed_size: 0
    .sgpr_count:     26
    .sgpr_spill_count: 0
    .symbol:         _ZL33flash_attn_stream_k_fixup_uniformILi112ELi16ELi4EEvPfPK15HIP_vector_typeIfLj2EEiiiiiiS1_IjLj3EES5_S5_.kd
    .uniform_work_group_size: 1
    .uses_dynamic_stack: false
    .vgpr_count:     17
    .vgpr_spill_count: 0
    .wavefront_size: 64
  - .agpr_count:     0
    .args:
      - .address_space:  global
        .offset:         0
        .size:           8
        .value_kind:     global_buffer
      - .address_space:  global
        .offset:         8
        .size:           8
        .value_kind:     global_buffer
      - .offset:         16
        .size:           4
        .value_kind:     by_value
      - .offset:         20
        .size:           4
        .value_kind:     by_value
      - .offset:         24
        .size:           4
        .value_kind:     by_value
      - .offset:         28
        .size:           4
        .value_kind:     by_value
      - .offset:         32
        .size:           12
        .value_kind:     by_value
      - .offset:         44
        .size:           12
        .value_kind:     by_value
      - .offset:         56
        .size:           12
        .value_kind:     by_value
      - .offset:         68
        .size:           12
        .value_kind:     by_value
      - .offset:         80
        .size:           4
        .value_kind:     hidden_block_count_x
      - .offset:         84
        .size:           4
        .value_kind:     hidden_block_count_y
      - .offset:         88
        .size:           4
        .value_kind:     hidden_block_count_z
      - .offset:         92
        .size:           2
        .value_kind:     hidden_group_size_x
      - .offset:         94
        .size:           2
        .value_kind:     hidden_group_size_y
      - .offset:         96
        .size:           2
        .value_kind:     hidden_group_size_z
      - .offset:         98
        .size:           2
        .value_kind:     hidden_remainder_x
      - .offset:         100
        .size:           2
        .value_kind:     hidden_remainder_y
      - .offset:         102
        .size:           2
        .value_kind:     hidden_remainder_z
      - .offset:         120
        .size:           8
        .value_kind:     hidden_global_offset_x
      - .offset:         128
        .size:           8
        .value_kind:     hidden_global_offset_y
      - .offset:         136
        .size:           8
        .value_kind:     hidden_global_offset_z
      - .offset:         144
        .size:           2
        .value_kind:     hidden_grid_dims
    .group_segment_fixed_size: 0
    .kernarg_segment_align: 8
    .kernarg_segment_size: 336
    .language:       OpenCL C
    .language_version:
      - 2
      - 0
    .max_flat_workgroup_size: 112
    .name:           _ZL33flash_attn_stream_k_fixup_generalILi112ELi16ELi4EEvPfPK15HIP_vector_typeIfLj2EEiiiiS1_IjLj3EES5_S5_S5_
    .private_segment_fixed_size: 0
    .sgpr_count:     42
    .sgpr_spill_count: 0
    .symbol:         _ZL33flash_attn_stream_k_fixup_generalILi112ELi16ELi4EEvPfPK15HIP_vector_typeIfLj2EEiiiiS1_IjLj3EES5_S5_S5_.kd
    .uniform_work_group_size: 1
    .uses_dynamic_stack: false
    .vgpr_count:     18
    .vgpr_spill_count: 0
    .wavefront_size: 64
  - .agpr_count:     0
    .args:
      - .address_space:  global
        .offset:         0
        .size:           8
        .value_kind:     global_buffer
      - .address_space:  global
        .offset:         8
        .size:           8
        .value_kind:     global_buffer
      - .address_space:  global
        .offset:         16
        .size:           8
        .value_kind:     global_buffer
      - .offset:         24
        .size:           4
        .value_kind:     by_value
      - .offset:         32
        .size:           4
        .value_kind:     hidden_block_count_x
      - .offset:         36
        .size:           4
        .value_kind:     hidden_block_count_y
      - .offset:         40
        .size:           4
        .value_kind:     hidden_block_count_z
      - .offset:         44
        .size:           2
        .value_kind:     hidden_group_size_x
      - .offset:         46
        .size:           2
        .value_kind:     hidden_group_size_y
      - .offset:         48
        .size:           2
        .value_kind:     hidden_group_size_z
      - .offset:         50
        .size:           2
        .value_kind:     hidden_remainder_x
      - .offset:         52
        .size:           2
        .value_kind:     hidden_remainder_y
      - .offset:         54
        .size:           2
        .value_kind:     hidden_remainder_z
      - .offset:         72
        .size:           8
        .value_kind:     hidden_global_offset_x
      - .offset:         80
        .size:           8
        .value_kind:     hidden_global_offset_y
      - .offset:         88
        .size:           8
        .value_kind:     hidden_global_offset_z
      - .offset:         96
        .size:           2
        .value_kind:     hidden_grid_dims
      - .offset:         152
        .size:           4
        .value_kind:     hidden_dynamic_lds_size
    .group_segment_fixed_size: 0
    .kernarg_segment_align: 8
    .kernarg_segment_size: 288
    .language:       OpenCL C
    .language_version:
      - 2
      - 0
    .max_flat_workgroup_size: 112
    .name:           _ZL26flash_attn_combine_resultsILi112EEvPKfPK15HIP_vector_typeIfLj2EEPfi
    .private_segment_fixed_size: 0
    .sgpr_count:     36
    .sgpr_spill_count: 0
    .symbol:         _ZL26flash_attn_combine_resultsILi112EEvPKfPK15HIP_vector_typeIfLj2EEPfi.kd
    .uniform_work_group_size: 1
    .uses_dynamic_stack: false
    .vgpr_count:     57
    .vgpr_spill_count: 0
    .wavefront_size: 64
  - .agpr_count:     0
    .args:
      - .address_space:  global
        .offset:         0
        .size:           8
        .value_kind:     global_buffer
      - .address_space:  global
        .offset:         8
        .size:           8
        .value_kind:     global_buffer
      - .address_space:  global
        .offset:         16
        .size:           8
        .value_kind:     global_buffer
      - .address_space:  global
        .offset:         24
        .size:           8
        .value_kind:     global_buffer
      - .address_space:  global
        .offset:         32
        .size:           8
        .value_kind:     global_buffer
      - .address_space:  global
        .offset:         40
        .size:           8
        .value_kind:     global_buffer
      - .address_space:  global
        .offset:         48
        .size:           8
        .value_kind:     global_buffer
      - .address_space:  global
        .offset:         56
        .size:           8
        .value_kind:     global_buffer
      - .offset:         64
        .size:           4
        .value_kind:     by_value
      - .offset:         68
        .size:           4
        .value_kind:     by_value
      - .offset:         72
        .size:           4
        .value_kind:     by_value
      - .offset:         76
        .size:           4
        .value_kind:     by_value
      - .offset:         80
        .size:           4
        .value_kind:     by_value
      - .offset:         84
        .size:           4
        .value_kind:     by_value
      - .offset:         88
        .size:           4
        .value_kind:     by_value
      - .offset:         92
        .size:           12
        .value_kind:     by_value
      - .offset:         104
        .size:           4
        .value_kind:     by_value
      - .offset:         108
        .size:           4
        .value_kind:     by_value
      - .offset:         112
        .size:           4
        .value_kind:     by_value
      - .offset:         116
        .size:           4
        .value_kind:     by_value
      - .offset:         120
        .size:           4
        .value_kind:     by_value
      - .offset:         124
        .size:           4
        .value_kind:     by_value
      - .offset:         128
        .size:           4
        .value_kind:     by_value
      - .offset:         132
        .size:           4
        .value_kind:     by_value
      - .offset:         136
        .size:           4
        .value_kind:     by_value
      - .offset:         140
        .size:           4
        .value_kind:     by_value
      - .offset:         144
        .size:           4
        .value_kind:     by_value
      - .offset:         152
        .size:           8
        .value_kind:     by_value
      - .offset:         160
        .size:           4
        .value_kind:     by_value
      - .offset:         164
        .size:           4
        .value_kind:     by_value
      - .offset:         168
        .size:           8
        .value_kind:     by_value
      - .offset:         176
        .size:           4
        .value_kind:     by_value
      - .offset:         180
        .size:           4
        .value_kind:     by_value
      - .offset:         184
        .size:           4
        .value_kind:     by_value
      - .offset:         188
        .size:           4
        .value_kind:     by_value
      - .offset:         192
        .size:           4
        .value_kind:     by_value
      - .offset:         200
        .size:           8
        .value_kind:     by_value
      - .offset:         208
        .size:           4
        .value_kind:     hidden_block_count_x
      - .offset:         212
        .size:           4
        .value_kind:     hidden_block_count_y
      - .offset:         216
        .size:           4
        .value_kind:     hidden_block_count_z
      - .offset:         220
        .size:           2
        .value_kind:     hidden_group_size_x
      - .offset:         222
        .size:           2
        .value_kind:     hidden_group_size_y
      - .offset:         224
        .size:           2
        .value_kind:     hidden_group_size_z
      - .offset:         226
        .size:           2
        .value_kind:     hidden_remainder_x
      - .offset:         228
        .size:           2
        .value_kind:     hidden_remainder_y
      - .offset:         230
        .size:           2
        .value_kind:     hidden_remainder_z
      - .offset:         248
        .size:           8
        .value_kind:     hidden_global_offset_x
      - .offset:         256
        .size:           8
        .value_kind:     hidden_global_offset_y
      - .offset:         264
        .size:           8
        .value_kind:     hidden_global_offset_z
      - .offset:         272
        .size:           2
        .value_kind:     hidden_grid_dims
      - .offset:         328
        .size:           4
        .value_kind:     hidden_dynamic_lds_size
    .group_segment_fixed_size: 0
    .kernarg_segment_align: 8
    .kernarg_segment_size: 464
    .language:       OpenCL C
    .language_version:
      - 2
      - 0
    .max_flat_workgroup_size: 256
    .name:           _ZL18flash_attn_ext_f16ILi128ELi128ELi16ELi4ELb0ELb0EEvPKcS1_S1_S1_S1_PKiPfP15HIP_vector_typeIfLj2EEffffjfiS5_IjLj3EEiiiiiiiiiiiliiliiiiil
    .private_segment_fixed_size: 44
    .sgpr_count:     106
    .sgpr_spill_count: 28
    .symbol:         _ZL18flash_attn_ext_f16ILi128ELi128ELi16ELi4ELb0ELb0EEvPKcS1_S1_S1_S1_PKiPfP15HIP_vector_typeIfLj2EEffffjfiS5_IjLj3EEiiiiiiiiiiiliiliiiiil.kd
    .uniform_work_group_size: 1
    .uses_dynamic_stack: false
    .vgpr_count:     256
    .vgpr_spill_count: 10
    .wavefront_size: 64
  - .agpr_count:     0
    .args:
      - .address_space:  global
        .offset:         0
        .size:           8
        .value_kind:     global_buffer
      - .address_space:  global
        .offset:         8
        .size:           8
        .value_kind:     global_buffer
      - .address_space:  global
        .offset:         16
        .size:           8
        .value_kind:     global_buffer
      - .address_space:  global
        .offset:         24
        .size:           8
        .value_kind:     global_buffer
      - .address_space:  global
        .offset:         32
        .size:           8
        .value_kind:     global_buffer
      - .address_space:  global
        .offset:         40
        .size:           8
        .value_kind:     global_buffer
      - .address_space:  global
        .offset:         48
        .size:           8
        .value_kind:     global_buffer
      - .address_space:  global
        .offset:         56
        .size:           8
        .value_kind:     global_buffer
      - .offset:         64
        .size:           4
        .value_kind:     by_value
      - .offset:         68
        .size:           4
        .value_kind:     by_value
      - .offset:         72
        .size:           4
        .value_kind:     by_value
      - .offset:         76
        .size:           4
        .value_kind:     by_value
      - .offset:         80
        .size:           4
        .value_kind:     by_value
      - .offset:         84
        .size:           4
        .value_kind:     by_value
      - .offset:         88
        .size:           4
        .value_kind:     by_value
      - .offset:         92
        .size:           12
        .value_kind:     by_value
      - .offset:         104
        .size:           4
        .value_kind:     by_value
      - .offset:         108
        .size:           4
        .value_kind:     by_value
      - .offset:         112
        .size:           4
        .value_kind:     by_value
      - .offset:         116
        .size:           4
        .value_kind:     by_value
      - .offset:         120
        .size:           4
        .value_kind:     by_value
      - .offset:         124
        .size:           4
        .value_kind:     by_value
      - .offset:         128
        .size:           4
        .value_kind:     by_value
      - .offset:         132
        .size:           4
        .value_kind:     by_value
      - .offset:         136
        .size:           4
        .value_kind:     by_value
      - .offset:         140
        .size:           4
        .value_kind:     by_value
      - .offset:         144
        .size:           4
        .value_kind:     by_value
      - .offset:         152
        .size:           8
        .value_kind:     by_value
      - .offset:         160
        .size:           4
        .value_kind:     by_value
      - .offset:         164
        .size:           4
        .value_kind:     by_value
      - .offset:         168
        .size:           8
        .value_kind:     by_value
      - .offset:         176
        .size:           4
        .value_kind:     by_value
      - .offset:         180
        .size:           4
        .value_kind:     by_value
      - .offset:         184
        .size:           4
        .value_kind:     by_value
      - .offset:         188
        .size:           4
        .value_kind:     by_value
      - .offset:         192
        .size:           4
        .value_kind:     by_value
      - .offset:         200
        .size:           8
        .value_kind:     by_value
      - .offset:         208
        .size:           4
        .value_kind:     hidden_block_count_x
      - .offset:         212
        .size:           4
        .value_kind:     hidden_block_count_y
      - .offset:         216
        .size:           4
        .value_kind:     hidden_block_count_z
      - .offset:         220
        .size:           2
        .value_kind:     hidden_group_size_x
      - .offset:         222
        .size:           2
        .value_kind:     hidden_group_size_y
      - .offset:         224
        .size:           2
        .value_kind:     hidden_group_size_z
      - .offset:         226
        .size:           2
        .value_kind:     hidden_remainder_x
      - .offset:         228
        .size:           2
        .value_kind:     hidden_remainder_y
      - .offset:         230
        .size:           2
        .value_kind:     hidden_remainder_z
      - .offset:         248
        .size:           8
        .value_kind:     hidden_global_offset_x
      - .offset:         256
        .size:           8
        .value_kind:     hidden_global_offset_y
      - .offset:         264
        .size:           8
        .value_kind:     hidden_global_offset_z
      - .offset:         272
        .size:           2
        .value_kind:     hidden_grid_dims
      - .offset:         328
        .size:           4
        .value_kind:     hidden_dynamic_lds_size
    .group_segment_fixed_size: 0
    .kernarg_segment_align: 8
    .kernarg_segment_size: 464
    .language:       OpenCL C
    .language_version:
      - 2
      - 0
    .max_flat_workgroup_size: 256
    .name:           _ZL18flash_attn_ext_f16ILi128ELi128ELi16ELi4ELb1ELb0EEvPKcS1_S1_S1_S1_PKiPfP15HIP_vector_typeIfLj2EEffffjfiS5_IjLj3EEiiiiiiiiiiiliiliiiiil
    .private_segment_fixed_size: 36
    .sgpr_count:     106
    .sgpr_spill_count: 30
    .symbol:         _ZL18flash_attn_ext_f16ILi128ELi128ELi16ELi4ELb1ELb0EEvPKcS1_S1_S1_S1_PKiPfP15HIP_vector_typeIfLj2EEffffjfiS5_IjLj3EEiiiiiiiiiiiliiliiiiil.kd
    .uniform_work_group_size: 1
    .uses_dynamic_stack: false
    .vgpr_count:     256
    .vgpr_spill_count: 8
    .wavefront_size: 64
  - .agpr_count:     0
    .args:
      - .address_space:  global
        .offset:         0
        .size:           8
        .value_kind:     global_buffer
      - .address_space:  global
        .offset:         8
        .size:           8
        .value_kind:     global_buffer
      - .offset:         16
        .size:           4
        .value_kind:     by_value
      - .offset:         20
        .size:           4
        .value_kind:     by_value
      - .offset:         24
        .size:           4
        .value_kind:     by_value
      - .offset:         28
        .size:           4
        .value_kind:     by_value
      - .offset:         32
        .size:           4
        .value_kind:     by_value
      - .offset:         36
        .size:           4
        .value_kind:     by_value
      - .offset:         40
        .size:           12
        .value_kind:     by_value
      - .offset:         52
        .size:           12
        .value_kind:     by_value
      - .offset:         64
        .size:           12
        .value_kind:     by_value
    .group_segment_fixed_size: 0
    .kernarg_segment_align: 8
    .kernarg_segment_size: 76
    .language:       OpenCL C
    .language_version:
      - 2
      - 0
    .max_flat_workgroup_size: 128
    .name:           _ZL33flash_attn_stream_k_fixup_uniformILi128ELi16ELi4EEvPfPK15HIP_vector_typeIfLj2EEiiiiiiS1_IjLj3EES5_S5_
    .private_segment_fixed_size: 0
    .sgpr_count:     30
    .sgpr_spill_count: 0
    .symbol:         _ZL33flash_attn_stream_k_fixup_uniformILi128ELi16ELi4EEvPfPK15HIP_vector_typeIfLj2EEiiiiiiS1_IjLj3EES5_S5_.kd
    .uniform_work_group_size: 1
    .uses_dynamic_stack: false
    .vgpr_count:     17
    .vgpr_spill_count: 0
    .wavefront_size: 64
  - .agpr_count:     0
    .args:
      - .address_space:  global
        .offset:         0
        .size:           8
        .value_kind:     global_buffer
      - .address_space:  global
        .offset:         8
        .size:           8
        .value_kind:     global_buffer
      - .offset:         16
        .size:           4
        .value_kind:     by_value
      - .offset:         20
        .size:           4
        .value_kind:     by_value
      - .offset:         24
        .size:           4
        .value_kind:     by_value
      - .offset:         28
        .size:           4
        .value_kind:     by_value
      - .offset:         32
        .size:           12
        .value_kind:     by_value
      - .offset:         44
        .size:           12
        .value_kind:     by_value
      - .offset:         56
        .size:           12
        .value_kind:     by_value
      - .offset:         68
        .size:           12
        .value_kind:     by_value
      - .offset:         80
        .size:           4
        .value_kind:     hidden_block_count_x
      - .offset:         84
        .size:           4
        .value_kind:     hidden_block_count_y
      - .offset:         88
        .size:           4
        .value_kind:     hidden_block_count_z
      - .offset:         92
        .size:           2
        .value_kind:     hidden_group_size_x
      - .offset:         94
        .size:           2
        .value_kind:     hidden_group_size_y
      - .offset:         96
        .size:           2
        .value_kind:     hidden_group_size_z
      - .offset:         98
        .size:           2
        .value_kind:     hidden_remainder_x
      - .offset:         100
        .size:           2
        .value_kind:     hidden_remainder_y
      - .offset:         102
        .size:           2
        .value_kind:     hidden_remainder_z
      - .offset:         120
        .size:           8
        .value_kind:     hidden_global_offset_x
      - .offset:         128
        .size:           8
        .value_kind:     hidden_global_offset_y
      - .offset:         136
        .size:           8
        .value_kind:     hidden_global_offset_z
      - .offset:         144
        .size:           2
        .value_kind:     hidden_grid_dims
    .group_segment_fixed_size: 0
    .kernarg_segment_align: 8
    .kernarg_segment_size: 336
    .language:       OpenCL C
    .language_version:
      - 2
      - 0
    .max_flat_workgroup_size: 128
    .name:           _ZL33flash_attn_stream_k_fixup_generalILi128ELi16ELi4EEvPfPK15HIP_vector_typeIfLj2EEiiiiS1_IjLj3EES5_S5_S5_
    .private_segment_fixed_size: 0
    .sgpr_count:     42
    .sgpr_spill_count: 0
    .symbol:         _ZL33flash_attn_stream_k_fixup_generalILi128ELi16ELi4EEvPfPK15HIP_vector_typeIfLj2EEiiiiS1_IjLj3EES5_S5_S5_.kd
    .uniform_work_group_size: 1
    .uses_dynamic_stack: false
    .vgpr_count:     18
    .vgpr_spill_count: 0
    .wavefront_size: 64
  - .agpr_count:     0
    .args:
      - .address_space:  global
        .offset:         0
        .size:           8
        .value_kind:     global_buffer
      - .address_space:  global
        .offset:         8
        .size:           8
        .value_kind:     global_buffer
      - .address_space:  global
        .offset:         16
        .size:           8
        .value_kind:     global_buffer
      - .offset:         24
        .size:           4
        .value_kind:     by_value
      - .offset:         32
        .size:           4
        .value_kind:     hidden_block_count_x
      - .offset:         36
        .size:           4
        .value_kind:     hidden_block_count_y
      - .offset:         40
        .size:           4
        .value_kind:     hidden_block_count_z
      - .offset:         44
        .size:           2
        .value_kind:     hidden_group_size_x
      - .offset:         46
        .size:           2
        .value_kind:     hidden_group_size_y
      - .offset:         48
        .size:           2
        .value_kind:     hidden_group_size_z
      - .offset:         50
        .size:           2
        .value_kind:     hidden_remainder_x
      - .offset:         52
        .size:           2
        .value_kind:     hidden_remainder_y
      - .offset:         54
        .size:           2
        .value_kind:     hidden_remainder_z
      - .offset:         72
        .size:           8
        .value_kind:     hidden_global_offset_x
      - .offset:         80
        .size:           8
        .value_kind:     hidden_global_offset_y
      - .offset:         88
        .size:           8
        .value_kind:     hidden_global_offset_z
      - .offset:         96
        .size:           2
        .value_kind:     hidden_grid_dims
      - .offset:         152
        .size:           4
        .value_kind:     hidden_dynamic_lds_size
    .group_segment_fixed_size: 0
    .kernarg_segment_align: 8
    .kernarg_segment_size: 288
    .language:       OpenCL C
    .language_version:
      - 2
      - 0
    .max_flat_workgroup_size: 128
    .name:           _ZL26flash_attn_combine_resultsILi128EEvPKfPK15HIP_vector_typeIfLj2EEPfi
    .private_segment_fixed_size: 0
    .sgpr_count:     32
    .sgpr_spill_count: 0
    .symbol:         _ZL26flash_attn_combine_resultsILi128EEvPKfPK15HIP_vector_typeIfLj2EEPfi.kd
    .uniform_work_group_size: 1
    .uses_dynamic_stack: false
    .vgpr_count:     59
    .vgpr_spill_count: 0
    .wavefront_size: 64
  - .agpr_count:     0
    .args:
      - .address_space:  global
        .offset:         0
        .size:           8
        .value_kind:     global_buffer
      - .address_space:  global
        .offset:         8
        .size:           8
        .value_kind:     global_buffer
      - .address_space:  global
        .offset:         16
        .size:           8
        .value_kind:     global_buffer
      - .address_space:  global
        .offset:         24
        .size:           8
        .value_kind:     global_buffer
      - .address_space:  global
        .offset:         32
        .size:           8
        .value_kind:     global_buffer
      - .address_space:  global
        .offset:         40
        .size:           8
        .value_kind:     global_buffer
      - .address_space:  global
        .offset:         48
        .size:           8
        .value_kind:     global_buffer
      - .address_space:  global
        .offset:         56
        .size:           8
        .value_kind:     global_buffer
      - .offset:         64
        .size:           4
        .value_kind:     by_value
      - .offset:         68
        .size:           4
        .value_kind:     by_value
      - .offset:         72
        .size:           4
        .value_kind:     by_value
      - .offset:         76
        .size:           4
        .value_kind:     by_value
      - .offset:         80
        .size:           4
        .value_kind:     by_value
      - .offset:         84
        .size:           4
        .value_kind:     by_value
      - .offset:         88
        .size:           4
        .value_kind:     by_value
      - .offset:         92
        .size:           12
        .value_kind:     by_value
      - .offset:         104
        .size:           4
        .value_kind:     by_value
      - .offset:         108
        .size:           4
        .value_kind:     by_value
      - .offset:         112
        .size:           4
        .value_kind:     by_value
      - .offset:         116
        .size:           4
        .value_kind:     by_value
      - .offset:         120
        .size:           4
        .value_kind:     by_value
      - .offset:         124
        .size:           4
        .value_kind:     by_value
      - .offset:         128
        .size:           4
        .value_kind:     by_value
      - .offset:         132
        .size:           4
        .value_kind:     by_value
      - .offset:         136
        .size:           4
        .value_kind:     by_value
      - .offset:         140
        .size:           4
        .value_kind:     by_value
      - .offset:         144
        .size:           4
        .value_kind:     by_value
      - .offset:         152
        .size:           8
        .value_kind:     by_value
      - .offset:         160
        .size:           4
        .value_kind:     by_value
      - .offset:         164
        .size:           4
        .value_kind:     by_value
      - .offset:         168
        .size:           8
        .value_kind:     by_value
      - .offset:         176
        .size:           4
        .value_kind:     by_value
      - .offset:         180
        .size:           4
        .value_kind:     by_value
      - .offset:         184
        .size:           4
        .value_kind:     by_value
      - .offset:         188
        .size:           4
        .value_kind:     by_value
      - .offset:         192
        .size:           4
        .value_kind:     by_value
      - .offset:         200
        .size:           8
        .value_kind:     by_value
      - .offset:         208
        .size:           4
        .value_kind:     hidden_block_count_x
      - .offset:         212
        .size:           4
        .value_kind:     hidden_block_count_y
      - .offset:         216
        .size:           4
        .value_kind:     hidden_block_count_z
      - .offset:         220
        .size:           2
        .value_kind:     hidden_group_size_x
      - .offset:         222
        .size:           2
        .value_kind:     hidden_group_size_y
      - .offset:         224
        .size:           2
        .value_kind:     hidden_group_size_z
      - .offset:         226
        .size:           2
        .value_kind:     hidden_remainder_x
      - .offset:         228
        .size:           2
        .value_kind:     hidden_remainder_y
      - .offset:         230
        .size:           2
        .value_kind:     hidden_remainder_z
      - .offset:         248
        .size:           8
        .value_kind:     hidden_global_offset_x
      - .offset:         256
        .size:           8
        .value_kind:     hidden_global_offset_y
      - .offset:         264
        .size:           8
        .value_kind:     hidden_global_offset_z
      - .offset:         272
        .size:           2
        .value_kind:     hidden_grid_dims
      - .offset:         328
        .size:           4
        .value_kind:     hidden_dynamic_lds_size
    .group_segment_fixed_size: 0
    .kernarg_segment_align: 8
    .kernarg_segment_size: 464
    .language:       OpenCL C
    .language_version:
      - 2
      - 0
    .max_flat_workgroup_size: 512
    .name:           _ZL18flash_attn_ext_f16ILi256ELi256ELi16ELi4ELb0ELb0EEvPKcS1_S1_S1_S1_PKiPfP15HIP_vector_typeIfLj2EEffffjfiS5_IjLj3EEiiiiiiiiiiiliiliiiiil
    .private_segment_fixed_size: 100
    .sgpr_count:     105
    .sgpr_spill_count: 0
    .symbol:         _ZL18flash_attn_ext_f16ILi256ELi256ELi16ELi4ELb0ELb0EEvPKcS1_S1_S1_S1_PKiPfP15HIP_vector_typeIfLj2EEffffjfiS5_IjLj3EEiiiiiiiiiiiliiliiiiil.kd
    .uniform_work_group_size: 1
    .uses_dynamic_stack: false
    .vgpr_count:     256
    .vgpr_spill_count: 24
    .wavefront_size: 64
  - .agpr_count:     0
    .args:
      - .address_space:  global
        .offset:         0
        .size:           8
        .value_kind:     global_buffer
      - .address_space:  global
        .offset:         8
        .size:           8
        .value_kind:     global_buffer
      - .address_space:  global
        .offset:         16
        .size:           8
        .value_kind:     global_buffer
      - .address_space:  global
        .offset:         24
        .size:           8
        .value_kind:     global_buffer
      - .address_space:  global
        .offset:         32
        .size:           8
        .value_kind:     global_buffer
      - .address_space:  global
        .offset:         40
        .size:           8
        .value_kind:     global_buffer
      - .address_space:  global
        .offset:         48
        .size:           8
        .value_kind:     global_buffer
      - .address_space:  global
        .offset:         56
        .size:           8
        .value_kind:     global_buffer
      - .offset:         64
        .size:           4
        .value_kind:     by_value
      - .offset:         68
        .size:           4
        .value_kind:     by_value
      - .offset:         72
        .size:           4
        .value_kind:     by_value
      - .offset:         76
        .size:           4
        .value_kind:     by_value
      - .offset:         80
        .size:           4
        .value_kind:     by_value
      - .offset:         84
        .size:           4
        .value_kind:     by_value
      - .offset:         88
        .size:           4
        .value_kind:     by_value
      - .offset:         92
        .size:           12
        .value_kind:     by_value
      - .offset:         104
        .size:           4
        .value_kind:     by_value
      - .offset:         108
        .size:           4
        .value_kind:     by_value
      - .offset:         112
        .size:           4
        .value_kind:     by_value
      - .offset:         116
        .size:           4
        .value_kind:     by_value
      - .offset:         120
        .size:           4
        .value_kind:     by_value
      - .offset:         124
        .size:           4
        .value_kind:     by_value
      - .offset:         128
        .size:           4
        .value_kind:     by_value
      - .offset:         132
        .size:           4
        .value_kind:     by_value
      - .offset:         136
        .size:           4
        .value_kind:     by_value
      - .offset:         140
        .size:           4
        .value_kind:     by_value
      - .offset:         144
        .size:           4
        .value_kind:     by_value
      - .offset:         152
        .size:           8
        .value_kind:     by_value
      - .offset:         160
        .size:           4
        .value_kind:     by_value
      - .offset:         164
        .size:           4
        .value_kind:     by_value
      - .offset:         168
        .size:           8
        .value_kind:     by_value
      - .offset:         176
        .size:           4
        .value_kind:     by_value
      - .offset:         180
        .size:           4
        .value_kind:     by_value
      - .offset:         184
        .size:           4
        .value_kind:     by_value
      - .offset:         188
        .size:           4
        .value_kind:     by_value
      - .offset:         192
        .size:           4
        .value_kind:     by_value
      - .offset:         200
        .size:           8
        .value_kind:     by_value
      - .offset:         208
        .size:           4
        .value_kind:     hidden_block_count_x
      - .offset:         212
        .size:           4
        .value_kind:     hidden_block_count_y
      - .offset:         216
        .size:           4
        .value_kind:     hidden_block_count_z
      - .offset:         220
        .size:           2
        .value_kind:     hidden_group_size_x
      - .offset:         222
        .size:           2
        .value_kind:     hidden_group_size_y
      - .offset:         224
        .size:           2
        .value_kind:     hidden_group_size_z
      - .offset:         226
        .size:           2
        .value_kind:     hidden_remainder_x
      - .offset:         228
        .size:           2
        .value_kind:     hidden_remainder_y
      - .offset:         230
        .size:           2
        .value_kind:     hidden_remainder_z
      - .offset:         248
        .size:           8
        .value_kind:     hidden_global_offset_x
      - .offset:         256
        .size:           8
        .value_kind:     hidden_global_offset_y
      - .offset:         264
        .size:           8
        .value_kind:     hidden_global_offset_z
      - .offset:         272
        .size:           2
        .value_kind:     hidden_grid_dims
      - .offset:         328
        .size:           4
        .value_kind:     hidden_dynamic_lds_size
    .group_segment_fixed_size: 0
    .kernarg_segment_align: 8
    .kernarg_segment_size: 464
    .language:       OpenCL C
    .language_version:
      - 2
      - 0
    .max_flat_workgroup_size: 512
    .name:           _ZL18flash_attn_ext_f16ILi256ELi256ELi16ELi4ELb1ELb0EEvPKcS1_S1_S1_S1_PKiPfP15HIP_vector_typeIfLj2EEffffjfiS5_IjLj3EEiiiiiiiiiiiliiliiiiil
    .private_segment_fixed_size: 72
    .sgpr_count:     105
    .sgpr_spill_count: 0
    .symbol:         _ZL18flash_attn_ext_f16ILi256ELi256ELi16ELi4ELb1ELb0EEvPKcS1_S1_S1_S1_PKiPfP15HIP_vector_typeIfLj2EEffffjfiS5_IjLj3EEiiiiiiiiiiiliiliiiiil.kd
    .uniform_work_group_size: 1
    .uses_dynamic_stack: false
    .vgpr_count:     256
    .vgpr_spill_count: 17
    .wavefront_size: 64
  - .agpr_count:     0
    .args:
      - .address_space:  global
        .offset:         0
        .size:           8
        .value_kind:     global_buffer
      - .address_space:  global
        .offset:         8
        .size:           8
        .value_kind:     global_buffer
      - .offset:         16
        .size:           4
        .value_kind:     by_value
      - .offset:         20
        .size:           4
        .value_kind:     by_value
      - .offset:         24
        .size:           4
        .value_kind:     by_value
      - .offset:         28
        .size:           4
        .value_kind:     by_value
      - .offset:         32
        .size:           4
        .value_kind:     by_value
      - .offset:         36
        .size:           4
        .value_kind:     by_value
      - .offset:         40
        .size:           12
        .value_kind:     by_value
      - .offset:         52
        .size:           12
        .value_kind:     by_value
      - .offset:         64
        .size:           12
        .value_kind:     by_value
    .group_segment_fixed_size: 0
    .kernarg_segment_align: 8
    .kernarg_segment_size: 76
    .language:       OpenCL C
    .language_version:
      - 2
      - 0
    .max_flat_workgroup_size: 256
    .name:           _ZL33flash_attn_stream_k_fixup_uniformILi256ELi16ELi4EEvPfPK15HIP_vector_typeIfLj2EEiiiiiiS1_IjLj3EES5_S5_
    .private_segment_fixed_size: 0
    .sgpr_count:     30
    .sgpr_spill_count: 0
    .symbol:         _ZL33flash_attn_stream_k_fixup_uniformILi256ELi16ELi4EEvPfPK15HIP_vector_typeIfLj2EEiiiiiiS1_IjLj3EES5_S5_.kd
    .uniform_work_group_size: 1
    .uses_dynamic_stack: false
    .vgpr_count:     17
    .vgpr_spill_count: 0
    .wavefront_size: 64
  - .agpr_count:     0
    .args:
      - .address_space:  global
        .offset:         0
        .size:           8
        .value_kind:     global_buffer
      - .address_space:  global
        .offset:         8
        .size:           8
        .value_kind:     global_buffer
      - .offset:         16
        .size:           4
        .value_kind:     by_value
      - .offset:         20
        .size:           4
        .value_kind:     by_value
      - .offset:         24
        .size:           4
        .value_kind:     by_value
      - .offset:         28
        .size:           4
        .value_kind:     by_value
      - .offset:         32
        .size:           12
        .value_kind:     by_value
      - .offset:         44
        .size:           12
        .value_kind:     by_value
      - .offset:         56
        .size:           12
        .value_kind:     by_value
      - .offset:         68
        .size:           12
        .value_kind:     by_value
      - .offset:         80
        .size:           4
        .value_kind:     hidden_block_count_x
      - .offset:         84
        .size:           4
        .value_kind:     hidden_block_count_y
      - .offset:         88
        .size:           4
        .value_kind:     hidden_block_count_z
      - .offset:         92
        .size:           2
        .value_kind:     hidden_group_size_x
      - .offset:         94
        .size:           2
        .value_kind:     hidden_group_size_y
      - .offset:         96
        .size:           2
        .value_kind:     hidden_group_size_z
      - .offset:         98
        .size:           2
        .value_kind:     hidden_remainder_x
      - .offset:         100
        .size:           2
        .value_kind:     hidden_remainder_y
      - .offset:         102
        .size:           2
        .value_kind:     hidden_remainder_z
      - .offset:         120
        .size:           8
        .value_kind:     hidden_global_offset_x
      - .offset:         128
        .size:           8
        .value_kind:     hidden_global_offset_y
      - .offset:         136
        .size:           8
        .value_kind:     hidden_global_offset_z
      - .offset:         144
        .size:           2
        .value_kind:     hidden_grid_dims
    .group_segment_fixed_size: 0
    .kernarg_segment_align: 8
    .kernarg_segment_size: 336
    .language:       OpenCL C
    .language_version:
      - 2
      - 0
    .max_flat_workgroup_size: 256
    .name:           _ZL33flash_attn_stream_k_fixup_generalILi256ELi16ELi4EEvPfPK15HIP_vector_typeIfLj2EEiiiiS1_IjLj3EES5_S5_S5_
    .private_segment_fixed_size: 0
    .sgpr_count:     42
    .sgpr_spill_count: 0
    .symbol:         _ZL33flash_attn_stream_k_fixup_generalILi256ELi16ELi4EEvPfPK15HIP_vector_typeIfLj2EEiiiiS1_IjLj3EES5_S5_S5_.kd
    .uniform_work_group_size: 1
    .uses_dynamic_stack: false
    .vgpr_count:     18
    .vgpr_spill_count: 0
    .wavefront_size: 64
  - .agpr_count:     0
    .args:
      - .address_space:  global
        .offset:         0
        .size:           8
        .value_kind:     global_buffer
      - .address_space:  global
        .offset:         8
        .size:           8
        .value_kind:     global_buffer
      - .address_space:  global
        .offset:         16
        .size:           8
        .value_kind:     global_buffer
      - .offset:         24
        .size:           4
        .value_kind:     by_value
      - .offset:         32
        .size:           4
        .value_kind:     hidden_block_count_x
      - .offset:         36
        .size:           4
        .value_kind:     hidden_block_count_y
      - .offset:         40
        .size:           4
        .value_kind:     hidden_block_count_z
      - .offset:         44
        .size:           2
        .value_kind:     hidden_group_size_x
      - .offset:         46
        .size:           2
        .value_kind:     hidden_group_size_y
      - .offset:         48
        .size:           2
        .value_kind:     hidden_group_size_z
      - .offset:         50
        .size:           2
        .value_kind:     hidden_remainder_x
      - .offset:         52
        .size:           2
        .value_kind:     hidden_remainder_y
      - .offset:         54
        .size:           2
        .value_kind:     hidden_remainder_z
      - .offset:         72
        .size:           8
        .value_kind:     hidden_global_offset_x
      - .offset:         80
        .size:           8
        .value_kind:     hidden_global_offset_y
      - .offset:         88
        .size:           8
        .value_kind:     hidden_global_offset_z
      - .offset:         96
        .size:           2
        .value_kind:     hidden_grid_dims
      - .offset:         152
        .size:           4
        .value_kind:     hidden_dynamic_lds_size
    .group_segment_fixed_size: 0
    .kernarg_segment_align: 8
    .kernarg_segment_size: 288
    .language:       OpenCL C
    .language_version:
      - 2
      - 0
    .max_flat_workgroup_size: 256
    .name:           _ZL26flash_attn_combine_resultsILi256EEvPKfPK15HIP_vector_typeIfLj2EEPfi
    .private_segment_fixed_size: 0
    .sgpr_count:     32
    .sgpr_spill_count: 0
    .symbol:         _ZL26flash_attn_combine_resultsILi256EEvPKfPK15HIP_vector_typeIfLj2EEPfi.kd
    .uniform_work_group_size: 1
    .uses_dynamic_stack: false
    .vgpr_count:     59
    .vgpr_spill_count: 0
    .wavefront_size: 64
  - .agpr_count:     0
    .args:
      - .address_space:  global
        .offset:         0
        .size:           8
        .value_kind:     global_buffer
      - .address_space:  global
        .offset:         8
        .size:           8
        .value_kind:     global_buffer
      - .address_space:  global
        .offset:         16
        .size:           8
        .value_kind:     global_buffer
      - .address_space:  global
        .offset:         24
        .size:           8
        .value_kind:     global_buffer
      - .address_space:  global
        .offset:         32
        .size:           8
        .value_kind:     global_buffer
      - .address_space:  global
        .offset:         40
        .size:           8
        .value_kind:     global_buffer
      - .address_space:  global
        .offset:         48
        .size:           8
        .value_kind:     global_buffer
      - .address_space:  global
        .offset:         56
        .size:           8
        .value_kind:     global_buffer
      - .offset:         64
        .size:           4
        .value_kind:     by_value
      - .offset:         68
        .size:           4
        .value_kind:     by_value
      - .offset:         72
        .size:           4
        .value_kind:     by_value
      - .offset:         76
        .size:           4
        .value_kind:     by_value
      - .offset:         80
        .size:           4
        .value_kind:     by_value
      - .offset:         84
        .size:           4
        .value_kind:     by_value
      - .offset:         88
        .size:           4
        .value_kind:     by_value
      - .offset:         92
        .size:           12
        .value_kind:     by_value
      - .offset:         104
        .size:           4
        .value_kind:     by_value
      - .offset:         108
        .size:           4
        .value_kind:     by_value
      - .offset:         112
        .size:           4
        .value_kind:     by_value
      - .offset:         116
        .size:           4
        .value_kind:     by_value
      - .offset:         120
        .size:           4
        .value_kind:     by_value
      - .offset:         124
        .size:           4
        .value_kind:     by_value
      - .offset:         128
        .size:           4
        .value_kind:     by_value
      - .offset:         132
        .size:           4
        .value_kind:     by_value
      - .offset:         136
        .size:           4
        .value_kind:     by_value
      - .offset:         140
        .size:           4
        .value_kind:     by_value
      - .offset:         144
        .size:           4
        .value_kind:     by_value
      - .offset:         152
        .size:           8
        .value_kind:     by_value
      - .offset:         160
        .size:           4
        .value_kind:     by_value
      - .offset:         164
        .size:           4
        .value_kind:     by_value
      - .offset:         168
        .size:           8
        .value_kind:     by_value
      - .offset:         176
        .size:           4
        .value_kind:     by_value
      - .offset:         180
        .size:           4
        .value_kind:     by_value
      - .offset:         184
        .size:           4
        .value_kind:     by_value
      - .offset:         188
        .size:           4
        .value_kind:     by_value
      - .offset:         192
        .size:           4
        .value_kind:     by_value
      - .offset:         200
        .size:           8
        .value_kind:     by_value
      - .offset:         208
        .size:           4
        .value_kind:     hidden_block_count_x
      - .offset:         212
        .size:           4
        .value_kind:     hidden_block_count_y
      - .offset:         216
        .size:           4
        .value_kind:     hidden_block_count_z
      - .offset:         220
        .size:           2
        .value_kind:     hidden_group_size_x
      - .offset:         222
        .size:           2
        .value_kind:     hidden_group_size_y
      - .offset:         224
        .size:           2
        .value_kind:     hidden_group_size_z
      - .offset:         226
        .size:           2
        .value_kind:     hidden_remainder_x
      - .offset:         228
        .size:           2
        .value_kind:     hidden_remainder_y
      - .offset:         230
        .size:           2
        .value_kind:     hidden_remainder_z
      - .offset:         248
        .size:           8
        .value_kind:     hidden_global_offset_x
      - .offset:         256
        .size:           8
        .value_kind:     hidden_global_offset_y
      - .offset:         264
        .size:           8
        .value_kind:     hidden_global_offset_z
      - .offset:         272
        .size:           2
        .value_kind:     hidden_grid_dims
      - .offset:         288
        .size:           8
        .value_kind:     hidden_hostcall_buffer
    .group_segment_fixed_size: 0
    .kernarg_segment_align: 8
    .kernarg_segment_size: 464
    .language:       OpenCL C
    .language_version:
      - 2
      - 0
    .max_flat_workgroup_size: 256
    .name:           _ZL18flash_attn_ext_f16ILi512ELi512ELi16ELi4ELb0ELb0EEvPKcS1_S1_S1_S1_PKiPfP15HIP_vector_typeIfLj2EEffffjfiS5_IjLj3EEiiiiiiiiiiiliiliiiiil
    .private_segment_fixed_size: 16
    .sgpr_count:     40
    .sgpr_spill_count: 0
    .symbol:         _ZL18flash_attn_ext_f16ILi512ELi512ELi16ELi4ELb0ELb0EEvPKcS1_S1_S1_S1_PKiPfP15HIP_vector_typeIfLj2EEffffjfiS5_IjLj3EEiiiiiiiiiiiliiliiiiil.kd
    .uniform_work_group_size: 1
    .uses_dynamic_stack: false
    .vgpr_count:     52
    .vgpr_spill_count: 0
    .wavefront_size: 64
  - .agpr_count:     0
    .args:
      - .address_space:  global
        .offset:         0
        .size:           8
        .value_kind:     global_buffer
      - .address_space:  global
        .offset:         8
        .size:           8
        .value_kind:     global_buffer
      - .address_space:  global
        .offset:         16
        .size:           8
        .value_kind:     global_buffer
      - .address_space:  global
        .offset:         24
        .size:           8
        .value_kind:     global_buffer
      - .address_space:  global
        .offset:         32
        .size:           8
        .value_kind:     global_buffer
      - .address_space:  global
        .offset:         40
        .size:           8
        .value_kind:     global_buffer
      - .address_space:  global
        .offset:         48
        .size:           8
        .value_kind:     global_buffer
      - .address_space:  global
        .offset:         56
        .size:           8
        .value_kind:     global_buffer
      - .offset:         64
        .size:           4
        .value_kind:     by_value
      - .offset:         68
        .size:           4
        .value_kind:     by_value
      - .offset:         72
        .size:           4
        .value_kind:     by_value
      - .offset:         76
        .size:           4
        .value_kind:     by_value
      - .offset:         80
        .size:           4
        .value_kind:     by_value
      - .offset:         84
        .size:           4
        .value_kind:     by_value
      - .offset:         88
        .size:           4
        .value_kind:     by_value
      - .offset:         92
        .size:           12
        .value_kind:     by_value
      - .offset:         104
        .size:           4
        .value_kind:     by_value
      - .offset:         108
        .size:           4
        .value_kind:     by_value
      - .offset:         112
        .size:           4
        .value_kind:     by_value
      - .offset:         116
        .size:           4
        .value_kind:     by_value
      - .offset:         120
        .size:           4
        .value_kind:     by_value
      - .offset:         124
        .size:           4
        .value_kind:     by_value
      - .offset:         128
        .size:           4
        .value_kind:     by_value
      - .offset:         132
        .size:           4
        .value_kind:     by_value
      - .offset:         136
        .size:           4
        .value_kind:     by_value
      - .offset:         140
        .size:           4
        .value_kind:     by_value
      - .offset:         144
        .size:           4
        .value_kind:     by_value
      - .offset:         152
        .size:           8
        .value_kind:     by_value
      - .offset:         160
        .size:           4
        .value_kind:     by_value
      - .offset:         164
        .size:           4
        .value_kind:     by_value
      - .offset:         168
        .size:           8
        .value_kind:     by_value
      - .offset:         176
        .size:           4
        .value_kind:     by_value
      - .offset:         180
        .size:           4
        .value_kind:     by_value
      - .offset:         184
        .size:           4
        .value_kind:     by_value
      - .offset:         188
        .size:           4
        .value_kind:     by_value
      - .offset:         192
        .size:           4
        .value_kind:     by_value
      - .offset:         200
        .size:           8
        .value_kind:     by_value
      - .offset:         208
        .size:           4
        .value_kind:     hidden_block_count_x
      - .offset:         212
        .size:           4
        .value_kind:     hidden_block_count_y
      - .offset:         216
        .size:           4
        .value_kind:     hidden_block_count_z
      - .offset:         220
        .size:           2
        .value_kind:     hidden_group_size_x
      - .offset:         222
        .size:           2
        .value_kind:     hidden_group_size_y
      - .offset:         224
        .size:           2
        .value_kind:     hidden_group_size_z
      - .offset:         226
        .size:           2
        .value_kind:     hidden_remainder_x
      - .offset:         228
        .size:           2
        .value_kind:     hidden_remainder_y
      - .offset:         230
        .size:           2
        .value_kind:     hidden_remainder_z
      - .offset:         248
        .size:           8
        .value_kind:     hidden_global_offset_x
      - .offset:         256
        .size:           8
        .value_kind:     hidden_global_offset_y
      - .offset:         264
        .size:           8
        .value_kind:     hidden_global_offset_z
      - .offset:         272
        .size:           2
        .value_kind:     hidden_grid_dims
      - .offset:         288
        .size:           8
        .value_kind:     hidden_hostcall_buffer
    .group_segment_fixed_size: 0
    .kernarg_segment_align: 8
    .kernarg_segment_size: 464
    .language:       OpenCL C
    .language_version:
      - 2
      - 0
    .max_flat_workgroup_size: 256
    .name:           _ZL18flash_attn_ext_f16ILi512ELi512ELi16ELi4ELb1ELb0EEvPKcS1_S1_S1_S1_PKiPfP15HIP_vector_typeIfLj2EEffffjfiS5_IjLj3EEiiiiiiiiiiiliiliiiiil
    .private_segment_fixed_size: 16
    .sgpr_count:     40
    .sgpr_spill_count: 0
    .symbol:         _ZL18flash_attn_ext_f16ILi512ELi512ELi16ELi4ELb1ELb0EEvPKcS1_S1_S1_S1_PKiPfP15HIP_vector_typeIfLj2EEffffjfiS5_IjLj3EEiiiiiiiiiiiliiliiiiil.kd
    .uniform_work_group_size: 1
    .uses_dynamic_stack: false
    .vgpr_count:     52
    .vgpr_spill_count: 0
    .wavefront_size: 64
  - .agpr_count:     0
    .args:
      - .address_space:  global
        .offset:         0
        .size:           8
        .value_kind:     global_buffer
      - .address_space:  global
        .offset:         8
        .size:           8
        .value_kind:     global_buffer
      - .offset:         16
        .size:           4
        .value_kind:     by_value
      - .offset:         20
        .size:           4
        .value_kind:     by_value
      - .offset:         24
        .size:           4
        .value_kind:     by_value
      - .offset:         28
        .size:           4
        .value_kind:     by_value
      - .offset:         32
        .size:           4
        .value_kind:     by_value
      - .offset:         36
        .size:           4
        .value_kind:     by_value
      - .offset:         40
        .size:           12
        .value_kind:     by_value
      - .offset:         52
        .size:           12
        .value_kind:     by_value
      - .offset:         64
        .size:           12
        .value_kind:     by_value
    .group_segment_fixed_size: 0
    .kernarg_segment_align: 8
    .kernarg_segment_size: 76
    .language:       OpenCL C
    .language_version:
      - 2
      - 0
    .max_flat_workgroup_size: 512
    .name:           _ZL33flash_attn_stream_k_fixup_uniformILi512ELi16ELi4EEvPfPK15HIP_vector_typeIfLj2EEiiiiiiS1_IjLj3EES5_S5_
    .private_segment_fixed_size: 0
    .sgpr_count:     30
    .sgpr_spill_count: 0
    .symbol:         _ZL33flash_attn_stream_k_fixup_uniformILi512ELi16ELi4EEvPfPK15HIP_vector_typeIfLj2EEiiiiiiS1_IjLj3EES5_S5_.kd
    .uniform_work_group_size: 1
    .uses_dynamic_stack: false
    .vgpr_count:     17
    .vgpr_spill_count: 0
    .wavefront_size: 64
  - .agpr_count:     0
    .args:
      - .address_space:  global
        .offset:         0
        .size:           8
        .value_kind:     global_buffer
      - .address_space:  global
        .offset:         8
        .size:           8
        .value_kind:     global_buffer
      - .offset:         16
        .size:           4
        .value_kind:     by_value
      - .offset:         20
        .size:           4
        .value_kind:     by_value
      - .offset:         24
        .size:           4
        .value_kind:     by_value
      - .offset:         28
        .size:           4
        .value_kind:     by_value
      - .offset:         32
        .size:           12
        .value_kind:     by_value
      - .offset:         44
        .size:           12
        .value_kind:     by_value
      - .offset:         56
        .size:           12
        .value_kind:     by_value
      - .offset:         68
        .size:           12
        .value_kind:     by_value
      - .offset:         80
        .size:           4
        .value_kind:     hidden_block_count_x
      - .offset:         84
        .size:           4
        .value_kind:     hidden_block_count_y
      - .offset:         88
        .size:           4
        .value_kind:     hidden_block_count_z
      - .offset:         92
        .size:           2
        .value_kind:     hidden_group_size_x
      - .offset:         94
        .size:           2
        .value_kind:     hidden_group_size_y
      - .offset:         96
        .size:           2
        .value_kind:     hidden_group_size_z
      - .offset:         98
        .size:           2
        .value_kind:     hidden_remainder_x
      - .offset:         100
        .size:           2
        .value_kind:     hidden_remainder_y
      - .offset:         102
        .size:           2
        .value_kind:     hidden_remainder_z
      - .offset:         120
        .size:           8
        .value_kind:     hidden_global_offset_x
      - .offset:         128
        .size:           8
        .value_kind:     hidden_global_offset_y
      - .offset:         136
        .size:           8
        .value_kind:     hidden_global_offset_z
      - .offset:         144
        .size:           2
        .value_kind:     hidden_grid_dims
    .group_segment_fixed_size: 0
    .kernarg_segment_align: 8
    .kernarg_segment_size: 336
    .language:       OpenCL C
    .language_version:
      - 2
      - 0
    .max_flat_workgroup_size: 512
    .name:           _ZL33flash_attn_stream_k_fixup_generalILi512ELi16ELi4EEvPfPK15HIP_vector_typeIfLj2EEiiiiS1_IjLj3EES5_S5_S5_
    .private_segment_fixed_size: 0
    .sgpr_count:     42
    .sgpr_spill_count: 0
    .symbol:         _ZL33flash_attn_stream_k_fixup_generalILi512ELi16ELi4EEvPfPK15HIP_vector_typeIfLj2EEiiiiS1_IjLj3EES5_S5_S5_.kd
    .uniform_work_group_size: 1
    .uses_dynamic_stack: false
    .vgpr_count:     18
    .vgpr_spill_count: 0
    .wavefront_size: 64
  - .agpr_count:     0
    .args:
      - .address_space:  global
        .offset:         0
        .size:           8
        .value_kind:     global_buffer
      - .address_space:  global
        .offset:         8
        .size:           8
        .value_kind:     global_buffer
      - .address_space:  global
        .offset:         16
        .size:           8
        .value_kind:     global_buffer
      - .offset:         24
        .size:           4
        .value_kind:     by_value
      - .offset:         32
        .size:           4
        .value_kind:     hidden_block_count_x
      - .offset:         36
        .size:           4
        .value_kind:     hidden_block_count_y
      - .offset:         40
        .size:           4
        .value_kind:     hidden_block_count_z
      - .offset:         44
        .size:           2
        .value_kind:     hidden_group_size_x
      - .offset:         46
        .size:           2
        .value_kind:     hidden_group_size_y
      - .offset:         48
        .size:           2
        .value_kind:     hidden_group_size_z
      - .offset:         50
        .size:           2
        .value_kind:     hidden_remainder_x
      - .offset:         52
        .size:           2
        .value_kind:     hidden_remainder_y
      - .offset:         54
        .size:           2
        .value_kind:     hidden_remainder_z
      - .offset:         72
        .size:           8
        .value_kind:     hidden_global_offset_x
      - .offset:         80
        .size:           8
        .value_kind:     hidden_global_offset_y
      - .offset:         88
        .size:           8
        .value_kind:     hidden_global_offset_z
      - .offset:         96
        .size:           2
        .value_kind:     hidden_grid_dims
      - .offset:         152
        .size:           4
        .value_kind:     hidden_dynamic_lds_size
    .group_segment_fixed_size: 0
    .kernarg_segment_align: 8
    .kernarg_segment_size: 288
    .language:       OpenCL C
    .language_version:
      - 2
      - 0
    .max_flat_workgroup_size: 512
    .name:           _ZL26flash_attn_combine_resultsILi512EEvPKfPK15HIP_vector_typeIfLj2EEPfi
    .private_segment_fixed_size: 0
    .sgpr_count:     32
    .sgpr_spill_count: 0
    .symbol:         _ZL26flash_attn_combine_resultsILi512EEvPKfPK15HIP_vector_typeIfLj2EEPfi.kd
    .uniform_work_group_size: 1
    .uses_dynamic_stack: false
    .vgpr_count:     59
    .vgpr_spill_count: 0
    .wavefront_size: 64
  - .agpr_count:     0
    .args:
      - .address_space:  global
        .offset:         0
        .size:           8
        .value_kind:     global_buffer
      - .address_space:  global
        .offset:         8
        .size:           8
        .value_kind:     global_buffer
      - .address_space:  global
        .offset:         16
        .size:           8
        .value_kind:     global_buffer
      - .address_space:  global
        .offset:         24
        .size:           8
        .value_kind:     global_buffer
      - .address_space:  global
        .offset:         32
        .size:           8
        .value_kind:     global_buffer
      - .address_space:  global
        .offset:         40
        .size:           8
        .value_kind:     global_buffer
      - .address_space:  global
        .offset:         48
        .size:           8
        .value_kind:     global_buffer
      - .address_space:  global
        .offset:         56
        .size:           8
        .value_kind:     global_buffer
      - .offset:         64
        .size:           4
        .value_kind:     by_value
      - .offset:         68
        .size:           4
        .value_kind:     by_value
      - .offset:         72
        .size:           4
        .value_kind:     by_value
      - .offset:         76
        .size:           4
        .value_kind:     by_value
      - .offset:         80
        .size:           4
        .value_kind:     by_value
      - .offset:         84
        .size:           4
        .value_kind:     by_value
      - .offset:         88
        .size:           4
        .value_kind:     by_value
      - .offset:         92
        .size:           12
        .value_kind:     by_value
      - .offset:         104
        .size:           4
        .value_kind:     by_value
      - .offset:         108
        .size:           4
        .value_kind:     by_value
      - .offset:         112
        .size:           4
        .value_kind:     by_value
      - .offset:         116
        .size:           4
        .value_kind:     by_value
      - .offset:         120
        .size:           4
        .value_kind:     by_value
      - .offset:         124
        .size:           4
        .value_kind:     by_value
      - .offset:         128
        .size:           4
        .value_kind:     by_value
      - .offset:         132
        .size:           4
        .value_kind:     by_value
      - .offset:         136
        .size:           4
        .value_kind:     by_value
      - .offset:         140
        .size:           4
        .value_kind:     by_value
      - .offset:         144
        .size:           4
        .value_kind:     by_value
      - .offset:         152
        .size:           8
        .value_kind:     by_value
      - .offset:         160
        .size:           4
        .value_kind:     by_value
      - .offset:         164
        .size:           4
        .value_kind:     by_value
      - .offset:         168
        .size:           8
        .value_kind:     by_value
      - .offset:         176
        .size:           4
        .value_kind:     by_value
      - .offset:         180
        .size:           4
        .value_kind:     by_value
      - .offset:         184
        .size:           4
        .value_kind:     by_value
      - .offset:         188
        .size:           4
        .value_kind:     by_value
      - .offset:         192
        .size:           4
        .value_kind:     by_value
      - .offset:         200
        .size:           8
        .value_kind:     by_value
      - .offset:         208
        .size:           4
        .value_kind:     hidden_block_count_x
      - .offset:         212
        .size:           4
        .value_kind:     hidden_block_count_y
      - .offset:         216
        .size:           4
        .value_kind:     hidden_block_count_z
      - .offset:         220
        .size:           2
        .value_kind:     hidden_group_size_x
      - .offset:         222
        .size:           2
        .value_kind:     hidden_group_size_y
      - .offset:         224
        .size:           2
        .value_kind:     hidden_group_size_z
      - .offset:         226
        .size:           2
        .value_kind:     hidden_remainder_x
      - .offset:         228
        .size:           2
        .value_kind:     hidden_remainder_y
      - .offset:         230
        .size:           2
        .value_kind:     hidden_remainder_z
      - .offset:         248
        .size:           8
        .value_kind:     hidden_global_offset_x
      - .offset:         256
        .size:           8
        .value_kind:     hidden_global_offset_y
      - .offset:         264
        .size:           8
        .value_kind:     hidden_global_offset_z
      - .offset:         272
        .size:           2
        .value_kind:     hidden_grid_dims
      - .offset:         288
        .size:           8
        .value_kind:     hidden_hostcall_buffer
    .group_segment_fixed_size: 0
    .kernarg_segment_align: 8
    .kernarg_segment_size: 464
    .language:       OpenCL C
    .language_version:
      - 2
      - 0
    .max_flat_workgroup_size: 256
    .name:           _ZL18flash_attn_ext_f16ILi576ELi512ELi16ELi4ELb0ELb1EEvPKcS1_S1_S1_S1_PKiPfP15HIP_vector_typeIfLj2EEffffjfiS5_IjLj3EEiiiiiiiiiiiliiliiiiil
    .private_segment_fixed_size: 16
    .sgpr_count:     40
    .sgpr_spill_count: 0
    .symbol:         _ZL18flash_attn_ext_f16ILi576ELi512ELi16ELi4ELb0ELb1EEvPKcS1_S1_S1_S1_PKiPfP15HIP_vector_typeIfLj2EEffffjfiS5_IjLj3EEiiiiiiiiiiiliiliiiiil.kd
    .uniform_work_group_size: 1
    .uses_dynamic_stack: false
    .vgpr_count:     52
    .vgpr_spill_count: 0
    .wavefront_size: 64
  - .agpr_count:     0
    .args:
      - .address_space:  global
        .offset:         0
        .size:           8
        .value_kind:     global_buffer
      - .address_space:  global
        .offset:         8
        .size:           8
        .value_kind:     global_buffer
      - .address_space:  global
        .offset:         16
        .size:           8
        .value_kind:     global_buffer
      - .address_space:  global
        .offset:         24
        .size:           8
        .value_kind:     global_buffer
      - .address_space:  global
        .offset:         32
        .size:           8
        .value_kind:     global_buffer
      - .address_space:  global
        .offset:         40
        .size:           8
        .value_kind:     global_buffer
      - .address_space:  global
        .offset:         48
        .size:           8
        .value_kind:     global_buffer
      - .address_space:  global
        .offset:         56
        .size:           8
        .value_kind:     global_buffer
      - .offset:         64
        .size:           4
        .value_kind:     by_value
      - .offset:         68
        .size:           4
        .value_kind:     by_value
      - .offset:         72
        .size:           4
        .value_kind:     by_value
      - .offset:         76
        .size:           4
        .value_kind:     by_value
      - .offset:         80
        .size:           4
        .value_kind:     by_value
      - .offset:         84
        .size:           4
        .value_kind:     by_value
      - .offset:         88
        .size:           4
        .value_kind:     by_value
      - .offset:         92
        .size:           12
        .value_kind:     by_value
      - .offset:         104
        .size:           4
        .value_kind:     by_value
      - .offset:         108
        .size:           4
        .value_kind:     by_value
      - .offset:         112
        .size:           4
        .value_kind:     by_value
      - .offset:         116
        .size:           4
        .value_kind:     by_value
      - .offset:         120
        .size:           4
        .value_kind:     by_value
      - .offset:         124
        .size:           4
        .value_kind:     by_value
      - .offset:         128
        .size:           4
        .value_kind:     by_value
      - .offset:         132
        .size:           4
        .value_kind:     by_value
      - .offset:         136
        .size:           4
        .value_kind:     by_value
      - .offset:         140
        .size:           4
        .value_kind:     by_value
      - .offset:         144
        .size:           4
        .value_kind:     by_value
      - .offset:         152
        .size:           8
        .value_kind:     by_value
      - .offset:         160
        .size:           4
        .value_kind:     by_value
      - .offset:         164
        .size:           4
        .value_kind:     by_value
      - .offset:         168
        .size:           8
        .value_kind:     by_value
      - .offset:         176
        .size:           4
        .value_kind:     by_value
      - .offset:         180
        .size:           4
        .value_kind:     by_value
      - .offset:         184
        .size:           4
        .value_kind:     by_value
      - .offset:         188
        .size:           4
        .value_kind:     by_value
      - .offset:         192
        .size:           4
        .value_kind:     by_value
      - .offset:         200
        .size:           8
        .value_kind:     by_value
      - .offset:         208
        .size:           4
        .value_kind:     hidden_block_count_x
      - .offset:         212
        .size:           4
        .value_kind:     hidden_block_count_y
      - .offset:         216
        .size:           4
        .value_kind:     hidden_block_count_z
      - .offset:         220
        .size:           2
        .value_kind:     hidden_group_size_x
      - .offset:         222
        .size:           2
        .value_kind:     hidden_group_size_y
      - .offset:         224
        .size:           2
        .value_kind:     hidden_group_size_z
      - .offset:         226
        .size:           2
        .value_kind:     hidden_remainder_x
      - .offset:         228
        .size:           2
        .value_kind:     hidden_remainder_y
      - .offset:         230
        .size:           2
        .value_kind:     hidden_remainder_z
      - .offset:         248
        .size:           8
        .value_kind:     hidden_global_offset_x
      - .offset:         256
        .size:           8
        .value_kind:     hidden_global_offset_y
      - .offset:         264
        .size:           8
        .value_kind:     hidden_global_offset_z
      - .offset:         272
        .size:           2
        .value_kind:     hidden_grid_dims
      - .offset:         288
        .size:           8
        .value_kind:     hidden_hostcall_buffer
    .group_segment_fixed_size: 0
    .kernarg_segment_align: 8
    .kernarg_segment_size: 464
    .language:       OpenCL C
    .language_version:
      - 2
      - 0
    .max_flat_workgroup_size: 256
    .name:           _ZL18flash_attn_ext_f16ILi576ELi512ELi16ELi4ELb1ELb1EEvPKcS1_S1_S1_S1_PKiPfP15HIP_vector_typeIfLj2EEffffjfiS5_IjLj3EEiiiiiiiiiiiliiliiiiil
    .private_segment_fixed_size: 16
    .sgpr_count:     40
    .sgpr_spill_count: 0
    .symbol:         _ZL18flash_attn_ext_f16ILi576ELi512ELi16ELi4ELb1ELb1EEvPKcS1_S1_S1_S1_PKiPfP15HIP_vector_typeIfLj2EEffffjfiS5_IjLj3EEiiiiiiiiiiiliiliiiiil.kd
    .uniform_work_group_size: 1
    .uses_dynamic_stack: false
    .vgpr_count:     52
    .vgpr_spill_count: 0
    .wavefront_size: 64
amdhsa.target:   amdgcn-amd-amdhsa--gfx950
amdhsa.version:
  - 1
  - 2
...

	.end_amdgpu_metadata
